;; amdgpu-corpus repo=ggml-org/llama.cpp kind=compiled arch=gfx1100 opt=O3
	.text
	.amdgcn_target "amdgcn-amd-amdhsa--gfx1100"
	.amdhsa_code_object_version 6
	.section	.text._ZL18flash_attn_ext_f16ILi64ELi64ELi2ELi8ELb0ELb0EEvPKcS1_S1_S1_S1_PKiPfP15HIP_vector_typeIfLj2EEffffjfiS5_IjLj3EEiiiiiiiiiiiliiliiiiil,"axG",@progbits,_ZL18flash_attn_ext_f16ILi64ELi64ELi2ELi8ELb0ELb0EEvPKcS1_S1_S1_S1_PKiPfP15HIP_vector_typeIfLj2EEffffjfiS5_IjLj3EEiiiiiiiiiiiliiliiiiil,comdat
	.globl	_ZL18flash_attn_ext_f16ILi64ELi64ELi2ELi8ELb0ELb0EEvPKcS1_S1_S1_S1_PKiPfP15HIP_vector_typeIfLj2EEffffjfiS5_IjLj3EEiiiiiiiiiiiliiliiiiil ; -- Begin function _ZL18flash_attn_ext_f16ILi64ELi64ELi2ELi8ELb0ELb0EEvPKcS1_S1_S1_S1_PKiPfP15HIP_vector_typeIfLj2EEffffjfiS5_IjLj3EEiiiiiiiiiiiliiliiiiil
	.p2align	8
	.type	_ZL18flash_attn_ext_f16ILi64ELi64ELi2ELi8ELb0ELb0EEvPKcS1_S1_S1_S1_PKiPfP15HIP_vector_typeIfLj2EEffffjfiS5_IjLj3EEiiiiiiiiiiiliiliiiiil,@function
_ZL18flash_attn_ext_f16ILi64ELi64ELi2ELi8ELb0ELb0EEvPKcS1_S1_S1_S1_PKiPfP15HIP_vector_typeIfLj2EEffffjfiS5_IjLj3EEiiiiiiiiiiiliiliiiiil: ; @_ZL18flash_attn_ext_f16ILi64ELi64ELi2ELi8ELb0ELb0EEvPKcS1_S1_S1_S1_PKiPfP15HIP_vector_typeIfLj2EEffffjfiS5_IjLj3EEiiiiiiiiiiiliiliiiiil
; %bb.0:
	s_clause 0x2
	s_load_b64 s[2:3], s[0:1], 0x80
	s_load_b128 s[8:11], s[0:1], 0x64
	s_load_b32 s14, s[0:1], 0xd0
	s_waitcnt lgkmcnt(0)
	s_abs_i32 s4, s3
	s_abs_i32 s7, s9
	v_cvt_f32_u32_e32 v1, s4
	s_sub_i32 s6, 0, s4
	v_cvt_f32_u32_e32 v3, s14
	s_delay_alu instid0(VALU_DEP_2) | instskip(SKIP_2) | instid1(VALU_DEP_1)
	v_rcp_iflag_f32_e32 v1, v1
	s_waitcnt_depctr 0xfff
	v_mul_f32_e32 v1, 0x4f7ffffe, v1
	v_cvt_u32_f32_e32 v1, v1
	s_delay_alu instid0(VALU_DEP_1) | instskip(SKIP_1) | instid1(VALU_DEP_2)
	v_readfirstlane_b32 s5, v1
	v_cvt_f32_ubyte0_e32 v1, 0
	s_mul_i32 s6, s6, s5
	s_delay_alu instid0(SALU_CYCLE_1) | instskip(NEXT) | instid1(SALU_CYCLE_1)
	s_mul_hi_u32 s6, s5, s6
	s_add_i32 s5, s5, s6
	s_xor_b32 s6, s9, s3
	s_mul_hi_u32 s5, s7, s5
	s_ashr_i32 s6, s6, 31
	s_mul_i32 s12, s5, s4
	s_delay_alu instid0(SALU_CYCLE_1)
	s_sub_i32 s7, s7, s12
	s_add_i32 s12, s5, 1
	s_sub_i32 s13, s7, s4
	s_cmp_ge_u32 s7, s4
	s_cselect_b32 s5, s12, s5
	s_cselect_b32 s7, s13, s7
	s_add_i32 s12, s5, 1
	s_cmp_ge_u32 s7, s4
	s_cselect_b32 s4, s12, s5
	s_add_i32 s2, s2, 63
	s_xor_b32 s4, s4, s6
	s_add_i32 s5, s8, 1
	s_sub_i32 s33, s4, s6
	s_ashr_i32 s7, s2, 31
	s_add_i32 s4, s33, 7
	s_lshr_b32 s68, s5, 1
	s_lshr_b32 s5, s7, 26
	s_ashr_i32 s6, s4, 31
	s_add_i32 s2, s2, s5
	s_lshr_b32 s5, s6, 29
	s_ashr_i32 s72, s2, 6
	s_add_i32 s4, s4, s5
	s_mul_i32 s69, s68, s72
	s_ashr_i32 s2, s4, 3
	s_delay_alu instid0(SALU_CYCLE_1) | instskip(SKIP_2) | instid1(SALU_CYCLE_1)
	s_mul_i32 s70, s69, s2
	s_mov_b32 s2, 0
	s_mul_i32 s71, s70, s3
	s_mul_i32 s4, s71, s10
	s_delay_alu instid0(SALU_CYCLE_1) | instskip(SKIP_2) | instid1(SALU_CYCLE_1)
	s_ashr_i32 s5, s4, 31
	s_mul_hi_u32 s3, s4, s15
	s_mul_i32 s6, s5, s15
	s_add_i32 s3, s3, s6
	s_mul_i32 s6, s4, s15
	s_cmp_lg_u64 s[2:3], 0
	s_cbranch_scc0 .LBB0_261
; %bb.1:
	v_fmamk_f32 v2, v1, 0x4f800000, v3
	s_sub_u32 s12, 0, s14
	s_subb_u32 s13, 0, 0
	s_delay_alu instid0(VALU_DEP_1) | instskip(SKIP_2) | instid1(VALU_DEP_1)
	v_rcp_f32_e32 v2, v2
	s_waitcnt_depctr 0xfff
	v_mul_f32_e32 v2, 0x5f7ffffc, v2
	v_mul_f32_e32 v4, 0x2f800000, v2
	s_delay_alu instid0(VALU_DEP_1) | instskip(NEXT) | instid1(VALU_DEP_1)
	v_trunc_f32_e32 v4, v4
	v_fmamk_f32 v2, v4, 0xcf800000, v2
	v_cvt_u32_f32_e32 v4, v4
	s_delay_alu instid0(VALU_DEP_2) | instskip(NEXT) | instid1(VALU_DEP_2)
	v_cvt_u32_f32_e32 v2, v2
	v_readfirstlane_b32 s7, v4
	s_delay_alu instid0(VALU_DEP_2) | instskip(NEXT) | instid1(VALU_DEP_2)
	v_readfirstlane_b32 s10, v2
	s_mul_i32 s16, s12, s7
	s_delay_alu instid0(VALU_DEP_1)
	s_mul_hi_u32 s18, s12, s10
	s_mul_i32 s17, s13, s10
	s_add_i32 s16, s18, s16
	s_mul_i32 s19, s12, s10
	s_add_i32 s16, s16, s17
	s_mul_hi_u32 s18, s10, s19
	s_mul_hi_u32 s20, s7, s19
	s_mul_i32 s17, s7, s19
	s_mul_hi_u32 s19, s10, s16
	s_mul_i32 s10, s10, s16
	s_mul_hi_u32 s21, s7, s16
	s_add_u32 s10, s18, s10
	s_addc_u32 s18, 0, s19
	s_add_u32 s10, s10, s17
	s_mul_i32 s16, s7, s16
	s_addc_u32 s10, s18, s20
	s_addc_u32 s17, s21, 0
	s_add_u32 s10, s10, s16
	s_addc_u32 s16, 0, s17
	v_add_co_u32 v2, s10, v2, s10
	s_delay_alu instid0(VALU_DEP_1) | instskip(SKIP_1) | instid1(VALU_DEP_1)
	s_cmp_lg_u32 s10, 0
	s_addc_u32 s7, s7, s16
	v_readfirstlane_b32 s10, v2
	s_mul_i32 s16, s12, s7
	s_delay_alu instid0(VALU_DEP_1)
	s_mul_hi_u32 s17, s12, s10
	s_mul_i32 s13, s13, s10
	s_add_i32 s16, s17, s16
	s_mul_i32 s12, s12, s10
	s_add_i32 s16, s16, s13
	s_mul_hi_u32 s17, s7, s12
	s_mul_i32 s18, s7, s12
	s_mul_hi_u32 s12, s10, s12
	s_mul_hi_u32 s19, s10, s16
	s_mul_i32 s10, s10, s16
	s_mul_hi_u32 s13, s7, s16
	s_add_u32 s10, s12, s10
	s_addc_u32 s12, 0, s19
	s_add_u32 s10, s10, s18
	s_mul_i32 s16, s7, s16
	s_addc_u32 s10, s12, s17
	s_addc_u32 s12, s13, 0
	s_add_u32 s10, s10, s16
	s_addc_u32 s12, 0, s12
	v_add_co_u32 v2, s10, v2, s10
	s_delay_alu instid0(VALU_DEP_1) | instskip(SKIP_2) | instid1(SALU_CYCLE_1)
	s_cmp_lg_u32 s10, 0
	s_addc_u32 s7, s7, s12
	s_ashr_i32 s12, s3, 31
	s_add_u32 s16, s6, s12
	s_addc_u32 s17, s3, s12
	v_readfirstlane_b32 s3, v2
	s_mov_b32 s13, s12
	s_delay_alu instid0(SALU_CYCLE_1) | instskip(NEXT) | instid1(SALU_CYCLE_1)
	s_xor_b64 s[16:17], s[16:17], s[12:13]
	s_mul_i32 s18, s16, s7
	s_delay_alu instid0(VALU_DEP_1)
	s_mul_hi_u32 s19, s16, s3
	s_mul_hi_u32 s10, s16, s7
	;; [unrolled: 1-line block ×3, first 2 shown]
	s_mul_i32 s3, s17, s3
	s_add_u32 s18, s19, s18
	s_addc_u32 s10, 0, s10
	s_mul_hi_u32 s20, s17, s7
	s_add_u32 s3, s18, s3
	s_mul_i32 s7, s17, s7
	s_addc_u32 s3, s10, s21
	s_addc_u32 s10, s20, 0
	s_add_u32 s3, s3, s7
	s_addc_u32 s7, 0, s10
	s_mul_i32 s18, s14, s3
	s_add_u32 s10, s3, 1
	v_sub_co_u32 v2, s16, s16, s18
	s_mul_hi_u32 s18, s14, s3
	s_addc_u32 s19, s7, 0
	s_mul_i32 s20, s14, s7
	s_delay_alu instid0(VALU_DEP_1)
	v_sub_co_u32 v4, s21, v2, s14
	s_add_u32 s22, s3, 2
	s_addc_u32 s23, s7, 0
	s_add_i32 s18, s18, s20
	s_cmp_lg_u32 s16, 0
	v_readfirstlane_b32 s16, v4
	s_subb_u32 s17, s17, s18
	s_cmp_lg_u32 s21, 0
	s_subb_u32 s18, s17, 0
	s_delay_alu instid0(VALU_DEP_1) | instskip(SKIP_4) | instid1(SALU_CYCLE_1)
	s_cmp_ge_u32 s16, s14
	s_cselect_b32 s16, -1, 0
	s_cmp_eq_u32 s18, 0
	v_readfirstlane_b32 s18, v2
	s_cselect_b32 s16, s16, -1
	s_cmp_lg_u32 s16, 0
	s_cselect_b32 s10, s22, s10
	s_cselect_b32 s16, s23, s19
	s_cmp_ge_u32 s18, s14
	s_cselect_b32 s18, -1, 0
	s_cmp_eq_u32 s17, 0
	s_cselect_b32 s17, s18, -1
	s_delay_alu instid0(SALU_CYCLE_1) | instskip(SKIP_2) | instid1(SALU_CYCLE_1)
	s_cmp_lg_u32 s17, 0
	s_cselect_b32 s17, s16, s7
	s_cselect_b32 s16, s10, s3
	s_xor_b64 s[16:17], s[16:17], s[12:13]
	s_delay_alu instid0(SALU_CYCLE_1)
	s_sub_u32 s50, s16, s12
	s_load_b64 s[44:45], s[0:1], 0x74
	v_cvt_f32_u32_e32 v2, s14
	s_and_not1_b32 vcc_lo, exec_lo, s2
	s_cbranch_vccnz .LBB0_3
.LBB0_2:
	s_delay_alu instid0(VALU_DEP_1) | instskip(SKIP_3) | instid1(VALU_DEP_1)
	v_rcp_iflag_f32_e32 v4, v2
	s_sub_i32 s3, 0, s14
	s_waitcnt_depctr 0xfff
	v_mul_f32_e32 v4, 0x4f7ffffe, v4
	v_cvt_u32_f32_e32 v4, v4
	s_delay_alu instid0(VALU_DEP_1) | instskip(NEXT) | instid1(VALU_DEP_1)
	v_readfirstlane_b32 s2, v4
	s_mul_i32 s3, s3, s2
	s_delay_alu instid0(SALU_CYCLE_1) | instskip(NEXT) | instid1(SALU_CYCLE_1)
	s_mul_hi_u32 s3, s2, s3
	s_add_i32 s2, s2, s3
	s_delay_alu instid0(SALU_CYCLE_1) | instskip(NEXT) | instid1(SALU_CYCLE_1)
	s_mul_hi_u32 s2, s6, s2
	s_mul_i32 s3, s2, s14
	s_delay_alu instid0(SALU_CYCLE_1)
	s_sub_i32 s3, s6, s3
	s_add_i32 s6, s2, 1
	s_sub_i32 s7, s3, s14
	s_cmp_ge_u32 s3, s14
	s_cselect_b32 s2, s6, s2
	s_cselect_b32 s3, s7, s3
	s_add_i32 s6, s2, 1
	s_cmp_ge_u32 s3, s14
	s_cselect_b32 s50, s6, s2
.LBB0_3:
	s_add_i32 s6, s15, 1
	s_delay_alu instid0(SALU_CYCLE_1) | instskip(SKIP_4) | instid1(SALU_CYCLE_1)
	s_mul_i32 s2, s5, s6
	s_mul_hi_u32 s3, s4, s6
	s_mul_i32 s4, s4, s6
	s_add_i32 s3, s3, s2
	s_mov_b32 s2, 0
	s_cmp_lg_u64 s[2:3], 0
	s_cbranch_scc0 .LBB0_262
; %bb.4:
	v_fmamk_f32 v1, v1, 0x4f800000, v3
	s_sub_u32 s7, 0, s14
	s_subb_u32 s10, 0, 0
	s_delay_alu instid0(VALU_DEP_1) | instskip(SKIP_2) | instid1(VALU_DEP_1)
	v_rcp_f32_e32 v1, v1
	s_waitcnt_depctr 0xfff
	v_mul_f32_e32 v1, 0x5f7ffffc, v1
	v_mul_f32_e32 v3, 0x2f800000, v1
	s_delay_alu instid0(VALU_DEP_1) | instskip(NEXT) | instid1(VALU_DEP_1)
	v_trunc_f32_e32 v3, v3
	v_fmamk_f32 v1, v3, 0xcf800000, v1
	v_cvt_u32_f32_e32 v3, v3
	s_delay_alu instid0(VALU_DEP_2) | instskip(NEXT) | instid1(VALU_DEP_2)
	v_cvt_u32_f32_e32 v1, v1
	v_readfirstlane_b32 s5, v3
	s_delay_alu instid0(VALU_DEP_2) | instskip(NEXT) | instid1(VALU_DEP_2)
	v_readfirstlane_b32 s6, v1
	s_mul_i32 s12, s7, s5
	s_delay_alu instid0(VALU_DEP_1)
	s_mul_hi_u32 s16, s7, s6
	s_mul_i32 s13, s10, s6
	s_add_i32 s12, s16, s12
	s_mul_i32 s17, s7, s6
	s_add_i32 s12, s12, s13
	s_mul_hi_u32 s16, s6, s17
	s_mul_hi_u32 s18, s5, s17
	s_mul_i32 s13, s5, s17
	s_mul_hi_u32 s17, s6, s12
	s_mul_i32 s6, s6, s12
	s_mul_hi_u32 s19, s5, s12
	s_add_u32 s6, s16, s6
	s_addc_u32 s16, 0, s17
	s_add_u32 s6, s6, s13
	s_mul_i32 s12, s5, s12
	s_addc_u32 s6, s16, s18
	s_addc_u32 s13, s19, 0
	s_add_u32 s6, s6, s12
	s_addc_u32 s12, 0, s13
	v_add_co_u32 v1, s6, v1, s6
	s_delay_alu instid0(VALU_DEP_1) | instskip(SKIP_1) | instid1(VALU_DEP_1)
	s_cmp_lg_u32 s6, 0
	s_addc_u32 s5, s5, s12
	v_readfirstlane_b32 s6, v1
	s_mul_i32 s12, s7, s5
	s_delay_alu instid0(VALU_DEP_1)
	s_mul_hi_u32 s13, s7, s6
	s_mul_i32 s10, s10, s6
	s_add_i32 s12, s13, s12
	s_mul_i32 s7, s7, s6
	s_add_i32 s12, s12, s10
	s_mul_hi_u32 s13, s5, s7
	s_mul_i32 s16, s5, s7
	s_mul_hi_u32 s7, s6, s7
	s_mul_hi_u32 s17, s6, s12
	s_mul_i32 s6, s6, s12
	s_mul_hi_u32 s10, s5, s12
	s_add_u32 s6, s7, s6
	s_addc_u32 s7, 0, s17
	s_add_u32 s6, s6, s16
	s_mul_i32 s12, s5, s12
	s_addc_u32 s6, s7, s13
	s_addc_u32 s7, s10, 0
	s_add_u32 s6, s6, s12
	s_addc_u32 s7, 0, s7
	v_add_co_u32 v1, s6, v1, s6
	s_delay_alu instid0(VALU_DEP_1) | instskip(SKIP_2) | instid1(SALU_CYCLE_1)
	s_cmp_lg_u32 s6, 0
	s_addc_u32 s5, s5, s7
	s_ashr_i32 s6, s3, 31
	s_add_u32 s12, s4, s6
	s_addc_u32 s13, s3, s6
	v_readfirstlane_b32 s3, v1
	s_mov_b32 s7, s6
	s_delay_alu instid0(SALU_CYCLE_1) | instskip(NEXT) | instid1(SALU_CYCLE_1)
	s_xor_b64 s[12:13], s[12:13], s[6:7]
	s_mul_i32 s16, s12, s5
	s_delay_alu instid0(VALU_DEP_1)
	s_mul_hi_u32 s17, s12, s3
	s_mul_hi_u32 s10, s12, s5
	;; [unrolled: 1-line block ×3, first 2 shown]
	s_mul_i32 s3, s13, s3
	s_add_u32 s16, s17, s16
	s_addc_u32 s10, 0, s10
	s_mul_hi_u32 s18, s13, s5
	s_add_u32 s3, s16, s3
	s_mul_i32 s5, s13, s5
	s_addc_u32 s3, s10, s19
	s_addc_u32 s10, s18, 0
	s_add_u32 s3, s3, s5
	s_addc_u32 s5, 0, s10
	s_mul_i32 s16, s14, s3
	s_add_u32 s10, s3, 1
	v_sub_co_u32 v1, s12, s12, s16
	s_mul_hi_u32 s16, s14, s3
	s_addc_u32 s17, s5, 0
	s_mul_i32 s18, s14, s5
	s_delay_alu instid0(VALU_DEP_1)
	v_sub_co_u32 v3, s19, v1, s14
	s_add_u32 s20, s3, 2
	s_addc_u32 s21, s5, 0
	s_add_i32 s16, s16, s18
	s_cmp_lg_u32 s12, 0
	v_readfirstlane_b32 s12, v3
	s_subb_u32 s13, s13, s16
	s_cmp_lg_u32 s19, 0
	s_subb_u32 s16, s13, 0
	s_delay_alu instid0(VALU_DEP_1) | instskip(SKIP_4) | instid1(SALU_CYCLE_1)
	s_cmp_ge_u32 s12, s14
	s_cselect_b32 s12, -1, 0
	s_cmp_eq_u32 s16, 0
	v_readfirstlane_b32 s16, v1
	s_cselect_b32 s12, s12, -1
	s_cmp_lg_u32 s12, 0
	s_cselect_b32 s10, s20, s10
	s_cselect_b32 s12, s21, s17
	s_cmp_ge_u32 s16, s14
	s_cselect_b32 s16, -1, 0
	s_cmp_eq_u32 s13, 0
	s_cselect_b32 s13, s16, -1
	s_delay_alu instid0(SALU_CYCLE_1) | instskip(SKIP_2) | instid1(SALU_CYCLE_1)
	s_cmp_lg_u32 s13, 0
	s_cselect_b32 s13, s12, s5
	s_cselect_b32 s12, s10, s3
	s_xor_b64 s[12:13], s[12:13], s[6:7]
	s_delay_alu instid0(SALU_CYCLE_1)
	s_sub_u32 s54, s12, s6
	s_load_b64 s[12:13], s[0:1], 0x5c
	s_and_not1_b32 vcc_lo, exec_lo, s2
	s_cbranch_vccnz .LBB0_6
.LBB0_5:
	v_rcp_iflag_f32_e32 v1, v2
	s_sub_i32 s3, 0, s14
	s_waitcnt_depctr 0xfff
	v_mul_f32_e32 v1, 0x4f7ffffe, v1
	s_delay_alu instid0(VALU_DEP_1) | instskip(NEXT) | instid1(VALU_DEP_1)
	v_cvt_u32_f32_e32 v1, v1
	v_readfirstlane_b32 s2, v1
	s_delay_alu instid0(VALU_DEP_1) | instskip(NEXT) | instid1(SALU_CYCLE_1)
	s_mul_i32 s3, s3, s2
	s_mul_hi_u32 s3, s2, s3
	s_delay_alu instid0(SALU_CYCLE_1) | instskip(NEXT) | instid1(SALU_CYCLE_1)
	s_add_i32 s2, s2, s3
	s_mul_hi_u32 s2, s4, s2
	s_delay_alu instid0(SALU_CYCLE_1) | instskip(NEXT) | instid1(SALU_CYCLE_1)
	s_mul_i32 s3, s2, s14
	s_sub_i32 s3, s4, s3
	s_add_i32 s4, s2, 1
	s_sub_i32 s5, s3, s14
	s_cmp_ge_u32 s3, s14
	s_cselect_b32 s2, s4, s2
	s_cselect_b32 s3, s5, s3
	s_add_i32 s4, s2, 1
	s_cmp_ge_u32 s3, s14
	s_cselect_b32 s54, s4, s2
.LBB0_6:
	s_abs_i32 s73, s72
	v_bfe_u32 v95, v0, 10, 10
	v_cvt_f32_u32_e32 v1, s73
	s_clause 0x6
	s_load_b32 s2, s[0:1], 0x40
	s_load_b64 s[48:49], s[0:1], 0x8c
	s_load_b512 s[16:31], s[0:1], 0x0
	s_load_b64 s[52:53], s[0:1], 0xb8
	s_load_b128 s[36:39], s[0:1], 0x98
	s_load_b64 s[42:43], s[0:1], 0xa8
	s_load_b64 s[46:47], s[0:1], 0xc8
	s_sub_i32 s0, 0, s73
	s_abs_i32 s3, s50
	v_rcp_iflag_f32_e32 v1, v1
	s_ashr_i32 s51, s11, 3
	s_waitcnt lgkmcnt(0)
	s_ashr_i32 s55, s44, 3
	s_ashr_i32 s1, s50, 31
	s_ashr_i32 s74, s72, 31
	v_and_b32_e32 v56, 0x3ff, v0
	v_lshlrev_b32_e32 v97, 2, v95
	v_and_b32_e32 v98, 3, v95
	v_lshrrev_b32_e32 v105, 3, v95
	v_and_b32_e32 v103, 7, v95
	s_waitcnt_depctr 0xfff
	v_dual_mul_f32 v1, 0x4f7ffffe, v1 :: v_dual_lshlrev_b32 v96, 4, v95
	v_add_nc_u32_e32 v104, 4, v95
	v_cvt_f16_f32_e32 v0, s2
	s_ashr_i32 s34, s48, 2
	s_delay_alu instid0(VALU_DEP_3)
	v_cvt_u32_f32_e32 v1, v1
	s_ashr_i32 s40, s53, 1
	s_ashr_i32 s10, s38, 2
	v_add_nc_u32_e32 v102, 8, v95
	v_add_nc_u32_e32 v100, 12, v95
	v_readfirstlane_b32 s75, v1
	v_pack_b32_f16 v101, v0, v0
	v_mbcnt_lo_u32_b32 v99, -1, 0
	s_mov_b32 s57, 0
	s_delay_alu instid0(VALU_DEP_3) | instskip(NEXT) | instid1(SALU_CYCLE_1)
	s_mul_i32 s0, s0, s75
	s_mul_hi_u32 s0, s75, s0
	s_delay_alu instid0(SALU_CYCLE_1) | instskip(NEXT) | instid1(SALU_CYCLE_1)
	s_add_i32 s75, s75, s0
	s_mul_hi_u32 s0, s3, s75
	s_delay_alu instid0(SALU_CYCLE_1) | instskip(NEXT) | instid1(SALU_CYCLE_1)
	s_mul_i32 s0, s0, s73
	s_sub_i32 s0, s3, s0
	s_delay_alu instid0(SALU_CYCLE_1)
	s_sub_i32 s3, s0, s73
	s_cmp_ge_u32 s0, s73
	s_cselect_b32 s3, s3, s0
	v_cmp_gt_u32_e64 s0, 2, v95
	s_sub_i32 s4, s3, s73
	s_cmp_ge_u32 s3, s73
	s_cselect_b32 s3, s4, s3
	s_sub_i32 s4, s54, s50
	s_xor_b32 s3, s3, s1
	s_delay_alu instid0(SALU_CYCLE_1) | instskip(NEXT) | instid1(SALU_CYCLE_1)
	s_sub_i32 s103, s3, s1
	s_add_i32 s1, s4, s103
	s_delay_alu instid0(SALU_CYCLE_1)
	s_min_i32 s91, s72, s1
	s_cmp_gt_i32 s54, s50
	s_cselect_b32 s4, -1, 0
	s_cmp_le_i32 s54, s50
	s_cselect_b32 s2, -1, 0
	s_cmp_gt_i32 s72, s1
	s_cselect_b32 s1, -1, 0
	s_delay_alu instid0(SALU_CYCLE_1) | instskip(NEXT) | instid1(SALU_CYCLE_1)
	s_or_b32 s1, s1, s2
	s_and_b32 vcc_lo, exec_lo, s1
	s_cbranch_vccnz .LBB0_237
; %bb.7:
	s_cmp_eq_u64 s[24:25], 0
	v_lshrrev_b32_e32 v0, 3, v56
	s_cselect_b32 s38, -1, 0
	s_cmp_lg_u64 s[26:27], 0
	v_lshlrev_b32_e32 v17, 2, v56
	s_cselect_b32 s53, -1, 0
	s_lshl_b32 s56, s15, 4
	s_ashr_i32 s41, s40, 31
	s_lshl_b64 s[4:5], s[56:57], 3
	s_ashr_i32 s35, s34, 31
	s_lshl_b32 s1, s34, 4
	s_ashr_i32 s11, s10, 31
	s_lshl_b32 s2, s10, 4
	s_add_u32 s4, s30, s4
	s_addc_u32 s5, s31, s5
	s_abs_i32 s78, s70
	v_and_b32_e32 v110, 28, v17
	v_cvt_f32_u32_e32 v36, s78
	v_and_b32_e32 v1, 0x1f0, v97
	v_and_b32_e32 v16, 15, v56
	;; [unrolled: 1-line block ×3, first 2 shown]
	v_lshlrev_b32_e32 v5, 2, v110
	v_rcp_iflag_f32_e32 v36, v36
	v_add_nc_u32_e32 v3, v0, v97
	v_lshrrev_b32_e32 v112, 4, v56
	v_mad_u32_u24 v18, 0x90, v13, 0
	v_lshlrev_b32_e32 v20, 2, v16
	v_lshlrev_b32_e32 v22, 1, v13
	v_mul_u32_u24_e32 v107, 0x90, v16
	v_lshlrev_b32_e32 v19, 1, v112
	v_mad_i32_i24 v11, 0xffffff72, v13, v18
	v_mad_u32_u24 v113, 0x90, v16, v18
	v_mul_f32_e32 v36, 0x4f7ffffe, v36
	v_mul_u32_u24_e32 v4, 0x90, v3
	v_add3_u32 v116, v18, v20, 64
	v_add_nc_u32_e32 v18, v96, v56
	v_mad_i32_i24 v115, 0xffffff74, v16, v113
	v_or_b32_e32 v16, v96, v16
	v_add3_u32 v111, 0, v4, v5
	v_and_or_b32 v5, v56, 8, v1
	v_mul_u32_u24_e32 v118, 0x90, v18
	v_or_b32_e32 v18, v97, v56
	v_mad_u32_u24 v16, v16, 36, v112
	v_mul_u32_u24_e32 v20, 36, v95
	v_lshrrev_b32_e32 v15, 3, v5
	s_abs_i32 s76, s71
	v_lshlrev_b32_e32 v18, 3, v18
	v_lshl_add_u32 v119, v16, 2, 0
	v_add_lshl_u32 v16, v20, v56, 2
	v_mul_u32_u24_e32 v5, 0x90, v15
	v_mad_u32_u24 v21, 0x90, v15, 0
	v_add_co_u32 v57, s4, s4, v18
	s_delay_alu instid0(VALU_DEP_4) | instskip(NEXT) | instid1(VALU_DEP_4)
	v_add3_u32 v120, v16, 0, 0x240
	v_add3_u32 v114, v11, v5, v19
	s_delay_alu instid0(VALU_DEP_4)
	v_add3_u32 v117, v21, v22, v19
	v_lshrrev_b32_e32 v19, 2, v95
	v_bfe_u32 v21, v95, 2, 4
	s_abs_i32 s77, s52
	v_mul_lo_u32 v4, s10, v3
	s_abs_i32 s79, s69
	v_add_nc_u32_e32 v22, 1, v19
	v_and_or_b32 v18, v95, 64, v21
	v_add_nc_u32_e32 v23, 2, v19
	v_add_nc_u32_e32 v24, 3, v19
	;; [unrolled: 1-line block ×3, first 2 shown]
	v_lshlrev_b32_e32 v20, 2, v22
	v_and_b32_e32 v21, 15, v22
	v_mul_u32_u24_e32 v121, 0x90, v18
	v_mad_u32_u24 v16, v18, 36, v56
	v_add_nc_u32_e32 v26, 5, v19
	v_add_nc_u32_e32 v35, 14, v19
	v_and_or_b32 v18, 0xc0, v20, v21
	v_lshlrev_b32_e32 v20, 2, v23
	v_and_b32_e32 v21, 15, v23
	v_lshl_add_u32 v122, v16, 2, 0
	v_and_b32_e32 v37, 15, v35
	v_mul_u32_u24_e32 v123, 0x90, v18
	v_mad_u32_u24 v16, v18, 36, v56
	v_and_or_b32 v18, 0xc0, v20, v21
	v_lshlrev_b32_e32 v20, 2, v24
	v_and_b32_e32 v21, 15, v24
	v_cvt_f32_u32_e32 v38, s79
	v_lshl_add_u32 v124, v16, 2, 0
	v_mul_u32_u24_e32 v125, 0x90, v18
	v_mad_u32_u24 v16, v18, 36, v56
	v_and_or_b32 v18, 0xc0, v20, v21
	v_lshlrev_b32_e32 v20, 2, v25
	v_and_b32_e32 v21, 15, v25
	v_add_nc_u32_e32 v10, s2, v4
	v_lshl_add_u32 v126, v16, 2, 0
	v_mad_u32_u24 v16, v18, 36, v56
	v_mul_u32_u24_e32 v127, 0x90, v18
	v_and_or_b32 v18, 0xc0, v20, v21
	v_lshlrev_b32_e32 v20, 2, v26
	v_and_b32_e32 v21, 15, v26
	v_lshl_add_u32 v128, v16, 2, 0
	v_add_nc_u32_e32 v16, 6, v19
	v_mul_u32_u24_e32 v129, 0x90, v18
	v_mad_u32_u24 v18, v18, 36, v56
	v_and_or_b32 v20, 0xc0, v20, v21
	v_add_nc_u32_e32 v21, 7, v19
	v_lshlrev_b32_e32 v27, 2, v16
	v_and_b32_e32 v28, 15, v16
	v_lshl_add_u32 v130, v18, 2, 0
	v_mad_u32_u24 v18, v20, 36, v56
	v_lshlrev_b32_e32 v29, 2, v21
	v_and_b32_e32 v30, 15, v21
	v_and_or_b32 v27, 0xc0, v27, v28
	v_add_nc_u32_e32 v28, 8, v19
	v_mul_u32_u24_e32 v131, 0x90, v20
	v_lshl_add_u32 v132, v18, 2, 0
	v_and_or_b32 v18, 0xc0, v29, v30
	v_mad_u32_u24 v20, v27, 36, v56
	v_lshlrev_b32_e32 v29, 2, v28
	v_and_b32_e32 v30, 15, v28
	v_mul_u32_u24_e32 v133, 0x90, v27
	v_mad_u32_u24 v27, v18, 36, v56
	v_lshl_add_u32 v134, v20, 2, 0
	v_add_nc_u32_e32 v20, 9, v19
	v_mul_u32_u24_e32 v135, 0x90, v18
	v_and_or_b32 v18, 0xc0, v29, v30
	v_lshl_add_u32 v136, v27, 2, 0
	v_lshrrev_b32_e32 v137, 3, v28
	v_add_nc_u32_e32 v27, 10, v19
	v_lshlrev_b32_e32 v28, 2, v20
	v_and_b32_e32 v29, 15, v20
	v_mul_u32_u24_e32 v138, 0x90, v18
	v_add_nc_u32_e32 v30, 11, v19
	v_lshlrev_b32_e32 v31, 2, v27
	v_and_b32_e32 v32, 15, v27
	v_mad_u32_u24 v18, v18, 36, v56
	v_and_or_b32 v28, 0xc0, v28, v29
	v_lshlrev_b32_e32 v29, 2, v30
	v_and_b32_e32 v33, 15, v30
	v_and_or_b32 v31, 0xc0, v31, v32
	v_lshl_add_u32 v139, v18, 2, 0
	v_mad_u32_u24 v18, v28, 36, v56
	v_mul_u32_u24_e32 v28, 0x90, v28
	v_add_nc_u32_e32 v32, 12, v19
	v_mul_lo_u32 v0, s34, v3
	v_add_co_ci_u32_e64 v58, null, s5, 0, s4
	v_lshl_add_u32 v141, v18, 2, 0
	v_mul_u32_u24_e32 v18, 0x90, v31
	scratch_store_b32 off, v28, off         ; 4-byte Folded Spill
	v_and_or_b32 v28, 0xc0, v29, v33
	v_mad_u32_u24 v29, v31, 36, v56
	v_and_b32_e32 v31, 15, v32
	v_cvt_f32_u32_e32 v33, s77
	s_sub_i32 s4, 0, s77
	v_add_nc_u32_e32 v12, s2, v10
	v_lshl_add_u32 v29, v29, 2, 0
	scratch_store_b32 off, v18, off offset:4 ; 4-byte Folded Spill
	v_mad_u32_u24 v18, v28, 36, v56
	v_mul_u32_u24_e32 v28, 0x90, v28
	v_rcp_iflag_f32_e32 v33, v33
	scratch_store_b32 off, v29, off offset:8 ; 4-byte Folded Spill
	v_lshlrev_b32_e32 v29, 2, v32
	v_lshl_add_u32 v18, v18, 2, 0
	scratch_store_b32 off, v28, off offset:12 ; 4-byte Folded Spill
	v_ashrrev_i32_e32 v5, 31, v4
	v_mul_u32_u24_e32 v2, 0x90, v95
	v_and_or_b32 v28, 0xc0, v29, v31
	scratch_store_b32 off, v18, off offset:16 ; 4-byte Folded Spill
	v_cvt_f32_u32_e32 v29, s76
	v_add_nc_u32_e32 v18, 13, v19
	v_add_nc_u32_e32 v19, 15, v19
	v_mul_f32_e32 v33, 0x4f7ffffe, v33
	v_ashrrev_i32_e32 v11, 31, v10
	v_rcp_iflag_f32_e32 v29, v29
	v_lshlrev_b32_e32 v31, 2, v18
	v_and_b32_e32 v34, 15, v18
	v_lshlrev_b32_e32 v108, 1, v56
	v_and_b32_e32 v39, 15, v19
	v_cvt_u32_f32_e32 v33, v33
	v_mad_u32_u24 v106, 0x90, v1, 0
	v_and_or_b32 v31, 0xc0, v31, v34
	v_lshlrev_b32_e32 v34, 2, v35
	v_ashrrev_i32_e32 v1, 31, v0
	v_dual_mul_f32 v29, 0x4f7ffffe, v29 :: v_dual_add_nc_u32 v14, s2, v12
	v_lshlrev_b64 v[59:60], 2, v[4:5]
	s_delay_alu instid0(VALU_DEP_4)
	v_and_or_b32 v34, 0xc0, v34, v37
	v_rcp_iflag_f32_e32 v37, v38
	v_lshlrev_b32_e32 v38, 2, v19
	v_cvt_u32_f32_e32 v29, v29
	v_add3_u32 v109, 0, v2, v17
	v_add_nc_u32_e32 v2, s1, v0
	v_ashrrev_i32_e32 v13, 31, v12
	v_and_or_b32 v38, 0xc0, v38, v39
	v_mul_lo_u32 v39, s4, v33
	v_readfirstlane_b32 s4, v29
	v_mul_u32_u24_e32 v29, 0x90, v28
	v_mul_f32_e32 v37, 0x4f7ffffe, v37
	v_mad_u32_u24 v28, v28, 36, v56
	v_lshlrev_b64 v[61:62], 2, v[10:11]
	v_ashrrev_i32_e32 v15, 31, v14
	v_lshlrev_b64 v[67:68], 2, v[0:1]
	v_lshrrev_b32_e32 v0, 3, v18
	v_lshl_add_u32 v88, v28, 2, 0
	v_mul_u32_u24_e32 v28, 0x90, v31
	scratch_store_b32 off, v29, off offset:20 ; 4-byte Folded Spill
	v_add_nc_u32_e32 v6, s1, v2
	scratch_store_b32 off, v0, off offset:24 ; 4-byte Folded Spill
	v_lshlrev_b64 v[63:64], 2, v[12:13]
	scratch_store_b32 off, v28, off offset:36 ; 4-byte Folded Spill
	v_mad_u32_u24 v28, v34, 36, v56
	v_add_co_u32 v183, vcc_lo, s20, v59
	v_add_co_ci_u32_e32 v184, vcc_lo, s21, v60, vcc_lo
	v_cvt_u32_f32_e32 v29, v37
	s_delay_alu instid0(VALU_DEP_4)
	v_lshl_add_u32 v28, v28, 2, 0
	v_lshlrev_b64 v[65:66], 2, v[14:15]
	v_lshrrev_b32_e32 v0, 3, v35
	v_add_co_u32 v185, vcc_lo, s20, v61
	v_ashrrev_i32_e32 v3, 31, v2
	v_add_nc_u32_e32 v8, s1, v6
	v_cvt_u32_f32_e32 v36, v36
	v_add_co_ci_u32_e32 v186, vcc_lo, s21, v62, vcc_lo
	v_add_co_u32 v187, vcc_lo, s20, v63
	v_ashrrev_i32_e32 v7, 31, v6
	s_sub_i32 s7, 0, s76
	v_readfirstlane_b32 s6, v29
	v_mul_u32_u24_e32 v29, 0x90, v34
	s_clause 0x1
	scratch_store_b32 off, v28, off offset:56
	scratch_store_b32 off, v0, off offset:40
	v_and_b32_e32 v0, 7, v35
	v_add_co_ci_u32_e32 v188, vcc_lo, s21, v64, vcc_lo
	s_mul_i32 s7, s7, s4
	v_lshlrev_b64 v[69:70], 2, v[2:3]
	v_add_co_u32 v189, vcc_lo, s20, v65
	v_ashrrev_i32_e32 v9, 31, v8
	v_readfirstlane_b32 s5, v36
	s_mul_hi_u32 s7, s4, s7
	v_add_co_ci_u32_e32 v190, vcc_lo, s21, v66, vcc_lo
	v_lshlrev_b64 v[71:72], 2, v[6:7]
	v_add_co_u32 v191, vcc_lo, s18, v67
	s_clause 0x1
	scratch_store_b32 off, v29, off offset:52
	scratch_store_b64 off, v[0:1], off offset:28
	s_add_i32 s81, s4, s7
	s_sub_i32 s4, 0, s78
	v_lshrrev_b32_e32 v0, 3, v19
	v_and_b32_e32 v161, 7, v104
	v_add_co_ci_u32_e32 v192, vcc_lo, s19, v68, vcc_lo
	v_mul_hi_u32 v36, v33, v39
	s_mul_i32 s4, s4, s5
	s_sub_i32 s7, 0, s79
	v_lshlrev_b64 v[73:74], 2, v[8:9]
	v_and_b32_e32 v164, 7, v100
	v_add_co_u32 v193, vcc_lo, s18, v69
	s_mul_hi_u32 s4, s5, s4
	s_mul_i32 s7, s7, s6
	v_add_co_ci_u32_e32 v194, vcc_lo, s19, v70, vcc_lo
	v_mad_u32_u24 v37, v31, 36, v56
	v_mad_u32_u24 v29, v38, 36, v56
	v_mul_u32_u24_e32 v28, 0x90, v38
	v_and_b32_e32 v159, 7, v56
	scratch_store_b32 off, v0, off offset:60 ; 4-byte Folded Spill
	v_and_b32_e32 v0, 7, v19
	v_add_co_u32 v195, vcc_lo, s18, v71
	v_mad_u64_u32 v[89:90], null, v103, s55, v[56:57]
	s_add_i32 s83, s5, s4
	s_mul_hi_u32 s4, s6, s7
	v_mad_u64_u32 v[90:91], null, v161, s55, v[56:57]
	v_add_co_ci_u32_e32 v196, vcc_lo, s19, v72, vcc_lo
	v_mad_u64_u32 v[91:92], null, v164, s55, v[56:57]
	s_add_i32 s85, s6, s4
	v_add_co_u32 v180, s4, s22, v17
	v_add_co_u32 v197, vcc_lo, s18, v73
	v_cmp_eq_u32_e64 s1, 0, v98
	v_cmp_ne_u32_e64 s2, 0, v98
	v_cmp_gt_u32_e64 s3, 16, v56
	v_lshl_add_u32 v87, v37, 2, 0
	v_add_nc_u32_e32 v151, v33, v36
	s_clause 0x1
	scratch_store_b32 off, v28, off offset:64
	scratch_store_b64 off, v[0:1], off offset:44
	v_lshl_add_u32 v177, v29, 2, 0
	v_add_nc_u32_e32 v155, 0x900, v111
	v_add_nc_u32_e32 v156, 0x1200, v111
	;; [unrolled: 1-line block ×3, first 2 shown]
	v_xor_b32_e32 v158, 1, v112
	v_lshrrev_b32_e32 v160, 3, v104
	v_lshrrev_b32_e32 v162, 3, v102
	;; [unrolled: 1-line block ×5, first 2 shown]
	v_and_b32_e32 v75, 7, v22
	v_lshrrev_b32_e32 v167, 3, v23
	v_and_b32_e32 v76, 7, v23
	v_lshrrev_b32_e32 v168, 3, v24
	;; [unrolled: 2-line block ×10, first 2 shown]
	v_and_b32_e32 v85, 7, v32
	v_and_b32_e32 v86, 7, v18
	v_add_co_ci_u32_e64 v181, null, s23, 0, s4
	v_lshlrev_b32_e32 v182, 4, v159
	v_add_co_ci_u32_e32 v198, vcc_lo, s19, v74, vcc_lo
	v_bfe_u32 v92, v95, 2, 3
	v_mov_b32_e32 v0, 0
	s_mul_i32 s48, s8, s9
	s_ashr_i32 s80, s71, 31
	s_ashr_i32 s82, s70, 31
	;; [unrolled: 1-line block ×3, first 2 shown]
	s_lshl_b64 s[58:59], s[40:41], 1
	s_lshl_b64 s[60:61], s[10:11], 8
	;; [unrolled: 1-line block ×3, first 2 shown]
	s_branch .LBB0_10
.LBB0_8:                                ;   in Loop: Header=BB0_10 Depth=1
	s_or_b32 exec_lo, exec_lo, s6
	s_waitcnt_vscnt null, 0x0
	s_barrier
.LBB0_9:                                ;   in Loop: Header=BB0_10 Depth=1
	s_add_i32 s4, s50, s72
	s_mov_b32 s103, 0
	s_abs_i32 s5, s4
	s_waitcnt_vscnt null, 0x0
	buffer_gl0_inv
	s_mul_hi_u32 s6, s5, s75
	s_delay_alu instid0(SALU_CYCLE_1) | instskip(NEXT) | instid1(SALU_CYCLE_1)
	s_mul_i32 s6, s6, s73
	s_sub_i32 s5, s5, s6
	s_ashr_i32 s6, s4, 31
	s_sub_i32 s7, s5, s73
	s_cmp_ge_u32 s5, s73
	s_cselect_b32 s5, s7, s5
	s_delay_alu instid0(SALU_CYCLE_1) | instskip(SKIP_2) | instid1(SALU_CYCLE_1)
	s_sub_i32 s7, s5, s73
	s_cmp_ge_u32 s5, s73
	s_cselect_b32 s5, s7, s5
	s_xor_b32 s5, s5, s6
	s_delay_alu instid0(SALU_CYCLE_1) | instskip(NEXT) | instid1(SALU_CYCLE_1)
	s_sub_i32 s5, s6, s5
	s_add_i32 s50, s4, s5
	s_delay_alu instid0(SALU_CYCLE_1) | instskip(NEXT) | instid1(SALU_CYCLE_1)
	s_sub_i32 s5, s54, s50
	s_min_i32 s91, s72, s5
	s_cmp_gt_i32 s54, s50
	s_cselect_b32 s4, -1, 0
	s_cmp_le_i32 s72, s5
	s_cselect_b32 s5, -1, 0
	s_delay_alu instid0(SALU_CYCLE_1) | instskip(NEXT) | instid1(SALU_CYCLE_1)
	s_and_b32 s5, s5, s4
	s_and_b32 vcc_lo, exec_lo, s5
	s_cbranch_vccz .LBB0_237
.LBB0_10:                               ; =>This Loop Header: Depth=1
                                        ;     Child Loop BB0_146 Depth 2
                                        ;     Child Loop BB0_32 Depth 2
	s_abs_i32 s4, s50
	s_ashr_i32 s6, s50, 31
	s_mul_hi_u32 s5, s4, s81
	s_xor_b32 s6, s6, s80
	s_mul_i32 s7, s5, s76
	s_delay_alu instid0(SALU_CYCLE_1)
	s_sub_i32 s4, s4, s7
	s_add_i32 s7, s5, 1
	s_sub_i32 s41, s4, s76
	s_cmp_ge_u32 s4, s76
	s_cselect_b32 s5, s7, s5
	s_cselect_b32 s4, s41, s4
	s_add_i32 s7, s5, 1
	s_cmp_ge_u32 s4, s76
	s_cselect_b32 s4, s7, s5
	s_delay_alu instid0(SALU_CYCLE_1) | instskip(NEXT) | instid1(SALU_CYCLE_1)
	s_xor_b32 s4, s4, s6
	s_sub_i32 s4, s4, s6
	s_delay_alu instid0(SALU_CYCLE_1) | instskip(NEXT) | instid1(SALU_CYCLE_1)
	s_mul_i32 s5, s4, s71
	s_sub_i32 s6, s50, s5
	s_delay_alu instid0(SALU_CYCLE_1) | instskip(SKIP_4) | instid1(SALU_CYCLE_1)
	s_abs_i32 s5, s6
	s_ashr_i32 s41, s6, 31
	s_mul_hi_u32 s7, s5, s83
	s_xor_b32 s41, s41, s82
	s_mul_i32 s56, s7, s78
	s_sub_i32 s5, s5, s56
	s_add_i32 s56, s7, 1
	s_sub_i32 s59, s5, s78
	s_cmp_ge_u32 s5, s78
	s_cselect_b32 s7, s56, s7
	s_cselect_b32 s5, s59, s5
	s_add_i32 s56, s7, 1
	s_cmp_ge_u32 s5, s78
	s_cselect_b32 s5, s56, s7
	s_delay_alu instid0(SALU_CYCLE_1) | instskip(NEXT) | instid1(SALU_CYCLE_1)
	s_xor_b32 s5, s5, s41
	s_sub_i32 s5, s5, s41
	s_delay_alu instid0(SALU_CYCLE_1) | instskip(NEXT) | instid1(SALU_CYCLE_1)
	s_mul_i32 s7, s5, s70
	s_sub_i32 s7, s6, s7
	s_delay_alu instid0(SALU_CYCLE_1) | instskip(SKIP_4) | instid1(SALU_CYCLE_1)
	s_abs_i32 s6, s7
	s_ashr_i32 s56, s7, 31
	s_mul_hi_u32 s41, s6, s85
	s_xor_b32 s56, s56, s84
	s_mul_i32 s59, s41, s79
	;; [unrolled: 21-line block ×3, first 2 shown]
	s_sub_i32 s41, s41, s59
	s_add_i32 s59, s56, 1
	s_sub_i32 s64, s41, s73
	s_cmp_ge_u32 s41, s73
	s_cselect_b32 s56, s59, s56
	s_cselect_b32 s41, s64, s41
	s_add_i32 s59, s56, 1
	s_cmp_ge_u32 s41, s73
	s_cselect_b32 s41, s59, s56
	s_and_not1_b32 vcc_lo, exec_lo, s53
	s_xor_b32 s41, s41, s7
	s_delay_alu instid0(SALU_CYCLE_1)
	s_sub_i32 s101, s41, s7
	s_cbranch_vccnz .LBB0_12
; %bb.11:                               ;   in Loop: Header=BB0_10 Depth=1
	s_mul_i32 s7, s4, s68
	s_delay_alu instid0(SALU_CYCLE_1) | instskip(NEXT) | instid1(SALU_CYCLE_1)
	s_add_i32 s64, s101, s7
	s_ashr_i32 s65, s64, 31
	s_delay_alu instid0(SALU_CYCLE_1) | instskip(NEXT) | instid1(SALU_CYCLE_1)
	s_lshl_b64 s[64:65], s[64:65], 2
	s_add_u32 s64, s26, s64
	s_addc_u32 s65, s27, s65
	global_load_b32 v1, v0, s[64:65]
	s_waitcnt vmcnt(0)
	v_readfirstlane_b32 s7, v1
	s_delay_alu instid0(VALU_DEP_1) | instskip(NEXT) | instid1(SALU_CYCLE_1)
	s_ashr_i32 s41, s7, 31
	s_lshr_b32 s41, s41, 26
	s_delay_alu instid0(SALU_CYCLE_1) | instskip(NEXT) | instid1(SALU_CYCLE_1)
	s_add_i32 s7, s7, s41
	s_ashr_i32 s7, s7, 6
	s_delay_alu instid0(SALU_CYCLE_1)
	s_min_i32 s91, s91, s7
.LBB0_12:                               ;   in Loop: Header=BB0_10 Depth=1
	s_mul_i32 s7, s5, s33
	s_lshl_b32 s86, s6, 3
	s_mul_i32 s41, s4, s45
	s_add_i32 s6, s86, s7
	s_ashr_i32 s7, s41, 31
	s_mul_i32 s56, s6, s44
	s_add_u32 s41, s16, s41
	s_addc_u32 s7, s17, s7
	s_ashr_i32 s59, s56, 31
	s_add_u32 s99, s41, s56
	s_addc_u32 s100, s7, s59
	s_mul_i32 s7, s4, s37
	s_mul_hi_u32 s41, s4, s36
	s_ashr_i32 s66, s4, 31
	s_add_i32 s7, s41, s7
	s_mul_i32 s41, s66, s36
	s_mul_i32 s94, s4, s36
	s_add_i32 s92, s7, s41
	s_mul_i32 s95, s5, s49
	s_add_u32 s7, s18, s94
	s_addc_u32 s41, s19, s92
	s_ashr_i32 s93, s95, 31
	s_add_u32 s89, s7, s95
	s_addc_u32 s90, s41, s93
	s_abs_i32 s7, s4
	s_mul_i32 s67, s4, s43
	v_mul_hi_u32 v1, s7, v151
	s_mul_hi_u32 s87, s4, s42
	s_mul_i32 s96, s4, s42
	v_or_b32_e32 v201, s86, v103
	s_delay_alu instid0(VALU_DEP_2) | instskip(NEXT) | instid1(VALU_DEP_1)
	v_mul_lo_u32 v1, v1, s77
	v_sub_nc_u32_e32 v1, s7, v1
	s_mul_i32 s7, s48, s4
	s_mul_i32 s4, s66, s42
	s_add_i32 s7, s6, s7
	s_delay_alu instid0(VALU_DEP_1) | instskip(SKIP_2) | instid1(SALU_CYCLE_1)
	v_subrev_nc_u32_e32 v2, s77, v1
	v_cmp_le_u32_e32 vcc_lo, s77, v1
	s_lshl_b32 s56, s7, 5
	s_lshl_b64 s[64:65], s[56:57], 3
	s_mul_i32 s56, s5, s39
	v_cndmask_b32_e32 v1, v1, v2, vcc_lo
	s_add_u32 s41, s28, s64
	s_addc_u32 s59, s29, s65
	s_add_i32 s7, s87, s67
	s_delay_alu instid0(VALU_DEP_1)
	v_subrev_nc_u32_e32 v2, s77, v1
	v_cmp_le_u32_e32 vcc_lo, s77, v1
	s_add_i32 s97, s7, s4
	s_add_u32 s4, s20, s96
	s_addc_u32 s5, s21, s97
	s_ashr_i32 s98, s56, 31
	v_cndmask_b32_e32 v1, v1, v2, vcc_lo
	s_add_u32 s87, s4, s56
	s_addc_u32 s88, s5, s98
	s_ashr_i32 s7, s6, 31
	s_delay_alu instid0(VALU_DEP_1) | instskip(SKIP_1) | instid1(SALU_CYCLE_1)
	v_xor_b32_e32 v1, s66, v1
	s_lshl_b64 s[4:5], s[6:7], 2
	s_add_u32 s4, s24, s4
	s_addc_u32 s5, s25, s5
	s_delay_alu instid0(VALU_DEP_1)
	v_subrev_nc_u32_e32 v1, s66, v1
	s_and_b32 s6, s38, exec_lo
	s_cselect_b32 s65, 0, s5
	s_cselect_b32 s64, 0, s4
	s_cmp_lg_u32 s103, 0
	v_ashrrev_i32_e32 v2, 31, v1
	v_mul_lo_u32 v3, v1, s47
	v_mul_hi_u32 v4, v1, s46
	v_mul_lo_u32 v93, v1, s46
	s_delay_alu instid0(VALU_DEP_4) | instskip(NEXT) | instid1(VALU_DEP_3)
	v_mul_lo_u32 v2, v2, s46
	v_add_nc_u32_e32 v1, v4, v3
	s_delay_alu instid0(VALU_DEP_3) | instskip(NEXT) | instid1(VALU_DEP_2)
	v_add_co_u32 v199, vcc_lo, s22, v93
	v_add_nc_u32_e32 v94, v1, v2
	s_delay_alu instid0(VALU_DEP_1)
	v_add_co_ci_u32_e32 v200, vcc_lo, s23, v94, vcc_lo
	v_cmp_gt_i32_e32 vcc_lo, s33, v201
	s_cbranch_scc0 .LBB0_34
; %bb.13:                               ;   in Loop: Header=BB0_10 Depth=1
	s_lshl_b32 s102, s101, 1
	s_xor_b32 s5, vcc_lo, -1
	v_add_nc_u32_e32 v1, s102, v105
	s_delay_alu instid0(VALU_DEP_1) | instskip(NEXT) | instid1(VALU_DEP_1)
	v_cmp_le_i32_e64 s4, s8, v1
	s_or_b32 s4, s4, s5
	s_delay_alu instid0(SALU_CYCLE_1) | instskip(NEXT) | instid1(SALU_CYCLE_1)
	s_and_saveexec_b32 s6, s4
	s_xor_b32 s4, exec_lo, s6
	s_cbranch_execz .LBB0_15
; %bb.14:                               ;   in Loop: Header=BB0_10 Depth=1
	ds_store_b32 v109, v0
                                        ; implicit-def: $vgpr1
.LBB0_15:                               ;   in Loop: Header=BB0_10 Depth=1
	s_and_not1_saveexec_b32 s4, s4
	s_cbranch_execz .LBB0_17
; %bb.16:                               ;   in Loop: Header=BB0_10 Depth=1
	v_mad_u64_u32 v[2:3], null, v1, s51, v[89:90]
	s_delay_alu instid0(VALU_DEP_1) | instskip(NEXT) | instid1(VALU_DEP_1)
	v_ashrrev_i32_e32 v3, 31, v2
	v_lshlrev_b64 v[1:2], 3, v[2:3]
	s_delay_alu instid0(VALU_DEP_1) | instskip(NEXT) | instid1(VALU_DEP_2)
	v_add_co_u32 v1, vcc_lo, s99, v1
	v_add_co_ci_u32_e32 v2, vcc_lo, s100, v2, vcc_lo
	global_load_b64 v[1:2], v[1:2], off
	s_waitcnt vmcnt(0)
	v_cvt_f16_f32_e32 v1, v1
	v_cvt_f16_f32_e32 v2, v2
	s_delay_alu instid0(VALU_DEP_1) | instskip(NEXT) | instid1(VALU_DEP_1)
	v_pack_b32_f16 v1, v1, v2
	v_pk_mul_f16 v1, v101, v1
	ds_store_b32 v109, v1
.LBB0_17:                               ;   in Loop: Header=BB0_10 Depth=1
	s_or_b32 exec_lo, exec_lo, s4
	v_add_nc_u32_e32 v1, s102, v160
	v_or_b32_e32 v2, s86, v161
	s_delay_alu instid0(VALU_DEP_2) | instskip(NEXT) | instid1(VALU_DEP_2)
	v_cmp_le_i32_e32 vcc_lo, s8, v1
	v_cmp_le_i32_e64 s4, s33, v2
	s_delay_alu instid0(VALU_DEP_1) | instskip(NEXT) | instid1(SALU_CYCLE_1)
	s_or_b32 s4, vcc_lo, s4
	s_and_saveexec_b32 s6, s4
	s_delay_alu instid0(SALU_CYCLE_1)
	s_xor_b32 s4, exec_lo, s6
	s_cbranch_execz .LBB0_19
; %bb.18:                               ;   in Loop: Header=BB0_10 Depth=1
	ds_store_b32 v120, v0
                                        ; implicit-def: $vgpr1
.LBB0_19:                               ;   in Loop: Header=BB0_10 Depth=1
	s_and_not1_saveexec_b32 s4, s4
	s_cbranch_execz .LBB0_21
; %bb.20:                               ;   in Loop: Header=BB0_10 Depth=1
	v_mad_u64_u32 v[2:3], null, v1, s51, v[90:91]
	s_delay_alu instid0(VALU_DEP_1) | instskip(NEXT) | instid1(VALU_DEP_1)
	v_ashrrev_i32_e32 v3, 31, v2
	v_lshlrev_b64 v[1:2], 3, v[2:3]
	s_delay_alu instid0(VALU_DEP_1) | instskip(NEXT) | instid1(VALU_DEP_2)
	v_add_co_u32 v1, vcc_lo, s99, v1
	v_add_co_ci_u32_e32 v2, vcc_lo, s100, v2, vcc_lo
	global_load_b64 v[1:2], v[1:2], off
	s_waitcnt vmcnt(0)
	v_cvt_f16_f32_e32 v1, v1
	v_cvt_f16_f32_e32 v2, v2
	s_delay_alu instid0(VALU_DEP_1) | instskip(NEXT) | instid1(VALU_DEP_1)
	v_pack_b32_f16 v1, v1, v2
	v_pk_mul_f16 v1, v101, v1
	ds_store_b32 v120, v1
.LBB0_21:                               ;   in Loop: Header=BB0_10 Depth=1
	s_or_b32 exec_lo, exec_lo, s4
	v_add_nc_u32_e32 v1, s102, v162
	s_delay_alu instid0(VALU_DEP_1) | instskip(SKIP_1) | instid1(SALU_CYCLE_1)
	v_cmp_le_i32_e32 vcc_lo, s8, v1
	s_or_b32 s4, vcc_lo, s5
	s_and_saveexec_b32 s5, s4
	s_delay_alu instid0(SALU_CYCLE_1)
	s_xor_b32 s4, exec_lo, s5
	s_cbranch_execz .LBB0_23
; %bb.22:                               ;   in Loop: Header=BB0_10 Depth=1
	ds_store_b32 v120, v0 offset:576
                                        ; implicit-def: $vgpr1
.LBB0_23:                               ;   in Loop: Header=BB0_10 Depth=1
	s_and_not1_saveexec_b32 s4, s4
	s_cbranch_execz .LBB0_25
; %bb.24:                               ;   in Loop: Header=BB0_10 Depth=1
	v_mad_u64_u32 v[2:3], null, v1, s51, v[89:90]
	s_delay_alu instid0(VALU_DEP_1) | instskip(NEXT) | instid1(VALU_DEP_1)
	v_ashrrev_i32_e32 v3, 31, v2
	v_lshlrev_b64 v[1:2], 3, v[2:3]
	s_delay_alu instid0(VALU_DEP_1) | instskip(NEXT) | instid1(VALU_DEP_2)
	v_add_co_u32 v1, vcc_lo, s99, v1
	v_add_co_ci_u32_e32 v2, vcc_lo, s100, v2, vcc_lo
	global_load_b64 v[1:2], v[1:2], off
	s_waitcnt vmcnt(0)
	v_cvt_f16_f32_e32 v1, v1
	v_cvt_f16_f32_e32 v2, v2
	s_delay_alu instid0(VALU_DEP_1) | instskip(NEXT) | instid1(VALU_DEP_1)
	v_pack_b32_f16 v1, v1, v2
	v_pk_mul_f16 v1, v101, v1
	ds_store_b32 v120, v1 offset:576
.LBB0_25:                               ;   in Loop: Header=BB0_10 Depth=1
	s_or_b32 exec_lo, exec_lo, s4
	v_add_nc_u32_e32 v1, s102, v163
	v_or_b32_e32 v2, s86, v164
	s_delay_alu instid0(VALU_DEP_2) | instskip(NEXT) | instid1(VALU_DEP_2)
	v_cmp_le_i32_e32 vcc_lo, s8, v1
	v_cmp_le_i32_e64 s4, s33, v2
	s_delay_alu instid0(VALU_DEP_1) | instskip(NEXT) | instid1(SALU_CYCLE_1)
	s_or_b32 s4, vcc_lo, s4
	s_and_saveexec_b32 s5, s4
	s_delay_alu instid0(SALU_CYCLE_1)
	s_xor_b32 s4, exec_lo, s5
	s_cbranch_execz .LBB0_27
; %bb.26:                               ;   in Loop: Header=BB0_10 Depth=1
	ds_store_b32 v120, v0 offset:1152
                                        ; implicit-def: $vgpr1
.LBB0_27:                               ;   in Loop: Header=BB0_10 Depth=1
	s_and_not1_saveexec_b32 s4, s4
	s_cbranch_execz .LBB0_29
; %bb.28:                               ;   in Loop: Header=BB0_10 Depth=1
	v_mad_u64_u32 v[2:3], null, v1, s51, v[91:92]
	s_delay_alu instid0(VALU_DEP_1) | instskip(NEXT) | instid1(VALU_DEP_1)
	v_ashrrev_i32_e32 v3, 31, v2
	v_lshlrev_b64 v[1:2], 3, v[2:3]
	s_delay_alu instid0(VALU_DEP_1) | instskip(NEXT) | instid1(VALU_DEP_2)
	v_add_co_u32 v1, vcc_lo, s99, v1
	v_add_co_ci_u32_e32 v2, vcc_lo, s100, v2, vcc_lo
	global_load_b64 v[1:2], v[1:2], off
	s_waitcnt vmcnt(0)
	v_cvt_f16_f32_e32 v1, v1
	v_cvt_f16_f32_e32 v2, v2
	s_delay_alu instid0(VALU_DEP_1) | instskip(NEXT) | instid1(VALU_DEP_1)
	v_pack_b32_f16 v1, v1, v2
	v_pk_mul_f16 v1, v101, v1
	ds_store_b32 v120, v1 offset:1152
.LBB0_29:                               ;   in Loop: Header=BB0_10 Depth=1
	s_or_b32 exec_lo, exec_lo, s4
	v_add_nc_u32_e32 v1, v106, v107
	s_waitcnt lgkmcnt(0)
	s_waitcnt_vscnt null, 0x0
	s_barrier
	buffer_gl0_inv
	v_mov_b32_e32 v15, 0
	ds_load_b128 v[32:35], v1
	ds_load_b128 v[36:39], v1 offset:16
	ds_load_b128 v[24:27], v1 offset:32
	;; [unrolled: 1-line block ×7, first 2 shown]
	s_add_i32 s104, s91, -1
	s_waitcnt lgkmcnt(0)
	s_cmp_le_i32 s104, s103
	s_barrier
	buffer_gl0_inv
	s_cbranch_scc1 .LBB0_35
; %bb.30:                               ;   in Loop: Header=BB0_10 Depth=1
	v_dual_mov_b32 v16, 0 :: v_dual_add_nc_u32 v1, s102, v95
	v_xor_b32_e32 v3, 16, v99
	v_mov_b32_e32 v202, 0xfeffffff
	s_lshl_b32 s66, s103, 6
	s_delay_alu instid0(VALU_DEP_3)
	v_mul_hi_u32 v2, s12, v1
	v_mov_b32_e32 v17, v16
	v_cmp_gt_i32_e32 vcc_lo, 32, v3
	v_lshlrev_b32_e32 v4, 1, v108
	v_mov_b32_e32 v18, v16
	v_mov_b32_e32 v20, v16
	;; [unrolled: 1-line block ×3, first 2 shown]
	v_dual_cndmask_b32 v3, v99, v3 :: v_dual_add_nc_u32 v2, v1, v2
	v_mov_b32_e32 v203, 0
	v_mov_b32_e32 v19, v16
	;; [unrolled: 1-line block ×3, first 2 shown]
	s_delay_alu instid0(VALU_DEP_4)
	v_lshlrev_b32_e32 v204, 2, v3
	v_lshrrev_b32_e32 v2, s13, v2
	v_mov_b32_e32 v23, v16
	v_mov_b32_e32 v8, v16
	;; [unrolled: 1-line block ×4, first 2 shown]
	v_mul_lo_u32 v2, v2, s8
	v_mov_b32_e32 v11, v16
	v_mov_b32_e32 v12, v16
	;; [unrolled: 1-line block ×5, first 2 shown]
	v_sub_nc_u32_e32 v5, v1, v2
	s_delay_alu instid0(VALU_DEP_1) | instskip(NEXT) | instid1(VALU_DEP_1)
	v_mad_i64_i32 v[1:2], null, v5, s40, 0
	v_lshlrev_b64 v[1:2], 1, v[1:2]
	s_delay_alu instid0(VALU_DEP_1) | instskip(NEXT) | instid1(VALU_DEP_2)
	v_add_co_u32 v1, vcc_lo, v199, v1
	v_add_co_ci_u32_e32 v2, vcc_lo, v200, v2, vcc_lo
	s_delay_alu instid0(VALU_DEP_2) | instskip(NEXT) | instid1(VALU_DEP_2)
	v_add_co_u32 v205, vcc_lo, v1, v4
	v_add_co_ci_u32_e32 v206, vcc_lo, 0, v2, vcc_lo
	s_ashr_i32 s67, s66, 31
	s_and_saveexec_b32 s4, s0
	s_cbranch_execz .LBB0_32
.LBB0_31:                               ;   in Loop: Header=BB0_10 Depth=1
	s_lshl_b64 s[6:7], s[66:67], 1
	s_delay_alu instid0(SALU_CYCLE_1)
	v_add_co_u32 v1, vcc_lo, v205, s6
	v_add_co_ci_u32_e32 v2, vcc_lo, s7, v206, vcc_lo
	global_load_b32 v1, v[1:2], off
	s_waitcnt vmcnt(0)
	ds_store_b32 v109, v1 offset:9216
.LBB0_32:                               ;   Parent Loop BB0_10 Depth=1
                                        ; =>  This Inner Loop Header: Depth=2
	s_or_b32 exec_lo, exec_lo, s4
	s_mul_hi_i32 s5, s66, s34
	s_mul_i32 s4, s66, s34
	v_lshlrev_b32_e32 v207, 2, v110
	s_lshl_b64 s[4:5], s[4:5], 2
	v_mov_b32_e32 v7, v0
	s_add_u32 s4, s89, s4
	s_addc_u32 s5, s90, s5
	v_add_co_u32 v1, vcc_lo, s4, v67
	v_add_co_ci_u32_e32 v2, vcc_lo, s5, v68, vcc_lo
	s_delay_alu instid0(VALU_DEP_2) | instskip(NEXT) | instid1(VALU_DEP_2)
	v_add_co_u32 v1, vcc_lo, v1, v207
	v_add_co_ci_u32_e32 v2, vcc_lo, 0, v2, vcc_lo
	v_add_co_u32 v3, vcc_lo, s4, v69
	v_add_co_ci_u32_e32 v4, vcc_lo, s5, v70, vcc_lo
	s_delay_alu instid0(VALU_DEP_2) | instskip(NEXT) | instid1(VALU_DEP_2)
	v_add_co_u32 v5, vcc_lo, v3, v207
	v_add_co_ci_u32_e32 v6, vcc_lo, 0, v4, vcc_lo
	s_clause 0x1
	global_load_b128 v[1:4], v[1:2], off
	global_load_b128 v[208:211], v[5:6], off
	s_waitcnt vmcnt(1)
	ds_store_b128 v111, v[1:4]
	s_waitcnt vmcnt(0)
	ds_store_b128 v155, v[208:211]
	v_add_co_u32 v1, vcc_lo, s4, v71
	v_add_co_ci_u32_e32 v2, vcc_lo, s5, v72, vcc_lo
	s_delay_alu instid0(VALU_DEP_2) | instskip(NEXT) | instid1(VALU_DEP_2)
	v_add_co_u32 v1, vcc_lo, v1, v207
	v_add_co_ci_u32_e32 v2, vcc_lo, 0, v2, vcc_lo
	v_add_co_u32 v3, vcc_lo, s4, v73
	v_add_co_ci_u32_e32 v4, vcc_lo, s5, v74, vcc_lo
	s_mul_hi_i32 s5, s66, s10
	s_delay_alu instid0(VALU_DEP_2) | instskip(NEXT) | instid1(VALU_DEP_2)
	v_add_co_u32 v5, vcc_lo, v3, v207
	v_add_co_ci_u32_e32 v6, vcc_lo, 0, v4, vcc_lo
	s_clause 0x1
	global_load_b128 v[1:4], v[1:2], off
	global_load_b128 v[208:211], v[5:6], off
	v_mov_b32_e32 v5, v0
	v_mov_b32_e32 v6, v0
	s_mul_i32 s4, s66, s10
	s_waitcnt vmcnt(1)
	ds_store_b128 v156, v[1:4]
	s_waitcnt vmcnt(0)
	ds_store_b128 v157, v[208:211]
	s_waitcnt lgkmcnt(0)
	s_barrier
	buffer_gl0_inv
	ds_load_b128 v[208:211], v113
	ds_load_b128 v[212:215], v113 offset:16
	v_mov_b32_e32 v1, v0
	v_mov_b32_e32 v2, v0
	;; [unrolled: 1-line block ×4, first 2 shown]
	v_dual_mov_b32 v223, v7 :: v_dual_mov_b32 v222, v6
	v_mov_b32_e32 v221, v5
	s_delay_alu instid0(VALU_DEP_4) | instskip(NEXT) | instid1(VALU_DEP_4)
	v_dual_mov_b32 v219, v3 :: v_dual_mov_b32 v218, v2
	v_dual_mov_b32 v220, v4 :: v_dual_mov_b32 v217, v1
	v_mov_b32_e32 v216, v0
	s_lshl_b64 s[6:7], s[4:5], 2
	s_delay_alu instid0(SALU_CYCLE_1)
	s_add_u32 s5, s87, s6
	s_addc_u32 s4, s88, s7
	v_cmp_eq_u32_e64 s6, 1, v112
	s_add_i32 s103, s103, 1
	s_add_i32 s66, s66, 64
	s_waitcnt lgkmcnt(0)
	v_wmma_f32_16x16x16_f16 v[216:223], v[208:215], v[32:39], v[216:223]
	ds_load_b128 v[208:211], v113 offset:32
	ds_load_b128 v[212:215], v113 offset:48
	s_cmp_lt_i32 s103, s104
	s_waitcnt lgkmcnt(0)
	v_wmma_f32_16x16x16_f16 v[216:223], v[208:215], v[24:31], v[216:223]
	ds_load_b128 v[208:211], v113 offset:64
	ds_load_b128 v[212:215], v113 offset:80
	s_waitcnt lgkmcnt(0)
	v_wmma_f32_16x16x16_f16 v[216:223], v[208:215], v[40:47], v[216:223]
	ds_load_b128 v[208:211], v113 offset:96
	ds_load_b128 v[212:215], v113 offset:112
	s_waitcnt lgkmcnt(0)
	s_barrier
	buffer_gl0_inv
	ds_load_u16 v1, v114 offset:9216
	ds_load_u16 v2, v114 offset:9220
	;; [unrolled: 1-line block ×8, first 2 shown]
	s_waitcnt lgkmcnt(7)
	v_cvt_f32_f16_e32 v1, v1
	s_waitcnt lgkmcnt(6)
	v_cvt_f32_f16_e32 v2, v2
	;; [unrolled: 2-line block ×3, first 2 shown]
	v_wmma_f32_16x16x16_f16 v[216:223], v[208:215], v[48:55], v[216:223]
	s_waitcnt lgkmcnt(4)
	v_cvt_f32_f16_e32 v4, v4
	s_waitcnt lgkmcnt(3)
	v_cvt_f32_f16_e32 v5, v5
	;; [unrolled: 2-line block ×4, first 2 shown]
	v_add_f32_e32 v143, v217, v2
	v_add_co_u32 v2, vcc_lo, s5, v59
	v_add_f32_e32 v144, v218, v3
	v_add_co_ci_u32_e32 v3, vcc_lo, s4, v60, vcc_lo
	s_delay_alu instid0(VALU_DEP_3) | instskip(SKIP_1) | instid1(VALU_DEP_3)
	v_add_co_u32 v2, vcc_lo, v2, v207
	v_add_f32_e32 v145, v219, v4
	v_add_co_ci_u32_e32 v3, vcc_lo, 0, v3, vcc_lo
	v_add_co_u32 v4, vcc_lo, s5, v61
	s_waitcnt lgkmcnt(0)
	v_cvt_f32_f16_e64 v140, v140
	v_add_f32_e32 v146, v220, v5
	v_add_co_ci_u32_e32 v5, vcc_lo, s4, v62, vcc_lo
	v_dual_add_f32 v142, v216, v1 :: v_dual_add_f32 v147, v221, v6
	v_add_co_u32 v6, vcc_lo, v4, v207
	v_add_f32_e32 v148, v222, v7
	s_delay_alu instid0(VALU_DEP_4)
	v_add_co_ci_u32_e32 v7, vcc_lo, 0, v5, vcc_lo
	s_clause 0x1
	global_load_b128 v[2:5], v[2:3], off
	global_load_b128 v[208:211], v[6:7], off
	v_add_f32_e32 v1, v223, v140
	v_add_nc_u32_e32 v223, 0x800, v115
	s_waitcnt vmcnt(1)
	ds_store_b128 v111, v[2:5]
	s_waitcnt vmcnt(0)
	ds_store_b128 v155, v[208:211]
	v_add_co_u32 v2, vcc_lo, s5, v63
	v_add_co_ci_u32_e32 v3, vcc_lo, s4, v64, vcc_lo
	s_delay_alu instid0(VALU_DEP_2) | instskip(NEXT) | instid1(VALU_DEP_2)
	v_add_co_u32 v2, vcc_lo, v2, v207
	v_add_co_ci_u32_e32 v3, vcc_lo, 0, v3, vcc_lo
	v_add_co_u32 v4, vcc_lo, s5, v65
	v_add_co_ci_u32_e32 v5, vcc_lo, s4, v66, vcc_lo
	v_cmp_eq_u32_e64 s5, 0, v112
	s_delay_alu instid0(VALU_DEP_3) | instskip(NEXT) | instid1(VALU_DEP_3)
	v_add_co_u32 v6, vcc_lo, v4, v207
	v_add_co_ci_u32_e32 v7, vcc_lo, 0, v5, vcc_lo
	s_clause 0x1
	global_load_b128 v[2:5], v[2:3], off
	global_load_b128 v[207:210], v[6:7], off
	s_waitcnt vmcnt(1)
	ds_store_b128 v156, v[2:5]
	s_waitcnt vmcnt(0)
	ds_store_b128 v157, v[207:210]
	v_dual_add_f32 v2, 0x40051340, v142 :: v_dual_add_f32 v3, 0x40051340, v143
	v_add_f32_e32 v4, 0x40051340, v145
	s_waitcnt lgkmcnt(0)
	s_barrier
	buffer_gl0_inv
	v_max3_f32 v2, v202, v2, v3
	v_add_f32_e32 v3, 0x40051340, v144
	s_delay_alu instid0(VALU_DEP_1) | instskip(SKIP_1) | instid1(VALU_DEP_1)
	v_max3_f32 v2, v2, v3, v4
	v_dual_add_f32 v4, 0x40051340, v147 :: v_dual_add_f32 v3, 0x40051340, v146
	v_max3_f32 v2, v2, v3, v4
	v_dual_add_f32 v3, 0x40051340, v148 :: v_dual_add_f32 v4, 0x40051340, v1
	s_delay_alu instid0(VALU_DEP_1) | instskip(SKIP_3) | instid1(VALU_DEP_1)
	v_max3_f32 v2, v2, v3, v4
	ds_bpermute_b32 v3, v204, v2
	s_waitcnt lgkmcnt(0)
	v_max_f32_e32 v3, v3, v3
	v_max_f32_e32 v207, v2, v3
	s_delay_alu instid0(VALU_DEP_1) | instskip(NEXT) | instid1(VALU_DEP_1)
	v_sub_f32_e32 v2, v143, v207
	v_mul_f32_e32 v3, 0x3fb8aa3b, v2
	v_cmp_ngt_f32_e32 vcc_lo, 0xc2ce8ed0, v2
	s_delay_alu instid0(VALU_DEP_2) | instskip(SKIP_1) | instid1(VALU_DEP_1)
	v_fma_f32 v4, 0x3fb8aa3b, v2, -v3
	v_rndne_f32_e32 v5, v3
	v_dual_fmac_f32 v4, 0x32a5705f, v2 :: v_dual_sub_f32 v3, v3, v5
	v_cvt_i32_f32_e32 v5, v5
	s_delay_alu instid0(VALU_DEP_2) | instskip(NEXT) | instid1(VALU_DEP_1)
	v_dual_add_f32 v3, v3, v4 :: v_dual_sub_f32 v4, v142, v207
	v_exp_f32_e32 v3, v3
	s_delay_alu instid0(VALU_DEP_1) | instskip(SKIP_2) | instid1(VALU_DEP_3)
	v_mul_f32_e32 v6, 0x3fb8aa3b, v4
	v_cmp_ngt_f32_e64 s4, 0xc2ce8ed0, v4
	v_sub_f32_e32 v1, v1, v207
	v_fma_f32 v7, 0x3fb8aa3b, v4, -v6
	v_rndne_f32_e32 v140, v6
	s_waitcnt_depctr 0xfff
	v_ldexp_f32 v3, v3, v5
	v_fmac_f32_e32 v7, 0x32a5705f, v4
	s_delay_alu instid0(VALU_DEP_2) | instskip(SKIP_1) | instid1(VALU_DEP_2)
	v_dual_sub_f32 v6, v6, v140 :: v_dual_cndmask_b32 v3, 0, v3
	v_cmp_nlt_f32_e32 vcc_lo, 0x42b17218, v2
	v_add_f32_e32 v6, v6, v7
	s_delay_alu instid0(VALU_DEP_1)
	v_exp_f32_e32 v5, v6
	v_cvt_i32_f32_e32 v6, v140
	v_cndmask_b32_e32 v140, 0x7f800000, v3, vcc_lo
	v_cmp_eq_u32_e32 vcc_lo, 0, v158
	s_waitcnt_depctr 0xfff
	v_ldexp_f32 v5, v5, v6
	s_delay_alu instid0(VALU_DEP_1)
	v_cndmask_b32_e64 v2, 0, v5, s4
	v_cmp_nlt_f32_e64 s4, 0x42b17218, v4
	ds_bpermute_b32 v4, v204, v140
	v_cndmask_b32_e64 v7, 0x7f800000, v2, s4
	v_cmp_eq_u32_e64 s4, 1, v158
	ds_bpermute_b32 v2, v204, v7
	s_waitcnt lgkmcnt(0)
	v_cndmask_b32_e64 v3, v7, v2, s4
	v_cndmask_b32_e32 v2, v7, v2, vcc_lo
	s_delay_alu instid0(VALU_DEP_2) | instskip(NEXT) | instid1(VALU_DEP_2)
	v_cndmask_b32_e64 v6, v3, v140, s6
	v_cndmask_b32_e64 v5, v2, v140, s5
	v_cvt_f16_f32_e32 v2, v2
	v_cvt_f16_f32_e32 v3, v3
	s_delay_alu instid0(VALU_DEP_3) | instskip(SKIP_1) | instid1(VALU_DEP_3)
	v_cndmask_b32_e32 v5, v5, v4, vcc_lo
	v_cndmask_b32_e64 v4, v6, v4, s4
	v_pack_b32_f16 v208, v2, v3
	v_sub_f32_e32 v2, v144, v207
	s_delay_alu instid0(VALU_DEP_4) | instskip(NEXT) | instid1(VALU_DEP_4)
	v_cvt_f16_f32_e32 v6, v5
	v_cvt_f16_f32_e64 v142, v4
	s_delay_alu instid0(VALU_DEP_3) | instskip(SKIP_1) | instid1(VALU_DEP_3)
	v_mul_f32_e32 v3, 0x3fb8aa3b, v2
	v_cmp_ngt_f32_e64 s7, 0xc2ce8ed0, v2
	v_pack_b32_f16 v209, v6, v142
	s_delay_alu instid0(VALU_DEP_3) | instskip(SKIP_1) | instid1(VALU_DEP_2)
	v_fma_f32 v6, 0x3fb8aa3b, v2, -v3
	v_rndne_f32_e32 v142, v3
	v_fmac_f32_e32 v6, 0x32a5705f, v2
	s_delay_alu instid0(VALU_DEP_2) | instskip(NEXT) | instid1(VALU_DEP_1)
	v_sub_f32_e32 v3, v3, v142
	v_add_f32_e32 v3, v3, v6
	v_cvt_i32_f32_e32 v6, v142
	s_delay_alu instid0(VALU_DEP_2) | instskip(SKIP_2) | instid1(VALU_DEP_1)
	v_exp_f32_e32 v3, v3
	s_waitcnt_depctr 0xfff
	v_ldexp_f32 v3, v3, v6
	v_cndmask_b32_e64 v3, 0, v3, s7
	v_cmp_nlt_f32_e64 s7, 0x42b17218, v2
	s_delay_alu instid0(VALU_DEP_1) | instskip(NEXT) | instid1(VALU_DEP_1)
	v_cndmask_b32_e64 v142, 0x7f800000, v3, s7
	v_cndmask_b32_e64 v2, v4, v142, s6
	ds_bpermute_b32 v4, v204, v142
	v_cndmask_b32_e64 v3, v5, v142, s5
	s_waitcnt lgkmcnt(0)
	s_delay_alu instid0(VALU_DEP_1) | instskip(SKIP_1) | instid1(VALU_DEP_2)
	v_cndmask_b32_e32 v3, v3, v4, vcc_lo
	v_cndmask_b32_e64 v2, v2, v4, s4
	v_cvt_f16_f32_e32 v4, v3
	s_delay_alu instid0(VALU_DEP_2) | instskip(NEXT) | instid1(VALU_DEP_1)
	v_cvt_f16_f32_e32 v5, v2
	v_pack_b32_f16 v210, v4, v5
	v_sub_f32_e32 v4, v145, v207
	s_delay_alu instid0(VALU_DEP_1) | instskip(SKIP_1) | instid1(VALU_DEP_2)
	v_mul_f32_e32 v5, 0x3fb8aa3b, v4
	v_cmp_ngt_f32_e64 s7, 0xc2ce8ed0, v4
	v_fma_f32 v6, 0x3fb8aa3b, v4, -v5
	v_rndne_f32_e32 v143, v5
	s_delay_alu instid0(VALU_DEP_1) | instskip(NEXT) | instid1(VALU_DEP_1)
	v_dual_fmac_f32 v6, 0x32a5705f, v4 :: v_dual_sub_f32 v5, v5, v143
	v_add_f32_e32 v5, v5, v6
	v_cvt_i32_f32_e32 v6, v143
	s_delay_alu instid0(VALU_DEP_2) | instskip(SKIP_2) | instid1(VALU_DEP_1)
	v_exp_f32_e32 v5, v5
	s_waitcnt_depctr 0xfff
	v_ldexp_f32 v5, v5, v6
	v_cndmask_b32_e64 v5, 0, v5, s7
	v_cmp_nlt_f32_e64 s7, 0x42b17218, v4
	s_delay_alu instid0(VALU_DEP_1) | instskip(SKIP_4) | instid1(VALU_DEP_1)
	v_cndmask_b32_e64 v143, 0x7f800000, v5, s7
	ds_bpermute_b32 v4, v204, v143
	v_cndmask_b32_e64 v2, v2, v143, s6
	v_cndmask_b32_e64 v3, v3, v143, s5
	s_waitcnt lgkmcnt(0)
	v_cndmask_b32_e32 v3, v3, v4, vcc_lo
	s_delay_alu instid0(VALU_DEP_3) | instskip(NEXT) | instid1(VALU_DEP_2)
	v_cndmask_b32_e64 v2, v2, v4, s4
	v_cvt_f16_f32_e32 v4, v3
	s_delay_alu instid0(VALU_DEP_2) | instskip(NEXT) | instid1(VALU_DEP_1)
	v_cvt_f16_f32_e32 v5, v2
	v_pack_b32_f16 v211, v4, v5
	v_sub_f32_e32 v4, v146, v207
	s_delay_alu instid0(VALU_DEP_1) | instskip(SKIP_1) | instid1(VALU_DEP_2)
	v_mul_f32_e32 v5, 0x3fb8aa3b, v4
	v_cmp_ngt_f32_e64 s7, 0xc2ce8ed0, v4
	v_fma_f32 v6, 0x3fb8aa3b, v4, -v5
	v_rndne_f32_e32 v144, v5
	s_delay_alu instid0(VALU_DEP_2) | instskip(NEXT) | instid1(VALU_DEP_2)
	v_fmac_f32_e32 v6, 0x32a5705f, v4
	v_sub_f32_e32 v5, v5, v144
	s_delay_alu instid0(VALU_DEP_1) | instskip(SKIP_1) | instid1(VALU_DEP_2)
	v_add_f32_e32 v5, v5, v6
	v_cvt_i32_f32_e32 v6, v144
	v_exp_f32_e32 v5, v5
	s_waitcnt_depctr 0xfff
	v_ldexp_f32 v5, v5, v6
	s_delay_alu instid0(VALU_DEP_1) | instskip(SKIP_1) | instid1(VALU_DEP_1)
	v_cndmask_b32_e64 v5, 0, v5, s7
	v_cmp_nlt_f32_e64 s7, 0x42b17218, v4
	v_cndmask_b32_e64 v146, 0x7f800000, v5, s7
	ds_bpermute_b32 v4, v204, v146
	v_cndmask_b32_e64 v2, v2, v146, s6
	v_cndmask_b32_e64 v3, v3, v146, s5
	s_waitcnt lgkmcnt(0)
	s_delay_alu instid0(VALU_DEP_1) | instskip(NEXT) | instid1(VALU_DEP_3)
	v_cndmask_b32_e32 v3, v3, v4, vcc_lo
	v_cndmask_b32_e64 v2, v2, v4, s4
	s_delay_alu instid0(VALU_DEP_2) | instskip(NEXT) | instid1(VALU_DEP_2)
	v_cvt_f16_f32_e32 v4, v3
	v_cvt_f16_f32_e32 v5, v2
	s_delay_alu instid0(VALU_DEP_1) | instskip(SKIP_1) | instid1(VALU_DEP_1)
	v_pack_b32_f16 v212, v4, v5
	v_sub_f32_e32 v4, v147, v207
	v_mul_f32_e32 v5, 0x3fb8aa3b, v4
	v_cmp_ngt_f32_e64 s7, 0xc2ce8ed0, v4
	s_delay_alu instid0(VALU_DEP_2) | instskip(SKIP_1) | instid1(VALU_DEP_2)
	v_fma_f32 v6, 0x3fb8aa3b, v4, -v5
	v_rndne_f32_e32 v144, v5
	v_fmac_f32_e32 v6, 0x32a5705f, v4
	s_delay_alu instid0(VALU_DEP_2) | instskip(NEXT) | instid1(VALU_DEP_1)
	v_sub_f32_e32 v5, v5, v144
	v_add_f32_e32 v5, v5, v6
	v_cvt_i32_f32_e32 v6, v144
	s_delay_alu instid0(VALU_DEP_2) | instskip(SKIP_2) | instid1(VALU_DEP_1)
	v_exp_f32_e32 v5, v5
	s_waitcnt_depctr 0xfff
	v_ldexp_f32 v5, v5, v6
	v_cndmask_b32_e64 v5, 0, v5, s7
	v_cmp_nlt_f32_e64 s7, 0x42b17218, v4
	s_delay_alu instid0(VALU_DEP_1) | instskip(SKIP_4) | instid1(VALU_DEP_1)
	v_cndmask_b32_e64 v147, 0x7f800000, v5, s7
	ds_bpermute_b32 v4, v204, v147
	v_cndmask_b32_e64 v2, v2, v147, s6
	v_cndmask_b32_e64 v3, v3, v147, s5
	s_waitcnt lgkmcnt(0)
	v_cndmask_b32_e32 v3, v3, v4, vcc_lo
	s_delay_alu instid0(VALU_DEP_3) | instskip(NEXT) | instid1(VALU_DEP_2)
	v_cndmask_b32_e64 v2, v2, v4, s4
	v_cvt_f16_f32_e32 v4, v3
	s_delay_alu instid0(VALU_DEP_2) | instskip(NEXT) | instid1(VALU_DEP_1)
	v_cvt_f16_f32_e32 v5, v2
	v_pack_b32_f16 v213, v4, v5
	v_sub_f32_e32 v4, v148, v207
	s_delay_alu instid0(VALU_DEP_1) | instskip(SKIP_1) | instid1(VALU_DEP_2)
	v_mul_f32_e32 v5, 0x3fb8aa3b, v4
	v_cmp_ngt_f32_e64 s7, 0xc2ce8ed0, v4
	v_fma_f32 v6, 0x3fb8aa3b, v4, -v5
	v_rndne_f32_e32 v144, v5
	s_delay_alu instid0(VALU_DEP_2) | instskip(NEXT) | instid1(VALU_DEP_2)
	v_fmac_f32_e32 v6, 0x32a5705f, v4
	v_sub_f32_e32 v5, v5, v144
	s_delay_alu instid0(VALU_DEP_1) | instskip(SKIP_1) | instid1(VALU_DEP_2)
	v_add_f32_e32 v5, v5, v6
	v_cvt_i32_f32_e32 v6, v144
	v_exp_f32_e32 v5, v5
	s_waitcnt_depctr 0xfff
	v_ldexp_f32 v5, v5, v6
	s_delay_alu instid0(VALU_DEP_1) | instskip(SKIP_1) | instid1(VALU_DEP_1)
	v_cndmask_b32_e64 v5, 0, v5, s7
	v_cmp_nlt_f32_e64 s7, 0x42b17218, v4
	v_cndmask_b32_e64 v150, 0x7f800000, v5, s7
	v_cmp_ngt_f32_e64 s7, 0xc2ce8ed0, v1
	ds_bpermute_b32 v4, v204, v150
	v_cndmask_b32_e64 v2, v2, v150, s6
	v_cndmask_b32_e64 v3, v3, v150, s5
	s_waitcnt lgkmcnt(0)
	s_delay_alu instid0(VALU_DEP_1) | instskip(NEXT) | instid1(VALU_DEP_3)
	v_cndmask_b32_e32 v3, v3, v4, vcc_lo
	v_cndmask_b32_e64 v2, v2, v4, s4
	s_delay_alu instid0(VALU_DEP_2) | instskip(NEXT) | instid1(VALU_DEP_2)
	v_cvt_f16_f32_e32 v4, v3
	v_cvt_f16_f32_e32 v5, v2
	s_delay_alu instid0(VALU_DEP_1) | instskip(SKIP_1) | instid1(VALU_DEP_1)
	v_pack_b32_f16 v214, v4, v5
	v_mul_f32_e32 v4, 0x3fb8aa3b, v1
	v_fma_f32 v5, 0x3fb8aa3b, v1, -v4
	v_rndne_f32_e32 v6, v4
	s_delay_alu instid0(VALU_DEP_1) | instskip(NEXT) | instid1(VALU_DEP_1)
	v_dual_fmac_f32 v5, 0x32a5705f, v1 :: v_dual_sub_f32 v4, v4, v6
	v_add_f32_e32 v4, v4, v5
	v_cvt_i32_f32_e32 v5, v6
	s_delay_alu instid0(VALU_DEP_2) | instskip(SKIP_2) | instid1(VALU_DEP_1)
	v_exp_f32_e32 v4, v4
	s_waitcnt_depctr 0xfff
	v_ldexp_f32 v4, v4, v5
	v_cndmask_b32_e64 v4, 0, v4, s7
	v_cmp_nlt_f32_e64 s7, 0x42b17218, v1
	s_delay_alu instid0(VALU_DEP_1) | instskip(NEXT) | instid1(VALU_DEP_1)
	v_cndmask_b32_e64 v152, 0x7f800000, v4, s7
	v_cndmask_b32_e64 v1, v2, v152, s6
	;; [unrolled: 1-line block ×3, first 2 shown]
	ds_bpermute_b32 v3, v204, v152
	s_waitcnt lgkmcnt(0)
	v_cndmask_b32_e32 v2, v2, v3, vcc_lo
	v_cndmask_b32_e64 v1, v1, v3, s4
	s_delay_alu instid0(VALU_DEP_2) | instskip(NEXT) | instid1(VALU_DEP_2)
	v_cvt_f16_f32_e32 v2, v2
	v_cvt_f16_f32_e32 v1, v1
	s_delay_alu instid0(VALU_DEP_1) | instskip(SKIP_2) | instid1(VALU_DEP_2)
	v_pack_b32_f16 v215, v2, v1
	v_sub_f32_e32 v1, v202, v207
	v_add_nc_u32_e32 v202, 0x400, v115
	v_mul_f32_e32 v2, 0x3fb8aa3b, v1
	v_cmp_ngt_f32_e32 vcc_lo, 0xc2ce8ed0, v1
	s_delay_alu instid0(VALU_DEP_2) | instskip(SKIP_1) | instid1(VALU_DEP_1)
	v_fma_f32 v3, 0x3fb8aa3b, v1, -v2
	v_rndne_f32_e32 v4, v2
	v_dual_fmac_f32 v3, 0x32a5705f, v1 :: v_dual_sub_f32 v2, v2, v4
	s_delay_alu instid0(VALU_DEP_1) | instskip(SKIP_1) | instid1(VALU_DEP_2)
	v_add_f32_e32 v2, v2, v3
	v_cvt_i32_f32_e32 v3, v4
	v_exp_f32_e32 v2, v2
	s_waitcnt_depctr 0xfff
	v_ldexp_f32 v2, v2, v3
	s_delay_alu instid0(VALU_DEP_1) | instskip(SKIP_1) | instid1(VALU_DEP_2)
	v_cndmask_b32_e32 v2, 0, v2, vcc_lo
	v_cmp_nlt_f32_e32 vcc_lo, 0x42b17218, v1
	v_cndmask_b32_e32 v2, 0x7f800000, v2, vcc_lo
	v_cmp_le_f32_e32 vcc_lo, 0xc1a00000, v1
	s_delay_alu instid0(VALU_DEP_2)
	v_cndmask_b32_e32 v178, 0, v2, vcc_lo
	ds_load_2addr_b32 v[1:2], v115 offset1:16
	ds_load_2addr_b32 v[3:4], v115 offset0:36 offset1:52
	ds_load_2addr_b32 v[5:6], v115 offset0:72 offset1:88
	ds_load_2addr_b32 v[144:145], v115 offset0:108 offset1:124
	ds_load_2addr_b32 v[148:149], v115 offset0:144 offset1:180
	ds_load_2addr_b32 v[153:154], v115 offset0:196 offset1:216
	ds_load_2addr_b32 v[224:225], v115 offset0:232 offset1:252
	ds_load_2addr_b32 v[226:227], v202 offset0:12 offset1:32
	ds_load_2addr_b32 v[228:229], v202 offset0:68 offset1:84
	v_cvt_f16_f32_e64 v179, v178
	ds_load_2addr_b32 v[230:231], v202 offset0:104 offset1:120
	ds_load_2addr_b32 v[232:233], v202 offset0:140 offset1:156
	;; [unrolled: 1-line block ×5, first 2 shown]
	v_pk_mul_f16 v16, v179, v16 op_sel_hi:[0,1]
	v_pk_mul_f16 v17, v179, v17 op_sel_hi:[0,1]
	;; [unrolled: 1-line block ×16, first 2 shown]
	v_add_nc_u32_e32 v179, 0x200, v116
	s_waitcnt lgkmcnt(12)
	v_perm_b32 v216, v3, v1, 0x5040100
	s_waitcnt lgkmcnt(10)
	v_perm_b32 v217, v144, v5, 0x5040100
	;; [unrolled: 2-line block ×4, first 2 shown]
	ds_load_2addr_b32 v[240:241], v179 offset0:16 offset1:160
	ds_load_b32 v179, v116 offset:1728
	ds_load_b32 v202, v115 offset:2224
	s_waitcnt lgkmcnt(8)
	v_perm_b32 v220, v228, v227, 0x5040100
	s_waitcnt lgkmcnt(6)
	v_perm_b32 v221, v232, v230, 0x5040100
	;; [unrolled: 2-line block ×4, first 2 shown]
	s_waitcnt lgkmcnt(0)
	s_barrier
	buffer_gl0_inv
	v_wmma_f16_16x16x16_f16 v[16:23], v[216:223], v[208:215], v[16:23]
	v_perm_b32 v216, v4, v2, 0x5040100
	v_perm_b32 v217, v145, v6, 0x5040100
	;; [unrolled: 1-line block ×8, first 2 shown]
	s_delay_alu instid0(VALU_DEP_1)
	v_wmma_f16_16x16x16_f16 v[8:15], v[216:223], v[208:215], v[8:15]
	v_perm_b32 v216, v3, v1, 0x7060302
	v_add_f32_e32 v1, v7, v140
	v_perm_b32 v218, v149, v148, 0x7060302
	v_perm_b32 v222, v235, v234, 0x7060302
	;; [unrolled: 1-line block ×4, first 2 shown]
	v_add_f32_e32 v1, v142, v1
	v_perm_b32 v220, v228, v227, 0x7060302
	v_perm_b32 v221, v232, v230, 0x7060302
	;; [unrolled: 1-line block ×3, first 2 shown]
	s_delay_alu instid0(VALU_DEP_4) | instskip(NEXT) | instid1(VALU_DEP_2)
	v_add_f32_e32 v1, v143, v1
	v_wmma_f16_16x16x16_f16 v[16:23], v[216:223], v[208:215], v[16:23] op_sel:[0,0,1]
	v_perm_b32 v216, v4, v2, 0x7060302
	s_delay_alu instid0(VALU_DEP_3)
	v_add_f32_e32 v1, v146, v1
	v_perm_b32 v217, v145, v6, 0x7060302
	v_perm_b32 v219, v226, v224, 0x7060302
	;; [unrolled: 1-line block ×4, first 2 shown]
	v_add_f32_e32 v1, v147, v1
	v_perm_b32 v221, v233, v231, 0x7060302
	v_perm_b32 v222, v236, v179, 0x7060302
	v_perm_b32 v223, v202, v238, 0x7060302
	s_delay_alu instid0(VALU_DEP_4) | instskip(NEXT) | instid1(VALU_DEP_2)
	v_add_f32_e32 v1, v150, v1
	v_wmma_f16_16x16x16_f16 v[8:15], v[216:223], v[208:215], v[8:15] op_sel:[0,0,1]
	s_delay_alu instid0(VALU_DEP_2) | instskip(NEXT) | instid1(VALU_DEP_1)
	v_add_f32_e32 v202, v152, v1
	v_fmac_f32_e32 v202, v203, v178
	s_cbranch_scc0 .LBB0_36
; %bb.33:                               ;   in Loop: Header=BB0_32 Depth=2
	s_delay_alu instid0(VALU_DEP_1)
	v_dual_mov_b32 v203, v202 :: v_dual_mov_b32 v202, v207
	s_ashr_i32 s67, s66, 31
	s_and_saveexec_b32 s4, s0
	s_cbranch_execnz .LBB0_31
	s_branch .LBB0_32
.LBB0_34:                               ;   in Loop: Header=BB0_10 Depth=1
	s_cbranch_execz .LBB0_9
	s_branch .LBB0_127
.LBB0_35:                               ;   in Loop: Header=BB0_10 Depth=1
	v_dual_mov_b32 v202, 0 :: v_dual_mov_b32 v207, 0xfeffffff
	v_dual_mov_b32 v14, 0 :: v_dual_mov_b32 v13, 0
	;; [unrolled: 1-line block ×8, first 2 shown]
	v_mov_b32_e32 v16, 0
.LBB0_36:                               ;   in Loop: Header=BB0_10 Depth=1
	s_lshl_b32 s4, s103, 6
	s_delay_alu instid0(SALU_CYCLE_1)
	s_ashr_i32 s5, s4, 31
	s_and_saveexec_b32 s6, s0
	s_cbranch_execz .LBB0_38
; %bb.37:                               ;   in Loop: Header=BB0_10 Depth=1
	v_or_b32_e32 v1, s102, v95
	s_lshl_b64 s[66:67], s[4:5], 1
	v_lshlrev_b32_e32 v5, 1, v108
	s_delay_alu instid0(VALU_DEP_2) | instskip(NEXT) | instid1(VALU_DEP_1)
	v_mul_hi_u32 v2, s12, v1
	v_add_nc_u32_e32 v2, v1, v2
	s_delay_alu instid0(VALU_DEP_1) | instskip(NEXT) | instid1(VALU_DEP_1)
	v_lshrrev_b32_e32 v2, s13, v2
	v_mul_lo_u32 v2, v2, s8
	s_delay_alu instid0(VALU_DEP_1) | instskip(NEXT) | instid1(VALU_DEP_1)
	v_sub_nc_u32_e32 v3, v1, v2
	v_mad_i64_i32 v[1:2], null, v3, s40, 0
	v_add_co_u32 v3, vcc_lo, v199, s66
	v_add_co_ci_u32_e32 v4, vcc_lo, s67, v200, vcc_lo
	s_delay_alu instid0(VALU_DEP_3) | instskip(NEXT) | instid1(VALU_DEP_1)
	v_lshlrev_b64 v[1:2], 1, v[1:2]
	v_add_co_u32 v1, vcc_lo, v3, v1
	s_delay_alu instid0(VALU_DEP_2) | instskip(NEXT) | instid1(VALU_DEP_2)
	v_add_co_ci_u32_e32 v2, vcc_lo, v4, v2, vcc_lo
	v_add_co_u32 v1, vcc_lo, v1, v5
	s_delay_alu instid0(VALU_DEP_2)
	v_add_co_ci_u32_e32 v2, vcc_lo, 0, v2, vcc_lo
	global_load_b32 v1, v[1:2], off
	s_waitcnt vmcnt(0)
	ds_store_b32 v109, v1 offset:9216
.LBB0_38:                               ;   in Loop: Header=BB0_10 Depth=1
	s_or_b32 exec_lo, exec_lo, s6
	s_mul_hi_i32 s7, s4, s34
	s_mul_i32 s6, s4, s34
	v_lshlrev_b32_e32 v203, 2, v110
	s_lshl_b64 s[6:7], s[6:7], 2
	v_mov_b32_e32 v7, v0
	s_add_u32 s5, s89, s6
	s_addc_u32 s6, s90, s7
	v_add_co_u32 v1, vcc_lo, s5, v67
	v_add_co_ci_u32_e32 v2, vcc_lo, s6, v68, vcc_lo
	v_add_nc_u32_e32 v152, 0x800, v115
	s_delay_alu instid0(VALU_DEP_3) | instskip(NEXT) | instid1(VALU_DEP_3)
	v_add_co_u32 v1, vcc_lo, v1, v203
	v_add_co_ci_u32_e32 v2, vcc_lo, 0, v2, vcc_lo
	v_add_co_u32 v3, vcc_lo, s5, v69
	v_add_co_ci_u32_e32 v4, vcc_lo, s6, v70, vcc_lo
	s_delay_alu instid0(VALU_DEP_2) | instskip(NEXT) | instid1(VALU_DEP_2)
	v_add_co_u32 v5, vcc_lo, v3, v203
	v_add_co_ci_u32_e32 v6, vcc_lo, 0, v4, vcc_lo
	s_clause 0x1
	global_load_b128 v[1:4], v[1:2], off
	global_load_b128 v[208:211], v[5:6], off
	s_waitcnt vmcnt(1)
	ds_store_b128 v111, v[1:4]
	s_waitcnt vmcnt(0)
	ds_store_b128 v155, v[208:211]
	v_add_co_u32 v1, vcc_lo, s5, v71
	v_add_co_ci_u32_e32 v2, vcc_lo, s6, v72, vcc_lo
	s_delay_alu instid0(VALU_DEP_2) | instskip(NEXT) | instid1(VALU_DEP_2)
	v_add_co_u32 v1, vcc_lo, v1, v203
	v_add_co_ci_u32_e32 v2, vcc_lo, 0, v2, vcc_lo
	v_add_co_u32 v3, vcc_lo, s5, v73
	v_add_co_ci_u32_e32 v4, vcc_lo, s6, v74, vcc_lo
	s_mul_hi_i32 s5, s4, s10
	s_delay_alu instid0(VALU_DEP_2) | instskip(NEXT) | instid1(VALU_DEP_2)
	v_add_co_u32 v5, vcc_lo, v3, v203
	v_add_co_ci_u32_e32 v6, vcc_lo, 0, v4, vcc_lo
	s_clause 0x1
	global_load_b128 v[1:4], v[1:2], off
	global_load_b128 v[208:211], v[5:6], off
	v_mov_b32_e32 v5, v0
	v_mov_b32_e32 v6, v0
	s_mul_i32 s4, s4, s10
	v_cmp_eq_u32_e64 s6, 1, v112
	s_lshl_b64 s[4:5], s[4:5], 2
	s_waitcnt vmcnt(1)
	ds_store_b128 v156, v[1:4]
	s_waitcnt vmcnt(0)
	ds_store_b128 v157, v[208:211]
	s_waitcnt lgkmcnt(0)
	s_barrier
	buffer_gl0_inv
	ds_load_b128 v[208:211], v113
	ds_load_b128 v[212:215], v113 offset:16
	v_mov_b32_e32 v1, v0
	v_mov_b32_e32 v2, v0
	;; [unrolled: 1-line block ×4, first 2 shown]
	v_dual_mov_b32 v223, v7 :: v_dual_mov_b32 v222, v6
	v_mov_b32_e32 v221, v5
	s_delay_alu instid0(VALU_DEP_4) | instskip(NEXT) | instid1(VALU_DEP_4)
	v_dual_mov_b32 v219, v3 :: v_dual_mov_b32 v218, v2
	v_dual_mov_b32 v220, v4 :: v_dual_mov_b32 v217, v1
	v_mov_b32_e32 v216, v0
	s_add_u32 s4, s87, s4
	s_addc_u32 s5, s88, s5
	s_cmp_lg_u64 s[64:65], 0
	s_waitcnt lgkmcnt(0)
	v_wmma_f32_16x16x16_f16 v[216:223], v[208:215], v[32:39], v[216:223]
	ds_load_b128 v[32:35], v113 offset:32
	ds_load_b128 v[36:39], v113 offset:48
	s_waitcnt lgkmcnt(0)
	v_wmma_f32_16x16x16_f16 v[216:223], v[32:39], v[24:31], v[216:223]
	ds_load_b128 v[24:27], v113 offset:64
	ds_load_b128 v[28:31], v113 offset:80
	;; [unrolled: 4-line block ×3, first 2 shown]
	s_waitcnt lgkmcnt(0)
	s_barrier
	buffer_gl0_inv
	v_add_nc_u32_e32 v44, 0x400, v115
	v_wmma_f32_16x16x16_f16 v[216:223], v[24:31], v[48:55], v[216:223]
	ds_load_u16 v1, v117 offset:9216
	ds_load_u16 v2, v117 offset:9220
	;; [unrolled: 1-line block ×8, first 2 shown]
	s_waitcnt lgkmcnt(7)
	v_cvt_f32_f16_e32 v1, v1
	s_waitcnt lgkmcnt(6)
	v_cvt_f32_f16_e32 v2, v2
	;; [unrolled: 2-line block ×7, first 2 shown]
	v_dual_add_f32 v34, v217, v2 :: v_dual_add_f32 v33, v216, v1
	v_dual_add_f32 v35, v218, v3 :: v_dual_add_f32 v36, v219, v4
	s_delay_alu instid0(VALU_DEP_2) | instskip(NEXT) | instid1(VALU_DEP_3)
	v_dual_add_f32 v27, v222, v7 :: v_dual_add_f32 v2, 0x40051340, v34
	v_add_f32_e32 v1, 0x40051340, v33
	s_waitcnt lgkmcnt(0)
	v_cvt_f32_f16_e32 v24, v24
	v_dual_add_f32 v37, v220, v5 :: v_dual_add_f32 v28, v221, v6
	v_add_f32_e32 v3, 0x40051340, v36
	v_max3_f32 v1, v207, v1, v2
	v_add_f32_e32 v2, 0x40051340, v35
	v_add_f32_e32 v26, v223, v24
	s_delay_alu instid0(VALU_DEP_2) | instskip(SKIP_1) | instid1(VALU_DEP_1)
	v_max3_f32 v1, v1, v2, v3
	v_dual_add_f32 v2, 0x40051340, v37 :: v_dual_add_f32 v3, 0x40051340, v28
	v_max3_f32 v1, v1, v2, v3
	s_delay_alu instid0(VALU_DEP_4) | instskip(NEXT) | instid1(VALU_DEP_1)
	v_dual_add_f32 v2, 0x40051340, v27 :: v_dual_add_f32 v3, 0x40051340, v26
	v_max3_f32 v1, v1, v2, v3
	v_xor_b32_e32 v2, 16, v99
	s_delay_alu instid0(VALU_DEP_1) | instskip(SKIP_1) | instid1(VALU_DEP_1)
	v_cmp_gt_i32_e32 vcc_lo, 32, v2
	v_cndmask_b32_e32 v2, v99, v2, vcc_lo
	v_lshlrev_b32_e32 v24, 2, v2
	ds_bpermute_b32 v2, v24, v1
	s_waitcnt lgkmcnt(0)
	v_max_f32_e32 v2, v2, v2
	s_delay_alu instid0(VALU_DEP_1) | instskip(NEXT) | instid1(VALU_DEP_1)
	v_max_f32_e32 v25, v1, v2
	v_sub_f32_e32 v1, v207, v25
	s_delay_alu instid0(VALU_DEP_1) | instskip(SKIP_1) | instid1(VALU_DEP_2)
	v_mul_f32_e32 v2, 0x3fb8aa3b, v1
	v_cmp_ngt_f32_e32 vcc_lo, 0xc2ce8ed0, v1
	v_fma_f32 v3, 0x3fb8aa3b, v1, -v2
	v_rndne_f32_e32 v4, v2
	s_delay_alu instid0(VALU_DEP_1) | instskip(NEXT) | instid1(VALU_DEP_1)
	v_dual_fmac_f32 v3, 0x32a5705f, v1 :: v_dual_sub_f32 v2, v2, v4
	v_add_f32_e32 v2, v2, v3
	v_cvt_i32_f32_e32 v3, v4
	s_delay_alu instid0(VALU_DEP_2) | instskip(SKIP_2) | instid1(VALU_DEP_1)
	v_exp_f32_e32 v2, v2
	s_waitcnt_depctr 0xfff
	v_ldexp_f32 v2, v2, v3
	v_cndmask_b32_e32 v2, 0, v2, vcc_lo
	v_cmp_nlt_f32_e32 vcc_lo, 0x42b17218, v1
	s_delay_alu instid0(VALU_DEP_2) | instskip(SKIP_1) | instid1(VALU_DEP_2)
	v_cndmask_b32_e32 v2, 0x7f800000, v2, vcc_lo
	v_cmp_le_f32_e32 vcc_lo, 0xc1a00000, v1
	v_cndmask_b32_e32 v55, 0, v2, vcc_lo
	s_delay_alu instid0(VALU_DEP_1) | instskip(NEXT) | instid1(VALU_DEP_1)
	v_cvt_f16_f32_e32 v29, v55
	v_pk_mul_f16 v2, v29, v9 op_sel_hi:[0,1]
	v_add_co_u32 v9, vcc_lo, s4, v59
	v_pk_mul_f16 v3, v29, v10 op_sel_hi:[0,1]
	v_add_co_ci_u32_e32 v10, vcc_lo, s5, v60, vcc_lo
	s_delay_alu instid0(VALU_DEP_3) | instskip(SKIP_1) | instid1(VALU_DEP_3)
	v_add_co_u32 v9, vcc_lo, v9, v203
	v_pk_mul_f16 v4, v29, v11 op_sel_hi:[0,1]
	v_add_co_ci_u32_e32 v10, vcc_lo, 0, v10, vcc_lo
	v_add_co_u32 v11, vcc_lo, s4, v61
	v_pk_mul_f16 v5, v29, v12 op_sel_hi:[0,1]
	v_add_co_ci_u32_e32 v12, vcc_lo, s5, v62, vcc_lo
	v_pk_mul_f16 v6, v29, v13 op_sel_hi:[0,1]
	s_delay_alu instid0(VALU_DEP_4) | instskip(SKIP_1) | instid1(VALU_DEP_4)
	v_add_co_u32 v13, vcc_lo, v11, v203
	v_pk_mul_f16 v7, v29, v14 op_sel_hi:[0,1]
	v_add_co_ci_u32_e32 v14, vcc_lo, 0, v12, vcc_lo
	v_pk_mul_f16 v16, v29, v16 op_sel_hi:[0,1]
	v_pk_mul_f16 v17, v29, v17 op_sel_hi:[0,1]
	;; [unrolled: 1-line block ×10, first 2 shown]
	s_clause 0x1
	global_load_b128 v[9:12], v[9:10], off
	global_load_b128 v[29:32], v[13:14], off
	s_waitcnt vmcnt(1)
	ds_store_b128 v111, v[9:12]
	s_waitcnt vmcnt(0)
	ds_store_b128 v155, v[29:32]
	v_add_co_u32 v9, vcc_lo, s4, v63
	v_add_co_ci_u32_e32 v10, vcc_lo, s5, v64, vcc_lo
	s_delay_alu instid0(VALU_DEP_2) | instskip(NEXT) | instid1(VALU_DEP_2)
	v_add_co_u32 v9, vcc_lo, v9, v203
	v_add_co_ci_u32_e32 v10, vcc_lo, 0, v10, vcc_lo
	v_add_co_u32 v11, vcc_lo, s4, v65
	v_add_co_ci_u32_e32 v12, vcc_lo, s5, v66, vcc_lo
	v_cmp_eq_u32_e64 s5, 0, v112
	s_delay_alu instid0(VALU_DEP_3) | instskip(NEXT) | instid1(VALU_DEP_3)
	v_add_co_u32 v13, vcc_lo, v11, v203
	v_add_co_ci_u32_e32 v14, vcc_lo, 0, v12, vcc_lo
	s_clause 0x1
	global_load_b128 v[9:12], v[9:10], off
	global_load_b128 v[29:32], v[13:14], off
	s_waitcnt vmcnt(1)
	ds_store_b128 v156, v[9:12]
	s_waitcnt vmcnt(0)
	ds_store_b128 v157, v[29:32]
	v_sub_f32_e32 v9, v34, v25
	s_waitcnt lgkmcnt(0)
	s_barrier
	buffer_gl0_inv
	v_mul_f32_e32 v10, 0x3fb8aa3b, v9
	v_cmp_ngt_f32_e32 vcc_lo, 0xc2ce8ed0, v9
	s_delay_alu instid0(VALU_DEP_2) | instskip(SKIP_1) | instid1(VALU_DEP_1)
	v_fma_f32 v11, 0x3fb8aa3b, v9, -v10
	v_rndne_f32_e32 v12, v10
	v_dual_fmac_f32 v11, 0x32a5705f, v9 :: v_dual_sub_f32 v10, v10, v12
	v_cvt_i32_f32_e32 v12, v12
	s_delay_alu instid0(VALU_DEP_2) | instskip(NEXT) | instid1(VALU_DEP_1)
	v_dual_add_f32 v10, v10, v11 :: v_dual_sub_f32 v11, v33, v25
	v_mul_f32_e32 v13, 0x3fb8aa3b, v11
	v_cmp_ngt_f32_e64 s4, 0xc2ce8ed0, v11
	s_delay_alu instid0(VALU_DEP_2) | instskip(SKIP_1) | instid1(VALU_DEP_2)
	v_fma_f32 v14, 0x3fb8aa3b, v11, -v13
	v_rndne_f32_e32 v15, v13
	v_fmac_f32_e32 v14, 0x32a5705f, v11
	s_delay_alu instid0(VALU_DEP_2) | instskip(NEXT) | instid1(VALU_DEP_1)
	v_sub_f32_e32 v13, v13, v15
	v_add_f32_e32 v13, v13, v14
	v_exp_f32_e32 v10, v10
	s_waitcnt_depctr 0xfff
	v_ldexp_f32 v10, v10, v12
	v_exp_f32_e32 v12, v13
	v_cvt_i32_f32_e32 v13, v15
	s_delay_alu instid0(VALU_DEP_2)
	v_cndmask_b32_e32 v10, 0, v10, vcc_lo
	v_cmp_nlt_f32_e32 vcc_lo, 0x42b17218, v9
	s_waitcnt_depctr 0xfff
	v_ldexp_f32 v12, v12, v13
	v_cndmask_b32_e32 v140, 0x7f800000, v10, vcc_lo
	v_cmp_eq_u32_e32 vcc_lo, 0, v158
	s_delay_alu instid0(VALU_DEP_3) | instskip(SKIP_1) | instid1(VALU_DEP_1)
	v_cndmask_b32_e64 v9, 0, v12, s4
	v_cmp_nlt_f32_e64 s4, 0x42b17218, v11
	v_cndmask_b32_e64 v15, 0x7f800000, v9, s4
	v_cmp_eq_u32_e64 s4, 1, v158
	ds_bpermute_b32 v9, v24, v15
	s_waitcnt lgkmcnt(0)
	v_cndmask_b32_e64 v10, v15, v9, s4
	v_cndmask_b32_e32 v9, v15, v9, vcc_lo
	s_delay_alu instid0(VALU_DEP_2) | instskip(NEXT) | instid1(VALU_DEP_2)
	v_cndmask_b32_e64 v13, v10, v140, s6
	v_cndmask_b32_e64 v12, v9, v140, s5
	v_cvt_f16_f32_e32 v9, v9
	v_cvt_f16_f32_e32 v10, v10
	s_delay_alu instid0(VALU_DEP_1)
	v_pack_b32_f16 v29, v9, v10
	v_sub_f32_e32 v9, v35, v25
	ds_bpermute_b32 v11, v24, v140
	v_mul_f32_e32 v10, 0x3fb8aa3b, v9
	v_cmp_ngt_f32_e64 s7, 0xc2ce8ed0, v9
	s_waitcnt lgkmcnt(0)
	v_cndmask_b32_e32 v12, v12, v11, vcc_lo
	v_cndmask_b32_e64 v11, v13, v11, s4
	s_delay_alu instid0(VALU_DEP_2) | instskip(NEXT) | instid1(VALU_DEP_2)
	v_cvt_f16_f32_e32 v13, v12
	v_cvt_f16_f32_e32 v14, v11
	s_delay_alu instid0(VALU_DEP_1) | instskip(SKIP_2) | instid1(VALU_DEP_1)
	v_pack_b32_f16 v30, v13, v14
	v_fma_f32 v13, 0x3fb8aa3b, v9, -v10
	v_rndne_f32_e32 v14, v10
	v_dual_fmac_f32 v13, 0x32a5705f, v9 :: v_dual_sub_f32 v10, v10, v14
	s_delay_alu instid0(VALU_DEP_1) | instskip(SKIP_1) | instid1(VALU_DEP_2)
	v_add_f32_e32 v10, v10, v13
	v_cvt_i32_f32_e32 v13, v14
	v_exp_f32_e32 v10, v10
	s_waitcnt_depctr 0xfff
	v_ldexp_f32 v10, v10, v13
	s_delay_alu instid0(VALU_DEP_1) | instskip(SKIP_1) | instid1(VALU_DEP_1)
	v_cndmask_b32_e64 v10, 0, v10, s7
	v_cmp_nlt_f32_e64 s7, 0x42b17218, v9
	v_cndmask_b32_e64 v142, 0x7f800000, v10, s7
	s_delay_alu instid0(VALU_DEP_1) | instskip(SKIP_3) | instid1(VALU_DEP_1)
	v_cndmask_b32_e64 v9, v11, v142, s6
	ds_bpermute_b32 v11, v24, v142
	v_cndmask_b32_e64 v10, v12, v142, s5
	s_waitcnt lgkmcnt(0)
	v_cndmask_b32_e32 v10, v10, v11, vcc_lo
	v_cndmask_b32_e64 v9, v9, v11, s4
	s_delay_alu instid0(VALU_DEP_2) | instskip(NEXT) | instid1(VALU_DEP_2)
	v_cvt_f16_f32_e32 v11, v10
	v_cvt_f16_f32_e32 v12, v9
	s_delay_alu instid0(VALU_DEP_1) | instskip(SKIP_1) | instid1(VALU_DEP_1)
	v_pack_b32_f16 v31, v11, v12
	v_sub_f32_e32 v11, v36, v25
	v_mul_f32_e32 v12, 0x3fb8aa3b, v11
	v_cmp_ngt_f32_e64 s7, 0xc2ce8ed0, v11
	s_delay_alu instid0(VALU_DEP_2) | instskip(SKIP_1) | instid1(VALU_DEP_1)
	v_fma_f32 v13, 0x3fb8aa3b, v11, -v12
	v_rndne_f32_e32 v14, v12
	v_dual_fmac_f32 v13, 0x32a5705f, v11 :: v_dual_sub_f32 v12, v12, v14
	s_delay_alu instid0(VALU_DEP_1) | instskip(SKIP_1) | instid1(VALU_DEP_2)
	v_add_f32_e32 v12, v12, v13
	v_cvt_i32_f32_e32 v13, v14
	v_exp_f32_e32 v12, v12
	s_waitcnt_depctr 0xfff
	v_ldexp_f32 v12, v12, v13
	s_delay_alu instid0(VALU_DEP_1) | instskip(SKIP_1) | instid1(VALU_DEP_1)
	v_cndmask_b32_e64 v12, 0, v12, s7
	v_cmp_nlt_f32_e64 s7, 0x42b17218, v11
	v_cndmask_b32_e64 v143, 0x7f800000, v12, s7
	ds_bpermute_b32 v11, v24, v143
	v_cndmask_b32_e64 v9, v9, v143, s6
	v_cndmask_b32_e64 v10, v10, v143, s5
	s_waitcnt lgkmcnt(0)
	s_delay_alu instid0(VALU_DEP_1) | instskip(NEXT) | instid1(VALU_DEP_3)
	v_cndmask_b32_e32 v10, v10, v11, vcc_lo
	v_cndmask_b32_e64 v9, v9, v11, s4
	s_delay_alu instid0(VALU_DEP_2) | instskip(NEXT) | instid1(VALU_DEP_2)
	v_cvt_f16_f32_e32 v11, v10
	v_cvt_f16_f32_e32 v12, v9
	s_delay_alu instid0(VALU_DEP_1) | instskip(SKIP_1) | instid1(VALU_DEP_1)
	v_pack_b32_f16 v32, v11, v12
	v_sub_f32_e32 v11, v37, v25
	v_mul_f32_e32 v12, 0x3fb8aa3b, v11
	v_cmp_ngt_f32_e64 s7, 0xc2ce8ed0, v11
	s_delay_alu instid0(VALU_DEP_2) | instskip(SKIP_1) | instid1(VALU_DEP_1)
	v_fma_f32 v13, 0x3fb8aa3b, v11, -v12
	v_rndne_f32_e32 v14, v12
	v_dual_fmac_f32 v13, 0x32a5705f, v11 :: v_dual_sub_f32 v12, v12, v14
	s_delay_alu instid0(VALU_DEP_1) | instskip(SKIP_1) | instid1(VALU_DEP_2)
	v_add_f32_e32 v12, v12, v13
	v_cvt_i32_f32_e32 v13, v14
	v_exp_f32_e32 v12, v12
	s_waitcnt_depctr 0xfff
	v_ldexp_f32 v12, v12, v13
	s_delay_alu instid0(VALU_DEP_1) | instskip(SKIP_1) | instid1(VALU_DEP_1)
	v_cndmask_b32_e64 v12, 0, v12, s7
	v_cmp_nlt_f32_e64 s7, 0x42b17218, v11
	v_cndmask_b32_e64 v146, 0x7f800000, v12, s7
	ds_bpermute_b32 v11, v24, v146
	v_cndmask_b32_e64 v9, v9, v146, s6
	v_cndmask_b32_e64 v10, v10, v146, s5
	s_waitcnt lgkmcnt(0)
	s_delay_alu instid0(VALU_DEP_1) | instskip(NEXT) | instid1(VALU_DEP_3)
	;; [unrolled: 29-line block ×5, first 2 shown]
	v_cndmask_b32_e32 v10, v10, v11, vcc_lo
	v_cndmask_b32_e64 v9, v9, v11, s4
	s_cselect_b32 s4, -1, 0
	s_delay_alu instid0(SALU_CYCLE_1) | instskip(NEXT) | instid1(VALU_DEP_2)
	s_and_b32 s5, s1, s4
	v_cvt_f16_f32_e32 v10, v10
	s_delay_alu instid0(VALU_DEP_2) | instskip(NEXT) | instid1(VALU_DEP_1)
	v_cvt_f16_f32_e32 v9, v9
	v_pack_b32_f16 v36, v10, v9
	ds_load_2addr_b32 v[9:10], v115 offset1:16
	ds_load_2addr_b32 v[11:12], v115 offset0:36 offset1:52
	ds_load_2addr_b32 v[13:14], v115 offset0:72 offset1:88
	;; [unrolled: 1-line block ×13, first 2 shown]
	s_waitcnt lgkmcnt(12)
	v_perm_b32 v37, v11, v9, 0x5040100
	s_waitcnt lgkmcnt(10)
	v_perm_b32 v38, v26, v13, 0x5040100
	;; [unrolled: 2-line block ×8, first 2 shown]
	s_delay_alu instid0(VALU_DEP_1)
	v_wmma_f16_16x16x16_f16 v[16:23], v[37:44], v[29:36], v[16:23]
	v_add_nc_u32_e32 v39, 0x200, v116
	v_perm_b32 v37, v12, v10, 0x5040100
	v_perm_b32 v38, v27, v14, 0x5040100
	v_perm_b32 v40, v51, v49, 0x5040100
	v_perm_b32 v42, v149, v145, 0x5040100
	ds_load_2addr_b32 v[207:208], v39 offset0:16 offset1:160
	ds_load_b32 v152, v116 offset:1728
	ds_load_b32 v178, v115 offset:2224
	s_waitcnt lgkmcnt(0)
	s_barrier
	buffer_gl0_inv
	v_perm_b32 v39, v47, v207, 0x5040100
	v_perm_b32 v41, v54, v208, 0x5040100
	v_perm_b32 v43, v203, v152, 0x5040100
	v_perm_b32 v44, v178, v205, 0x5040100
	s_delay_alu instid0(VALU_DEP_1)
	v_wmma_f16_16x16x16_f16 v[1:8], v[37:44], v[29:36], v[1:8]
	v_perm_b32 v37, v11, v9, 0x7060302
	v_add_f32_e32 v9, v15, v140
	v_perm_b32 v39, v46, v45, 0x7060302
	v_perm_b32 v43, v154, v153, 0x7060302
	;; [unrolled: 1-line block ×4, first 2 shown]
	v_add_f32_e32 v9, v142, v9
	v_perm_b32 v41, v53, v52, 0x7060302
	v_perm_b32 v42, v148, v144, 0x7060302
	;; [unrolled: 1-line block ×3, first 2 shown]
	s_delay_alu instid0(VALU_DEP_4) | instskip(NEXT) | instid1(VALU_DEP_2)
	v_add_f32_e32 v9, v143, v9
	v_wmma_f16_16x16x16_f16 v[16:23], v[37:44], v[29:36], v[16:23] op_sel:[0,0,1]
	v_perm_b32 v37, v12, v10, 0x7060302
	s_delay_alu instid0(VALU_DEP_3)
	v_add_f32_e32 v9, v146, v9
	v_perm_b32 v38, v27, v14, 0x7060302
	v_perm_b32 v40, v51, v49, 0x7060302
	;; [unrolled: 1-line block ×4, first 2 shown]
	v_add_f32_e32 v9, v28, v9
	v_perm_b32 v42, v149, v145, 0x7060302
	v_perm_b32 v43, v203, v152, 0x7060302
	;; [unrolled: 1-line block ×3, first 2 shown]
	s_delay_alu instid0(VALU_DEP_4) | instskip(NEXT) | instid1(VALU_DEP_2)
	v_add_f32_e32 v9, v147, v9
	v_wmma_f16_16x16x16_f16 v[1:8], v[37:44], v[29:36], v[1:8] op_sel:[0,0,1]
	s_delay_alu instid0(VALU_DEP_2) | instskip(NEXT) | instid1(VALU_DEP_1)
	v_add_f32_e32 v9, v150, v9
	v_fmac_f32_e32 v9, v202, v55
	ds_bpermute_b32 v10, v24, v9
	s_waitcnt lgkmcnt(0)
	v_add_f32_e32 v9, v9, v10
	s_and_saveexec_b32 s4, s5
	s_cbranch_execz .LBB0_40
; %bb.39:                               ;   in Loop: Header=BB0_10 Depth=1
	v_dual_max_f32 v11, v25, v25 :: v_dual_lshlrev_b32 v10, 2, v159
	global_load_b32 v10, v10, s[64:65]
	s_waitcnt vmcnt(0)
	v_max_f32_e32 v12, v10, v10
	s_delay_alu instid0(VALU_DEP_1) | instskip(NEXT) | instid1(VALU_DEP_1)
	v_max_f32_e32 v11, v11, v12
	v_sub_f32_e32 v10, v10, v11
	s_delay_alu instid0(VALU_DEP_1) | instskip(NEXT) | instid1(VALU_DEP_1)
	v_dual_sub_f32 v12, v25, v11 :: v_dual_mul_f32 v25, 0x3fb8aa3b, v10
	v_cmp_ngt_f32_e32 vcc_lo, 0xc2ce8ed0, v12
	s_delay_alu instid0(VALU_DEP_2) | instskip(SKIP_1) | instid1(VALU_DEP_1)
	v_rndne_f32_e32 v27, v25
	v_mul_f32_e32 v13, 0x3fb8aa3b, v12
	v_fma_f32 v14, 0x3fb8aa3b, v12, -v13
	v_rndne_f32_e32 v15, v13
	s_delay_alu instid0(VALU_DEP_1) | instskip(SKIP_1) | instid1(VALU_DEP_2)
	v_dual_fmac_f32 v14, 0x32a5705f, v12 :: v_dual_sub_f32 v13, v13, v15
	v_cvt_i32_f32_e32 v15, v15
	v_add_f32_e32 v13, v13, v14
	v_fma_f32 v26, 0x3fb8aa3b, v10, -v25
	v_sub_f32_e32 v14, v25, v27
	s_delay_alu instid0(VALU_DEP_3) | instskip(NEXT) | instid1(VALU_DEP_2)
	v_exp_f32_e32 v13, v13
	v_dual_fmac_f32 v26, 0x32a5705f, v10 :: v_dual_mov_b32 v25, v11
	s_waitcnt_depctr 0xfff
	v_ldexp_f32 v13, v13, v15
	v_cvt_i32_f32_e32 v15, v27
	s_delay_alu instid0(VALU_DEP_2) | instskip(SKIP_1) | instid1(VALU_DEP_2)
	v_cndmask_b32_e32 v13, 0, v13, vcc_lo
	v_cmp_nlt_f32_e32 vcc_lo, 0x42b17218, v12
	v_dual_add_f32 v14, v14, v26 :: v_dual_cndmask_b32 v13, 0x7f800000, v13
	s_delay_alu instid0(VALU_DEP_1) | instskip(SKIP_3) | instid1(VALU_DEP_1)
	v_exp_f32_e32 v14, v14
	v_cmp_ngt_f32_e32 vcc_lo, 0xc2ce8ed0, v10
	s_waitcnt_depctr 0xfff
	v_ldexp_f32 v14, v14, v15
	v_cndmask_b32_e32 v14, 0, v14, vcc_lo
	v_cmp_le_f32_e32 vcc_lo, 0xc1a00000, v12
	v_cndmask_b32_e32 v12, 0, v13, vcc_lo
	v_cmp_nlt_f32_e32 vcc_lo, 0x42b17218, v10
	s_delay_alu instid0(VALU_DEP_4) | instskip(NEXT) | instid1(VALU_DEP_1)
	v_cndmask_b32_e32 v10, 0x7f800000, v14, vcc_lo
	v_fmac_f32_e32 v10, v9, v12
	s_delay_alu instid0(VALU_DEP_1) | instskip(SKIP_1) | instid1(VALU_DEP_1)
	v_mov_b32_e32 v9, v10
	v_cvt_f16_f32_e32 v13, v12
	v_pk_mul_f16 v16, v13, v16 op_sel_hi:[0,1]
	v_pk_mul_f16 v17, v13, v17 op_sel_hi:[0,1]
	;; [unrolled: 1-line block ×16, first 2 shown]
.LBB0_40:                               ;   in Loop: Header=BB0_10 Depth=1
	s_or_b32 exec_lo, exec_lo, s4
	s_and_saveexec_b32 s4, s3
	s_cbranch_execz .LBB0_42
; %bb.41:                               ;   in Loop: Header=BB0_10 Depth=1
	v_add_nc_u32_e32 v10, 0, v118
	ds_store_2addr_b32 v10, v25, v9 offset0:32 offset1:33
.LBB0_42:                               ;   in Loop: Header=BB0_10 Depth=1
	s_or_b32 exec_lo, exec_lo, s4
	s_waitcnt lgkmcnt(0)
	s_barrier
	buffer_gl0_inv
	s_and_saveexec_b32 s4, s2
	s_delay_alu instid0(SALU_CYCLE_1)
	s_xor_b32 s4, exec_lo, s4
	s_cbranch_execz .LBB0_44
; %bb.43:                               ;   in Loop: Header=BB0_10 Depth=1
	s_barrier
	buffer_gl0_inv
                                        ; implicit-def: $vgpr24
.LBB0_44:                               ;   in Loop: Header=BB0_10 Depth=1
	s_and_not1_saveexec_b32 s4, s4
	s_cbranch_execz .LBB0_48
; %bb.45:                               ;   in Loop: Header=BB0_10 Depth=1
	v_add_nc_u32_e32 v9, 0, v118
	s_delay_alu instid0(VALU_DEP_1)
	v_add_nc_u32_e32 v14, 0x80, v9
	ds_load_2addr_stride64_b64 v[10:13], v14 offset1:9
	s_waitcnt lgkmcnt(0)
	s_barrier
	buffer_gl0_inv
	v_max_f32_e32 v9, v12, v12
	v_max_f32_e32 v15, v10, v10
	s_delay_alu instid0(VALU_DEP_1) | instskip(SKIP_3) | instid1(VALU_DEP_1)
	v_max_f32_e32 v9, v15, v9
	ds_bpermute_b32 v15, v24, v9
	s_waitcnt lgkmcnt(0)
	v_max_f32_e32 v15, v15, v15
	v_max_f32_e32 v9, v9, v15
	s_delay_alu instid0(VALU_DEP_1) | instskip(NEXT) | instid1(VALU_DEP_1)
	v_sub_f32_e32 v12, v12, v9
	v_dual_sub_f32 v10, v10, v9 :: v_dual_mul_f32 v15, 0x3fb8aa3b, v12
	s_delay_alu instid0(VALU_DEP_1) | instskip(SKIP_1) | instid1(VALU_DEP_3)
	v_mul_f32_e32 v25, 0x3fb8aa3b, v10
	v_cmp_ngt_f32_e32 vcc_lo, 0xc2ce8ed0, v12
	v_fma_f32 v26, 0x3fb8aa3b, v12, -v15
	v_rndne_f32_e32 v27, v15
	s_delay_alu instid0(VALU_DEP_4) | instskip(SKIP_1) | instid1(VALU_DEP_3)
	v_fma_f32 v28, 0x3fb8aa3b, v10, -v25
	v_rndne_f32_e32 v29, v25
	v_dual_fmac_f32 v26, 0x32a5705f, v12 :: v_dual_sub_f32 v15, v15, v27
	s_delay_alu instid0(VALU_DEP_3) | instskip(NEXT) | instid1(VALU_DEP_2)
	v_fmac_f32_e32 v28, 0x32a5705f, v10
	v_add_f32_e32 v15, v15, v26
	v_cvt_i32_f32_e32 v26, v27
	v_cvt_i32_f32_e32 v27, v29
	s_delay_alu instid0(VALU_DEP_3) | instskip(SKIP_2) | instid1(VALU_DEP_1)
	v_exp_f32_e32 v15, v15
	s_waitcnt_depctr 0xfff
	v_ldexp_f32 v15, v15, v26
	v_cndmask_b32_e32 v15, 0, v15, vcc_lo
	v_sub_f32_e32 v25, v25, v29
	v_cmp_ngt_f32_e32 vcc_lo, 0xc2ce8ed0, v10
	s_delay_alu instid0(VALU_DEP_2) | instskip(NEXT) | instid1(VALU_DEP_1)
	v_add_f32_e32 v25, v25, v28
	v_exp_f32_e32 v25, v25
	s_waitcnt_depctr 0xfff
	v_ldexp_f32 v25, v25, v27
	s_delay_alu instid0(VALU_DEP_1) | instskip(SKIP_3) | instid1(VALU_DEP_2)
	v_cndmask_b32_e32 v25, 0, v25, vcc_lo
	v_cmp_nlt_f32_e32 vcc_lo, 0x42b17218, v12
	v_cndmask_b32_e32 v12, 0x7f800000, v15, vcc_lo
	v_cmp_nlt_f32_e32 vcc_lo, 0x42b17218, v10
	v_dual_mul_f32 v13, v13, v12 :: v_dual_cndmask_b32 v10, 0x7f800000, v25
	s_delay_alu instid0(VALU_DEP_1) | instskip(SKIP_3) | instid1(VALU_DEP_1)
	v_fmac_f32_e32 v13, v11, v10
	ds_bpermute_b32 v11, v24, v13
	s_waitcnt lgkmcnt(0)
	v_add_f32_e32 v11, v13, v11
	v_mov_b32_e32 v13, v11
	ds_store_2addr_stride64_b64 v14, v[10:11], v[12:13] offset1:9
	s_and_saveexec_b32 s5, s3
	s_cbranch_execz .LBB0_47
; %bb.46:                               ;   in Loop: Header=BB0_10 Depth=1
	v_mov_b32_e32 v10, v11
	global_store_b64 v[57:58], v[9:10], off
.LBB0_47:                               ;   in Loop: Header=BB0_10 Depth=1
	s_or_b32 exec_lo, exec_lo, s5
.LBB0_48:                               ;   in Loop: Header=BB0_10 Depth=1
	s_delay_alu instid0(SALU_CYCLE_1)
	s_or_b32 exec_lo, exec_lo, s4
	ds_store_2addr_b32 v119, v16, v17 offset1:2
	ds_store_2addr_b32 v119, v18, v19 offset0:4 offset1:6
	ds_store_2addr_b32 v119, v20, v21 offset0:8 offset1:10
	;; [unrolled: 1-line block ×7, first 2 shown]
	s_waitcnt lgkmcnt(0)
	s_waitcnt_vscnt null, 0x0
	s_barrier
	buffer_gl0_inv
	s_and_saveexec_b32 s6, s1
	s_cbranch_execz .LBB0_126
; %bb.49:                               ;   in Loop: Header=BB0_10 Depth=1
	v_add_nc_u32_e32 v1, s102, v165
	v_or_b32_e32 v2, s86, v92
	s_delay_alu instid0(VALU_DEP_1) | instskip(SKIP_1) | instid1(VALU_DEP_4)
	v_cmp_gt_i32_e32 vcc_lo, s33, v2
	v_mov_b32_e32 v2, 0x47
	v_cmp_gt_i32_e64 s4, s8, v1
	s_delay_alu instid0(VALU_DEP_1) | instskip(NEXT) | instid1(SALU_CYCLE_1)
	s_and_b32 s4, s4, vcc_lo
	s_and_saveexec_b32 s5, s4
	s_cbranch_execz .LBB0_51
; %bb.50:                               ;   in Loop: Header=BB0_10 Depth=1
	v_add_nc_u32_e32 v2, 0, v121
	v_mad_u64_u32 v[10:11], null, v1, s9, v[92:93]
	s_delay_alu instid0(VALU_DEP_2)
	v_add_nc_u32_e32 v8, 0x80, v2
	ds_load_2addr_stride64_b32 v[2:3], v122 offset1:9
	ds_load_2addr_stride64_b32 v[4:5], v8 offset1:9
	ds_load_2addr_stride64_b32 v[6:7], v122 offset0:18 offset1:27
	ds_load_2addr_stride64_b32 v[8:9], v8 offset0:18 offset1:27
	v_lshl_add_u32 v1, v10, 5, v56
	s_waitcnt lgkmcnt(2)
	v_fma_mix_f32 v11, v4, v2, 0 op_sel_hi:[0,1,0]
	v_fma_mix_f32 v2, v4, v2, 0 op_sel:[0,1,0] op_sel_hi:[0,1,0]
	s_delay_alu instid0(VALU_DEP_2) | instskip(NEXT) | instid1(VALU_DEP_2)
	v_fma_mix_f32 v4, v5, v3, v11 op_sel_hi:[0,1,0]
	v_fma_mix_f32 v3, v5, v3, v2 op_sel:[0,1,0] op_sel_hi:[0,1,0]
	v_ashrrev_i32_e32 v2, 31, v1
	s_waitcnt lgkmcnt(0)
	s_delay_alu instid0(VALU_DEP_3) | instskip(NEXT) | instid1(VALU_DEP_3)
	v_fma_mix_f32 v4, v8, v6, v4 op_sel_hi:[0,1,0]
	v_fma_mix_f32 v5, v8, v6, v3 op_sel:[0,1,0] op_sel_hi:[0,1,0]
	s_delay_alu instid0(VALU_DEP_3) | instskip(NEXT) | instid1(VALU_DEP_3)
	v_lshlrev_b64 v[1:2], 3, v[1:2]
	v_fma_mix_f32 v3, v9, v7, v4 op_sel_hi:[0,1,0]
	s_delay_alu instid0(VALU_DEP_3) | instskip(NEXT) | instid1(VALU_DEP_3)
	v_fma_mix_f32 v4, v9, v7, v5 op_sel:[0,1,0] op_sel_hi:[0,1,0]
	v_add_co_u32 v5, s4, s41, v1
	s_delay_alu instid0(VALU_DEP_1)
	v_add_co_ci_u32_e64 v6, s4, s59, v2, s4
	v_mov_b32_e32 v2, 0
	global_store_b64 v[5:6], v[3:4], off
.LBB0_51:                               ;   in Loop: Header=BB0_10 Depth=1
	s_or_b32 exec_lo, exec_lo, s5
	s_mov_b32 s5, -1
	s_mov_b32 s7, exec_lo
	v_cmpx_gt_i32_e32 0x47, v2
; %bb.52:                               ;   in Loop: Header=BB0_10 Depth=1
	v_cmp_eq_u32_e64 s4, 0, v2
	s_delay_alu instid0(VALU_DEP_1)
	s_or_not1_b32 s5, s4, exec_lo
; %bb.53:                               ;   in Loop: Header=BB0_10 Depth=1
	s_or_b32 exec_lo, exec_lo, s7
	s_delay_alu instid0(SALU_CYCLE_1)
	s_and_b32 exec_lo, exec_lo, s5
	s_cbranch_execz .LBB0_126
; %bb.54:                               ;   in Loop: Header=BB0_10 Depth=1
	v_add_nc_u32_e32 v1, s102, v166
	v_or_b32_e32 v2, s86, v75
	s_delay_alu instid0(VALU_DEP_1) | instskip(SKIP_1) | instid1(VALU_DEP_4)
	v_cmp_gt_i32_e64 s5, s33, v2
	v_mov_b32_e32 v2, 0x47
	v_cmp_gt_i32_e64 s4, s8, v1
	s_delay_alu instid0(VALU_DEP_1) | instskip(NEXT) | instid1(SALU_CYCLE_1)
	s_and_b32 s4, s4, s5
	s_and_saveexec_b32 s5, s4
	s_cbranch_execz .LBB0_56
; %bb.55:                               ;   in Loop: Header=BB0_10 Depth=1
	v_add_nc_u32_e32 v2, 0, v123
	v_mad_u64_u32 v[10:11], null, v1, s9, v[75:76]
	s_delay_alu instid0(VALU_DEP_2)
	v_add_nc_u32_e32 v8, 0x80, v2
	ds_load_2addr_stride64_b32 v[2:3], v124 offset1:9
	ds_load_2addr_stride64_b32 v[4:5], v8 offset1:9
	ds_load_2addr_stride64_b32 v[6:7], v124 offset0:18 offset1:27
	ds_load_2addr_stride64_b32 v[8:9], v8 offset0:18 offset1:27
	v_lshl_add_u32 v1, v10, 5, v56
	s_waitcnt lgkmcnt(2)
	v_fma_mix_f32 v11, v4, v2, 0 op_sel_hi:[0,1,0]
	v_fma_mix_f32 v2, v4, v2, 0 op_sel:[0,1,0] op_sel_hi:[0,1,0]
	s_delay_alu instid0(VALU_DEP_2) | instskip(NEXT) | instid1(VALU_DEP_2)
	v_fma_mix_f32 v4, v5, v3, v11 op_sel_hi:[0,1,0]
	v_fma_mix_f32 v3, v5, v3, v2 op_sel:[0,1,0] op_sel_hi:[0,1,0]
	v_ashrrev_i32_e32 v2, 31, v1
	s_waitcnt lgkmcnt(0)
	s_delay_alu instid0(VALU_DEP_3) | instskip(NEXT) | instid1(VALU_DEP_3)
	v_fma_mix_f32 v4, v8, v6, v4 op_sel_hi:[0,1,0]
	v_fma_mix_f32 v5, v8, v6, v3 op_sel:[0,1,0] op_sel_hi:[0,1,0]
	s_delay_alu instid0(VALU_DEP_3) | instskip(NEXT) | instid1(VALU_DEP_3)
	v_lshlrev_b64 v[1:2], 3, v[1:2]
	v_fma_mix_f32 v3, v9, v7, v4 op_sel_hi:[0,1,0]
	s_delay_alu instid0(VALU_DEP_3) | instskip(NEXT) | instid1(VALU_DEP_3)
	v_fma_mix_f32 v4, v9, v7, v5 op_sel:[0,1,0] op_sel_hi:[0,1,0]
	v_add_co_u32 v5, s4, s41, v1
	s_delay_alu instid0(VALU_DEP_1)
	v_add_co_ci_u32_e64 v6, s4, s59, v2, s4
	v_mov_b32_e32 v2, 0
	global_store_b64 v[5:6], v[3:4], off
.LBB0_56:                               ;   in Loop: Header=BB0_10 Depth=1
	s_or_b32 exec_lo, exec_lo, s5
	s_mov_b32 s5, -1
	s_mov_b32 s7, exec_lo
	v_cmpx_gt_i32_e32 0x47, v2
; %bb.57:                               ;   in Loop: Header=BB0_10 Depth=1
	v_cmp_eq_u32_e64 s4, 0, v2
	s_delay_alu instid0(VALU_DEP_1)
	s_or_not1_b32 s5, s4, exec_lo
; %bb.58:                               ;   in Loop: Header=BB0_10 Depth=1
	s_or_b32 exec_lo, exec_lo, s7
	s_delay_alu instid0(SALU_CYCLE_1)
	s_and_b32 exec_lo, exec_lo, s5
	s_cbranch_execz .LBB0_126
; %bb.59:                               ;   in Loop: Header=BB0_10 Depth=1
	v_add_nc_u32_e32 v1, s102, v167
	v_or_b32_e32 v2, s86, v76
	s_delay_alu instid0(VALU_DEP_1) | instskip(SKIP_1) | instid1(VALU_DEP_4)
	v_cmp_gt_i32_e64 s5, s33, v2
	v_mov_b32_e32 v2, 0x47
	v_cmp_gt_i32_e64 s4, s8, v1
	s_delay_alu instid0(VALU_DEP_1) | instskip(NEXT) | instid1(SALU_CYCLE_1)
	s_and_b32 s4, s4, s5
	;; [unrolled: 56-line block ×7, first 2 shown]
	s_and_saveexec_b32 s5, s4
	s_cbranch_execz .LBB0_86
; %bb.85:                               ;   in Loop: Header=BB0_10 Depth=1
	v_add_nc_u32_e32 v2, 0, v135
	v_mad_u64_u32 v[10:11], null, v1, s9, v[81:82]
	s_delay_alu instid0(VALU_DEP_2)
	v_add_nc_u32_e32 v8, 0x80, v2
	ds_load_2addr_stride64_b32 v[2:3], v136 offset1:9
	ds_load_2addr_stride64_b32 v[4:5], v8 offset1:9
	ds_load_2addr_stride64_b32 v[6:7], v136 offset0:18 offset1:27
	ds_load_2addr_stride64_b32 v[8:9], v8 offset0:18 offset1:27
	v_lshl_add_u32 v1, v10, 5, v56
	s_waitcnt lgkmcnt(2)
	v_fma_mix_f32 v11, v4, v2, 0 op_sel_hi:[0,1,0]
	v_fma_mix_f32 v2, v4, v2, 0 op_sel:[0,1,0] op_sel_hi:[0,1,0]
	s_delay_alu instid0(VALU_DEP_2) | instskip(NEXT) | instid1(VALU_DEP_2)
	v_fma_mix_f32 v4, v5, v3, v11 op_sel_hi:[0,1,0]
	v_fma_mix_f32 v3, v5, v3, v2 op_sel:[0,1,0] op_sel_hi:[0,1,0]
	v_ashrrev_i32_e32 v2, 31, v1
	s_waitcnt lgkmcnt(0)
	s_delay_alu instid0(VALU_DEP_3) | instskip(NEXT) | instid1(VALU_DEP_3)
	v_fma_mix_f32 v4, v8, v6, v4 op_sel_hi:[0,1,0]
	v_fma_mix_f32 v5, v8, v6, v3 op_sel:[0,1,0] op_sel_hi:[0,1,0]
	s_delay_alu instid0(VALU_DEP_3) | instskip(NEXT) | instid1(VALU_DEP_3)
	v_lshlrev_b64 v[1:2], 3, v[1:2]
	v_fma_mix_f32 v3, v9, v7, v4 op_sel_hi:[0,1,0]
	s_delay_alu instid0(VALU_DEP_3) | instskip(NEXT) | instid1(VALU_DEP_3)
	v_fma_mix_f32 v4, v9, v7, v5 op_sel:[0,1,0] op_sel_hi:[0,1,0]
	v_add_co_u32 v5, s4, s41, v1
	s_delay_alu instid0(VALU_DEP_1)
	v_add_co_ci_u32_e64 v6, s4, s59, v2, s4
	v_mov_b32_e32 v2, 0
	global_store_b64 v[5:6], v[3:4], off
.LBB0_86:                               ;   in Loop: Header=BB0_10 Depth=1
	s_or_b32 exec_lo, exec_lo, s5
	s_mov_b32 s5, -1
	s_mov_b32 s7, exec_lo
	v_cmpx_gt_i32_e32 0x47, v2
; %bb.87:                               ;   in Loop: Header=BB0_10 Depth=1
	v_cmp_eq_u32_e64 s4, 0, v2
	s_delay_alu instid0(VALU_DEP_1)
	s_or_not1_b32 s5, s4, exec_lo
; %bb.88:                               ;   in Loop: Header=BB0_10 Depth=1
	s_or_b32 exec_lo, exec_lo, s7
	s_delay_alu instid0(SALU_CYCLE_1)
	s_and_b32 exec_lo, exec_lo, s5
	s_cbranch_execz .LBB0_126
; %bb.89:                               ;   in Loop: Header=BB0_10 Depth=1
	v_dual_mov_b32 v2, 0x47 :: v_dual_add_nc_u32 v1, s102, v137
	s_delay_alu instid0(VALU_DEP_1) | instskip(NEXT) | instid1(VALU_DEP_1)
	v_cmp_gt_i32_e64 s4, s8, v1
	s_and_b32 s5, s4, vcc_lo
	s_delay_alu instid0(SALU_CYCLE_1)
	s_and_saveexec_b32 s4, s5
	s_cbranch_execz .LBB0_91
; %bb.90:                               ;   in Loop: Header=BB0_10 Depth=1
	v_add_nc_u32_e32 v2, 0, v138
	v_mad_u64_u32 v[10:11], null, v1, s9, v[92:93]
	s_delay_alu instid0(VALU_DEP_2)
	v_add_nc_u32_e32 v8, 0x80, v2
	ds_load_2addr_stride64_b32 v[2:3], v139 offset1:9
	ds_load_2addr_stride64_b32 v[4:5], v8 offset1:9
	ds_load_2addr_stride64_b32 v[6:7], v139 offset0:18 offset1:27
	ds_load_2addr_stride64_b32 v[8:9], v8 offset0:18 offset1:27
	v_lshl_add_u32 v1, v10, 5, v56
	s_waitcnt lgkmcnt(2)
	v_fma_mix_f32 v11, v4, v2, 0 op_sel_hi:[0,1,0]
	v_fma_mix_f32 v2, v4, v2, 0 op_sel:[0,1,0] op_sel_hi:[0,1,0]
	s_delay_alu instid0(VALU_DEP_2) | instskip(NEXT) | instid1(VALU_DEP_2)
	v_fma_mix_f32 v4, v5, v3, v11 op_sel_hi:[0,1,0]
	v_fma_mix_f32 v3, v5, v3, v2 op_sel:[0,1,0] op_sel_hi:[0,1,0]
	v_ashrrev_i32_e32 v2, 31, v1
	s_waitcnt lgkmcnt(0)
	s_delay_alu instid0(VALU_DEP_3) | instskip(NEXT) | instid1(VALU_DEP_3)
	v_fma_mix_f32 v4, v8, v6, v4 op_sel_hi:[0,1,0]
	v_fma_mix_f32 v5, v8, v6, v3 op_sel:[0,1,0] op_sel_hi:[0,1,0]
	s_delay_alu instid0(VALU_DEP_3) | instskip(NEXT) | instid1(VALU_DEP_3)
	v_lshlrev_b64 v[1:2], 3, v[1:2]
	v_fma_mix_f32 v3, v9, v7, v4 op_sel_hi:[0,1,0]
	s_delay_alu instid0(VALU_DEP_3) | instskip(NEXT) | instid1(VALU_DEP_3)
	v_fma_mix_f32 v4, v9, v7, v5 op_sel:[0,1,0] op_sel_hi:[0,1,0]
	v_add_co_u32 v5, vcc_lo, s41, v1
	s_delay_alu instid0(VALU_DEP_4)
	v_add_co_ci_u32_e32 v6, vcc_lo, s59, v2, vcc_lo
	v_mov_b32_e32 v2, 0
	global_store_b64 v[5:6], v[3:4], off
.LBB0_91:                               ;   in Loop: Header=BB0_10 Depth=1
	s_or_b32 exec_lo, exec_lo, s4
	s_mov_b32 s4, -1
	s_mov_b32 s5, exec_lo
	v_cmpx_gt_i32_e32 0x47, v2
; %bb.92:                               ;   in Loop: Header=BB0_10 Depth=1
	v_cmp_eq_u32_e32 vcc_lo, 0, v2
	s_or_not1_b32 s4, vcc_lo, exec_lo
; %bb.93:                               ;   in Loop: Header=BB0_10 Depth=1
	s_or_b32 exec_lo, exec_lo, s5
	s_delay_alu instid0(SALU_CYCLE_1)
	s_and_b32 exec_lo, exec_lo, s4
	s_cbranch_execz .LBB0_126
; %bb.94:                               ;   in Loop: Header=BB0_10 Depth=1
	v_add_nc_u32_e32 v1, s102, v173
	v_or_b32_e32 v2, s86, v82
	s_delay_alu instid0(VALU_DEP_1) | instskip(SKIP_1) | instid1(VALU_DEP_4)
	v_cmp_gt_i32_e64 s4, s33, v2
	v_mov_b32_e32 v2, 0x47
	v_cmp_gt_i32_e32 vcc_lo, s8, v1
	s_delay_alu instid0(VALU_DEP_3) | instskip(NEXT) | instid1(SALU_CYCLE_1)
	s_and_b32 s5, vcc_lo, s4
	s_and_saveexec_b32 s4, s5
	s_cbranch_execz .LBB0_96
; %bb.95:                               ;   in Loop: Header=BB0_10 Depth=1
	scratch_load_b32 v2, off, off           ; 4-byte Folded Reload
	v_mad_u64_u32 v[10:11], null, v1, s9, v[82:83]
	s_delay_alu instid0(VALU_DEP_1) | instskip(SKIP_2) | instid1(VALU_DEP_1)
	v_lshl_add_u32 v1, v10, 5, v56
	s_waitcnt vmcnt(0)
	v_add_nc_u32_e32 v2, 0, v2
	v_add_nc_u32_e32 v8, 0x80, v2
	ds_load_2addr_stride64_b32 v[2:3], v141 offset1:9
	ds_load_2addr_stride64_b32 v[4:5], v8 offset1:9
	ds_load_2addr_stride64_b32 v[6:7], v141 offset0:18 offset1:27
	ds_load_2addr_stride64_b32 v[8:9], v8 offset0:18 offset1:27
	s_waitcnt lgkmcnt(2)
	v_fma_mix_f32 v11, v4, v2, 0 op_sel_hi:[0,1,0]
	v_fma_mix_f32 v2, v4, v2, 0 op_sel:[0,1,0] op_sel_hi:[0,1,0]
	s_delay_alu instid0(VALU_DEP_2) | instskip(NEXT) | instid1(VALU_DEP_2)
	v_fma_mix_f32 v4, v5, v3, v11 op_sel_hi:[0,1,0]
	v_fma_mix_f32 v3, v5, v3, v2 op_sel:[0,1,0] op_sel_hi:[0,1,0]
	v_ashrrev_i32_e32 v2, 31, v1
	s_waitcnt lgkmcnt(0)
	s_delay_alu instid0(VALU_DEP_3) | instskip(NEXT) | instid1(VALU_DEP_3)
	v_fma_mix_f32 v4, v8, v6, v4 op_sel_hi:[0,1,0]
	v_fma_mix_f32 v5, v8, v6, v3 op_sel:[0,1,0] op_sel_hi:[0,1,0]
	s_delay_alu instid0(VALU_DEP_3) | instskip(NEXT) | instid1(VALU_DEP_3)
	v_lshlrev_b64 v[1:2], 3, v[1:2]
	v_fma_mix_f32 v3, v9, v7, v4 op_sel_hi:[0,1,0]
	s_delay_alu instid0(VALU_DEP_3) | instskip(NEXT) | instid1(VALU_DEP_3)
	v_fma_mix_f32 v4, v9, v7, v5 op_sel:[0,1,0] op_sel_hi:[0,1,0]
	v_add_co_u32 v5, vcc_lo, s41, v1
	s_delay_alu instid0(VALU_DEP_4)
	v_add_co_ci_u32_e32 v6, vcc_lo, s59, v2, vcc_lo
	v_mov_b32_e32 v2, 0
	global_store_b64 v[5:6], v[3:4], off
.LBB0_96:                               ;   in Loop: Header=BB0_10 Depth=1
	s_or_b32 exec_lo, exec_lo, s4
	s_mov_b32 s4, -1
	s_mov_b32 s5, exec_lo
	v_cmpx_gt_i32_e32 0x47, v2
; %bb.97:                               ;   in Loop: Header=BB0_10 Depth=1
	v_cmp_eq_u32_e32 vcc_lo, 0, v2
	s_or_not1_b32 s4, vcc_lo, exec_lo
; %bb.98:                               ;   in Loop: Header=BB0_10 Depth=1
	s_or_b32 exec_lo, exec_lo, s5
	s_delay_alu instid0(SALU_CYCLE_1)
	s_and_b32 exec_lo, exec_lo, s4
	s_cbranch_execz .LBB0_126
; %bb.99:                               ;   in Loop: Header=BB0_10 Depth=1
	v_add_nc_u32_e32 v1, s102, v174
	v_or_b32_e32 v2, s86, v83
	s_delay_alu instid0(VALU_DEP_1) | instskip(SKIP_1) | instid1(VALU_DEP_4)
	v_cmp_gt_i32_e64 s4, s33, v2
	v_mov_b32_e32 v2, 0x47
	v_cmp_gt_i32_e32 vcc_lo, s8, v1
	s_delay_alu instid0(VALU_DEP_3) | instskip(NEXT) | instid1(SALU_CYCLE_1)
	s_and_b32 s5, vcc_lo, s4
	s_and_saveexec_b32 s4, s5
	s_cbranch_execz .LBB0_101
; %bb.100:                              ;   in Loop: Header=BB0_10 Depth=1
	s_clause 0x1
	scratch_load_b32 v2, off, off offset:4
	scratch_load_b32 v6, off, off offset:8
	v_mad_u64_u32 v[10:11], null, v1, s9, v[83:84]
	s_delay_alu instid0(VALU_DEP_1) | instskip(SKIP_2) | instid1(VALU_DEP_1)
	v_lshl_add_u32 v1, v10, 5, v56
	s_waitcnt vmcnt(1)
	v_add_nc_u32_e32 v2, 0, v2
	v_add_nc_u32_e32 v8, 0x80, v2
	s_waitcnt vmcnt(0)
	ds_load_2addr_stride64_b32 v[2:3], v6 offset1:9
	ds_load_2addr_stride64_b32 v[4:5], v8 offset1:9
	ds_load_2addr_stride64_b32 v[6:7], v6 offset0:18 offset1:27
	ds_load_2addr_stride64_b32 v[8:9], v8 offset0:18 offset1:27
	s_waitcnt lgkmcnt(2)
	v_fma_mix_f32 v11, v4, v2, 0 op_sel_hi:[0,1,0]
	v_fma_mix_f32 v2, v4, v2, 0 op_sel:[0,1,0] op_sel_hi:[0,1,0]
	s_delay_alu instid0(VALU_DEP_2) | instskip(NEXT) | instid1(VALU_DEP_2)
	v_fma_mix_f32 v4, v5, v3, v11 op_sel_hi:[0,1,0]
	v_fma_mix_f32 v3, v5, v3, v2 op_sel:[0,1,0] op_sel_hi:[0,1,0]
	v_ashrrev_i32_e32 v2, 31, v1
	s_waitcnt lgkmcnt(0)
	s_delay_alu instid0(VALU_DEP_3) | instskip(NEXT) | instid1(VALU_DEP_3)
	v_fma_mix_f32 v4, v8, v6, v4 op_sel_hi:[0,1,0]
	v_fma_mix_f32 v5, v8, v6, v3 op_sel:[0,1,0] op_sel_hi:[0,1,0]
	s_delay_alu instid0(VALU_DEP_3) | instskip(NEXT) | instid1(VALU_DEP_3)
	v_lshlrev_b64 v[1:2], 3, v[1:2]
	v_fma_mix_f32 v3, v9, v7, v4 op_sel_hi:[0,1,0]
	s_delay_alu instid0(VALU_DEP_3) | instskip(NEXT) | instid1(VALU_DEP_3)
	v_fma_mix_f32 v4, v9, v7, v5 op_sel:[0,1,0] op_sel_hi:[0,1,0]
	v_add_co_u32 v5, vcc_lo, s41, v1
	s_delay_alu instid0(VALU_DEP_4)
	v_add_co_ci_u32_e32 v6, vcc_lo, s59, v2, vcc_lo
	v_mov_b32_e32 v2, 0
	global_store_b64 v[5:6], v[3:4], off
.LBB0_101:                              ;   in Loop: Header=BB0_10 Depth=1
	s_or_b32 exec_lo, exec_lo, s4
	s_mov_b32 s4, -1
	s_mov_b32 s5, exec_lo
	v_cmpx_gt_i32_e32 0x47, v2
; %bb.102:                              ;   in Loop: Header=BB0_10 Depth=1
	v_cmp_eq_u32_e32 vcc_lo, 0, v2
	s_or_not1_b32 s4, vcc_lo, exec_lo
; %bb.103:                              ;   in Loop: Header=BB0_10 Depth=1
	s_or_b32 exec_lo, exec_lo, s5
	s_delay_alu instid0(SALU_CYCLE_1)
	s_and_b32 exec_lo, exec_lo, s4
	s_cbranch_execz .LBB0_126
; %bb.104:                              ;   in Loop: Header=BB0_10 Depth=1
	v_add_nc_u32_e32 v1, s102, v175
	v_or_b32_e32 v2, s86, v84
	s_delay_alu instid0(VALU_DEP_1) | instskip(SKIP_1) | instid1(VALU_DEP_4)
	v_cmp_gt_i32_e64 s4, s33, v2
	v_mov_b32_e32 v2, 0x47
	v_cmp_gt_i32_e32 vcc_lo, s8, v1
	s_delay_alu instid0(VALU_DEP_3) | instskip(NEXT) | instid1(SALU_CYCLE_1)
	s_and_b32 s5, vcc_lo, s4
	s_and_saveexec_b32 s4, s5
	s_cbranch_execz .LBB0_106
; %bb.105:                              ;   in Loop: Header=BB0_10 Depth=1
	s_clause 0x1
	scratch_load_b32 v2, off, off offset:12
	scratch_load_b32 v6, off, off offset:16
	v_mad_u64_u32 v[10:11], null, v1, s9, v[84:85]
	s_delay_alu instid0(VALU_DEP_1) | instskip(SKIP_2) | instid1(VALU_DEP_1)
	v_lshl_add_u32 v1, v10, 5, v56
	s_waitcnt vmcnt(1)
	v_add_nc_u32_e32 v2, 0, v2
	v_add_nc_u32_e32 v8, 0x80, v2
	s_waitcnt vmcnt(0)
	ds_load_2addr_stride64_b32 v[2:3], v6 offset1:9
	ds_load_2addr_stride64_b32 v[4:5], v8 offset1:9
	ds_load_2addr_stride64_b32 v[6:7], v6 offset0:18 offset1:27
	ds_load_2addr_stride64_b32 v[8:9], v8 offset0:18 offset1:27
	s_waitcnt lgkmcnt(2)
	v_fma_mix_f32 v11, v4, v2, 0 op_sel_hi:[0,1,0]
	v_fma_mix_f32 v2, v4, v2, 0 op_sel:[0,1,0] op_sel_hi:[0,1,0]
	s_delay_alu instid0(VALU_DEP_2) | instskip(NEXT) | instid1(VALU_DEP_2)
	v_fma_mix_f32 v4, v5, v3, v11 op_sel_hi:[0,1,0]
	v_fma_mix_f32 v3, v5, v3, v2 op_sel:[0,1,0] op_sel_hi:[0,1,0]
	v_ashrrev_i32_e32 v2, 31, v1
	s_waitcnt lgkmcnt(0)
	s_delay_alu instid0(VALU_DEP_3) | instskip(NEXT) | instid1(VALU_DEP_3)
	v_fma_mix_f32 v4, v8, v6, v4 op_sel_hi:[0,1,0]
	v_fma_mix_f32 v5, v8, v6, v3 op_sel:[0,1,0] op_sel_hi:[0,1,0]
	s_delay_alu instid0(VALU_DEP_3) | instskip(NEXT) | instid1(VALU_DEP_3)
	v_lshlrev_b64 v[1:2], 3, v[1:2]
	v_fma_mix_f32 v3, v9, v7, v4 op_sel_hi:[0,1,0]
	s_delay_alu instid0(VALU_DEP_3) | instskip(NEXT) | instid1(VALU_DEP_3)
	v_fma_mix_f32 v4, v9, v7, v5 op_sel:[0,1,0] op_sel_hi:[0,1,0]
	v_add_co_u32 v5, vcc_lo, s41, v1
	s_delay_alu instid0(VALU_DEP_4)
	v_add_co_ci_u32_e32 v6, vcc_lo, s59, v2, vcc_lo
	v_mov_b32_e32 v2, 0
	global_store_b64 v[5:6], v[3:4], off
.LBB0_106:                              ;   in Loop: Header=BB0_10 Depth=1
	s_or_b32 exec_lo, exec_lo, s4
	s_mov_b32 s4, -1
	s_mov_b32 s5, exec_lo
	v_cmpx_gt_i32_e32 0x47, v2
; %bb.107:                              ;   in Loop: Header=BB0_10 Depth=1
	v_cmp_eq_u32_e32 vcc_lo, 0, v2
	s_or_not1_b32 s4, vcc_lo, exec_lo
; %bb.108:                              ;   in Loop: Header=BB0_10 Depth=1
	s_or_b32 exec_lo, exec_lo, s5
	s_delay_alu instid0(SALU_CYCLE_1)
	s_and_b32 exec_lo, exec_lo, s4
	s_cbranch_execz .LBB0_126
; %bb.109:                              ;   in Loop: Header=BB0_10 Depth=1
	v_add_nc_u32_e32 v1, s102, v176
	v_or_b32_e32 v2, s86, v85
	s_delay_alu instid0(VALU_DEP_1) | instskip(SKIP_1) | instid1(VALU_DEP_4)
	v_cmp_gt_i32_e64 s4, s33, v2
	v_mov_b32_e32 v2, 0x47
	v_cmp_gt_i32_e32 vcc_lo, s8, v1
	s_delay_alu instid0(VALU_DEP_3) | instskip(NEXT) | instid1(SALU_CYCLE_1)
	s_and_b32 s5, vcc_lo, s4
	s_and_saveexec_b32 s4, s5
	s_cbranch_execz .LBB0_111
; %bb.110:                              ;   in Loop: Header=BB0_10 Depth=1
	scratch_load_b32 v2, off, off offset:20 ; 4-byte Folded Reload
	v_mad_u64_u32 v[10:11], null, v1, s9, v[85:86]
	s_delay_alu instid0(VALU_DEP_1) | instskip(SKIP_2) | instid1(VALU_DEP_1)
	v_lshl_add_u32 v1, v10, 5, v56
	s_waitcnt vmcnt(0)
	v_add_nc_u32_e32 v2, 0, v2
	v_add_nc_u32_e32 v8, 0x80, v2
	ds_load_2addr_stride64_b32 v[2:3], v88 offset1:9
	ds_load_2addr_stride64_b32 v[4:5], v8 offset1:9
	ds_load_2addr_stride64_b32 v[6:7], v88 offset0:18 offset1:27
	ds_load_2addr_stride64_b32 v[8:9], v8 offset0:18 offset1:27
	s_waitcnt lgkmcnt(2)
	v_fma_mix_f32 v11, v4, v2, 0 op_sel_hi:[0,1,0]
	v_fma_mix_f32 v2, v4, v2, 0 op_sel:[0,1,0] op_sel_hi:[0,1,0]
	s_delay_alu instid0(VALU_DEP_2) | instskip(NEXT) | instid1(VALU_DEP_2)
	v_fma_mix_f32 v4, v5, v3, v11 op_sel_hi:[0,1,0]
	v_fma_mix_f32 v3, v5, v3, v2 op_sel:[0,1,0] op_sel_hi:[0,1,0]
	v_ashrrev_i32_e32 v2, 31, v1
	s_waitcnt lgkmcnt(0)
	s_delay_alu instid0(VALU_DEP_3) | instskip(NEXT) | instid1(VALU_DEP_3)
	v_fma_mix_f32 v4, v8, v6, v4 op_sel_hi:[0,1,0]
	v_fma_mix_f32 v5, v8, v6, v3 op_sel:[0,1,0] op_sel_hi:[0,1,0]
	s_delay_alu instid0(VALU_DEP_3) | instskip(NEXT) | instid1(VALU_DEP_3)
	v_lshlrev_b64 v[1:2], 3, v[1:2]
	v_fma_mix_f32 v3, v9, v7, v4 op_sel_hi:[0,1,0]
	s_delay_alu instid0(VALU_DEP_3) | instskip(NEXT) | instid1(VALU_DEP_3)
	v_fma_mix_f32 v4, v9, v7, v5 op_sel:[0,1,0] op_sel_hi:[0,1,0]
	v_add_co_u32 v5, vcc_lo, s41, v1
	s_delay_alu instid0(VALU_DEP_4)
	v_add_co_ci_u32_e32 v6, vcc_lo, s59, v2, vcc_lo
	v_mov_b32_e32 v2, 0
	global_store_b64 v[5:6], v[3:4], off
.LBB0_111:                              ;   in Loop: Header=BB0_10 Depth=1
	s_or_b32 exec_lo, exec_lo, s4
	s_mov_b32 s4, -1
	s_mov_b32 s5, exec_lo
	v_cmpx_gt_i32_e32 0x47, v2
; %bb.112:                              ;   in Loop: Header=BB0_10 Depth=1
	v_cmp_eq_u32_e32 vcc_lo, 0, v2
	s_or_not1_b32 s4, vcc_lo, exec_lo
; %bb.113:                              ;   in Loop: Header=BB0_10 Depth=1
	s_or_b32 exec_lo, exec_lo, s5
	s_delay_alu instid0(SALU_CYCLE_1)
	s_and_b32 exec_lo, exec_lo, s4
	s_cbranch_execz .LBB0_126
; %bb.114:                              ;   in Loop: Header=BB0_10 Depth=1
	scratch_load_b32 v1, off, off offset:24 ; 4-byte Folded Reload
	v_or_b32_e32 v2, s86, v86
	s_delay_alu instid0(VALU_DEP_1) | instskip(SKIP_2) | instid1(VALU_DEP_1)
	v_cmp_gt_i32_e64 s4, s33, v2
	s_waitcnt vmcnt(0)
	v_dual_mov_b32 v2, 0x47 :: v_dual_add_nc_u32 v1, s102, v1
	v_cmp_gt_i32_e32 vcc_lo, s8, v1
	s_delay_alu instid0(VALU_DEP_3) | instskip(NEXT) | instid1(SALU_CYCLE_1)
	s_and_b32 s5, vcc_lo, s4
	s_and_saveexec_b32 s4, s5
	s_cbranch_execz .LBB0_116
; %bb.115:                              ;   in Loop: Header=BB0_10 Depth=1
	scratch_load_b32 v2, off, off offset:36 ; 4-byte Folded Reload
	v_mad_u64_u32 v[10:11], null, v1, s9, v[86:87]
	s_delay_alu instid0(VALU_DEP_1) | instskip(SKIP_2) | instid1(VALU_DEP_1)
	v_lshl_add_u32 v1, v10, 5, v56
	s_waitcnt vmcnt(0)
	v_add_nc_u32_e32 v2, 0, v2
	v_add_nc_u32_e32 v8, 0x80, v2
	ds_load_2addr_stride64_b32 v[2:3], v87 offset1:9
	ds_load_2addr_stride64_b32 v[4:5], v8 offset1:9
	ds_load_2addr_stride64_b32 v[6:7], v87 offset0:18 offset1:27
	ds_load_2addr_stride64_b32 v[8:9], v8 offset0:18 offset1:27
	s_waitcnt lgkmcnt(2)
	v_fma_mix_f32 v11, v4, v2, 0 op_sel_hi:[0,1,0]
	v_fma_mix_f32 v2, v4, v2, 0 op_sel:[0,1,0] op_sel_hi:[0,1,0]
	s_delay_alu instid0(VALU_DEP_2) | instskip(NEXT) | instid1(VALU_DEP_2)
	v_fma_mix_f32 v4, v5, v3, v11 op_sel_hi:[0,1,0]
	v_fma_mix_f32 v3, v5, v3, v2 op_sel:[0,1,0] op_sel_hi:[0,1,0]
	v_ashrrev_i32_e32 v2, 31, v1
	s_waitcnt lgkmcnt(0)
	s_delay_alu instid0(VALU_DEP_3) | instskip(NEXT) | instid1(VALU_DEP_3)
	v_fma_mix_f32 v4, v8, v6, v4 op_sel_hi:[0,1,0]
	v_fma_mix_f32 v5, v8, v6, v3 op_sel:[0,1,0] op_sel_hi:[0,1,0]
	s_delay_alu instid0(VALU_DEP_3) | instskip(NEXT) | instid1(VALU_DEP_3)
	v_lshlrev_b64 v[1:2], 3, v[1:2]
	v_fma_mix_f32 v3, v9, v7, v4 op_sel_hi:[0,1,0]
	s_delay_alu instid0(VALU_DEP_3) | instskip(NEXT) | instid1(VALU_DEP_3)
	v_fma_mix_f32 v4, v9, v7, v5 op_sel:[0,1,0] op_sel_hi:[0,1,0]
	v_add_co_u32 v5, vcc_lo, s41, v1
	s_delay_alu instid0(VALU_DEP_4)
	v_add_co_ci_u32_e32 v6, vcc_lo, s59, v2, vcc_lo
	v_mov_b32_e32 v2, 0
	global_store_b64 v[5:6], v[3:4], off
.LBB0_116:                              ;   in Loop: Header=BB0_10 Depth=1
	s_or_b32 exec_lo, exec_lo, s4
	s_mov_b32 s4, -1
	s_mov_b32 s5, exec_lo
	v_cmpx_gt_i32_e32 0x47, v2
; %bb.117:                              ;   in Loop: Header=BB0_10 Depth=1
	v_cmp_eq_u32_e32 vcc_lo, 0, v2
	s_or_not1_b32 s4, vcc_lo, exec_lo
; %bb.118:                              ;   in Loop: Header=BB0_10 Depth=1
	s_or_b32 exec_lo, exec_lo, s5
	s_delay_alu instid0(SALU_CYCLE_1)
	s_and_b32 exec_lo, exec_lo, s4
	s_cbranch_execz .LBB0_126
; %bb.119:                              ;   in Loop: Header=BB0_10 Depth=1
	s_clause 0x1
	scratch_load_b32 v1, off, off offset:40
	scratch_load_b64 v[2:3], off, off offset:28
	s_waitcnt vmcnt(1)
	v_add_nc_u32_e32 v1, s102, v1
	s_waitcnt vmcnt(0)
	v_or_b32_e32 v2, s86, v2
	s_delay_alu instid0(VALU_DEP_1) | instskip(SKIP_2) | instid1(VALU_DEP_3)
	v_cmp_gt_i32_e64 s4, s33, v2
	v_mov_b32_e32 v2, 0x47
	v_cmp_gt_i32_e32 vcc_lo, s8, v1
	s_and_b32 s5, vcc_lo, s4
	s_delay_alu instid0(SALU_CYCLE_1)
	s_and_saveexec_b32 s4, s5
	s_cbranch_execz .LBB0_121
; %bb.120:                              ;   in Loop: Header=BB0_10 Depth=1
	s_clause 0x1
	scratch_load_b32 v2, off, off offset:52
	scratch_load_b32 v6, off, off offset:56
	s_waitcnt vmcnt(1)
	v_add_nc_u32_e32 v2, 0, v2
	s_delay_alu instid0(VALU_DEP_1)
	v_add_nc_u32_e32 v8, 0x80, v2
	s_waitcnt vmcnt(0)
	ds_load_2addr_stride64_b32 v[2:3], v6 offset1:9
	ds_load_2addr_stride64_b32 v[4:5], v8 offset1:9
	ds_load_2addr_stride64_b32 v[6:7], v6 offset0:18 offset1:27
	ds_load_2addr_stride64_b32 v[8:9], v8 offset0:18 offset1:27
	scratch_load_b64 v[12:13], off, off offset:28 ; 8-byte Folded Reload
	s_waitcnt vmcnt(0)
	v_mad_u64_u32 v[10:11], null, v1, s9, v[12:13]
	s_waitcnt lgkmcnt(2)
	v_fma_mix_f32 v11, v4, v2, 0 op_sel_hi:[0,1,0]
	v_fma_mix_f32 v2, v4, v2, 0 op_sel:[0,1,0] op_sel_hi:[0,1,0]
	s_delay_alu instid0(VALU_DEP_2) | instskip(NEXT) | instid1(VALU_DEP_4)
	v_fma_mix_f32 v4, v5, v3, v11 op_sel_hi:[0,1,0]
	v_lshl_add_u32 v1, v10, 5, v56
	s_delay_alu instid0(VALU_DEP_3) | instskip(SKIP_1) | instid1(VALU_DEP_3)
	v_fma_mix_f32 v3, v5, v3, v2 op_sel:[0,1,0] op_sel_hi:[0,1,0]
	s_waitcnt lgkmcnt(0)
	v_fma_mix_f32 v4, v8, v6, v4 op_sel_hi:[0,1,0]
	s_delay_alu instid0(VALU_DEP_3) | instskip(NEXT) | instid1(VALU_DEP_3)
	v_ashrrev_i32_e32 v2, 31, v1
	v_fma_mix_f32 v5, v8, v6, v3 op_sel:[0,1,0] op_sel_hi:[0,1,0]
	s_delay_alu instid0(VALU_DEP_3) | instskip(NEXT) | instid1(VALU_DEP_3)
	v_fma_mix_f32 v3, v9, v7, v4 op_sel_hi:[0,1,0]
	v_lshlrev_b64 v[1:2], 3, v[1:2]
	s_delay_alu instid0(VALU_DEP_3) | instskip(NEXT) | instid1(VALU_DEP_2)
	v_fma_mix_f32 v4, v9, v7, v5 op_sel:[0,1,0] op_sel_hi:[0,1,0]
	v_add_co_u32 v5, vcc_lo, s41, v1
	s_delay_alu instid0(VALU_DEP_3)
	v_add_co_ci_u32_e32 v6, vcc_lo, s59, v2, vcc_lo
	v_mov_b32_e32 v2, 0
	global_store_b64 v[5:6], v[3:4], off
.LBB0_121:                              ;   in Loop: Header=BB0_10 Depth=1
	s_or_b32 exec_lo, exec_lo, s4
	s_mov_b32 s4, -1
	s_mov_b32 s5, exec_lo
	v_cmpx_gt_i32_e32 0x47, v2
; %bb.122:                              ;   in Loop: Header=BB0_10 Depth=1
	v_cmp_eq_u32_e32 vcc_lo, 0, v2
	s_or_not1_b32 s4, vcc_lo, exec_lo
; %bb.123:                              ;   in Loop: Header=BB0_10 Depth=1
	s_or_b32 exec_lo, exec_lo, s5
	s_delay_alu instid0(SALU_CYCLE_1)
	s_and_b32 exec_lo, exec_lo, s4
	s_cbranch_execz .LBB0_126
; %bb.124:                              ;   in Loop: Header=BB0_10 Depth=1
	s_clause 0x1
	scratch_load_b32 v1, off, off offset:60
	scratch_load_b64 v[2:3], off, off offset:44
	s_waitcnt vmcnt(1)
	v_add_nc_u32_e32 v1, s102, v1
	s_waitcnt vmcnt(0)
	v_or_b32_e32 v2, s86, v2
	s_delay_alu instid0(VALU_DEP_2) | instskip(NEXT) | instid1(VALU_DEP_2)
	v_cmp_gt_i32_e32 vcc_lo, s8, v1
	v_cmp_gt_i32_e64 s4, s33, v2
	s_delay_alu instid0(VALU_DEP_1) | instskip(NEXT) | instid1(SALU_CYCLE_1)
	s_and_b32 s4, vcc_lo, s4
	s_and_b32 exec_lo, exec_lo, s4
	s_cbranch_execz .LBB0_126
; %bb.125:                              ;   in Loop: Header=BB0_10 Depth=1
	scratch_load_b32 v2, off, off offset:64 ; 4-byte Folded Reload
	s_waitcnt vmcnt(0)
	v_add_nc_u32_e32 v2, 0, v2
	s_delay_alu instid0(VALU_DEP_1)
	v_add_nc_u32_e32 v8, 0x80, v2
	ds_load_2addr_stride64_b32 v[2:3], v177 offset1:9
	ds_load_2addr_stride64_b32 v[4:5], v8 offset1:9
	ds_load_2addr_stride64_b32 v[6:7], v177 offset0:18 offset1:27
	ds_load_2addr_stride64_b32 v[8:9], v8 offset0:18 offset1:27
	scratch_load_b64 v[12:13], off, off offset:44 ; 8-byte Folded Reload
	s_waitcnt vmcnt(0)
	v_mad_u64_u32 v[10:11], null, v1, s9, v[12:13]
	s_waitcnt lgkmcnt(2)
	v_fma_mix_f32 v11, v4, v2, 0 op_sel_hi:[0,1,0]
	v_fma_mix_f32 v2, v4, v2, 0 op_sel:[0,1,0] op_sel_hi:[0,1,0]
	s_delay_alu instid0(VALU_DEP_2) | instskip(NEXT) | instid1(VALU_DEP_4)
	v_fma_mix_f32 v4, v5, v3, v11 op_sel_hi:[0,1,0]
	v_lshl_add_u32 v1, v10, 5, v56
	s_delay_alu instid0(VALU_DEP_3) | instskip(SKIP_1) | instid1(VALU_DEP_3)
	v_fma_mix_f32 v3, v5, v3, v2 op_sel:[0,1,0] op_sel_hi:[0,1,0]
	s_waitcnt lgkmcnt(0)
	v_fma_mix_f32 v4, v8, v6, v4 op_sel_hi:[0,1,0]
	s_delay_alu instid0(VALU_DEP_3) | instskip(NEXT) | instid1(VALU_DEP_3)
	v_ashrrev_i32_e32 v2, 31, v1
	v_fma_mix_f32 v5, v8, v6, v3 op_sel:[0,1,0] op_sel_hi:[0,1,0]
	s_delay_alu instid0(VALU_DEP_3) | instskip(NEXT) | instid1(VALU_DEP_3)
	v_fma_mix_f32 v3, v9, v7, v4 op_sel_hi:[0,1,0]
	v_lshlrev_b64 v[1:2], 3, v[1:2]
	s_delay_alu instid0(VALU_DEP_3) | instskip(NEXT) | instid1(VALU_DEP_2)
	v_fma_mix_f32 v4, v9, v7, v5 op_sel:[0,1,0] op_sel_hi:[0,1,0]
	v_add_co_u32 v1, vcc_lo, s41, v1
	s_delay_alu instid0(VALU_DEP_3)
	v_add_co_ci_u32_e32 v2, vcc_lo, s59, v2, vcc_lo
	global_store_b64 v[1:2], v[3:4], off
.LBB0_126:                              ;   in Loop: Header=BB0_10 Depth=1
	s_or_b32 exec_lo, exec_lo, s6
	s_waitcnt_vscnt null, 0x0
	s_barrier
	s_branch .LBB0_9
.LBB0_127:                              ;   in Loop: Header=BB0_10 Depth=1
	s_lshl_b32 s66, s101, 1
	v_cmp_gt_i32_e32 vcc_lo, s33, v201
	v_add_nc_u32_e32 v1, s66, v105
	s_xor_b32 s5, vcc_lo, -1
	s_delay_alu instid0(VALU_DEP_1) | instskip(NEXT) | instid1(VALU_DEP_1)
	v_cmp_le_i32_e64 s4, s8, v1
	s_or_b32 s4, s4, s5
	s_delay_alu instid0(SALU_CYCLE_1) | instskip(NEXT) | instid1(SALU_CYCLE_1)
	s_and_saveexec_b32 s6, s4
	s_xor_b32 s4, exec_lo, s6
	s_cbranch_execz .LBB0_129
; %bb.128:                              ;   in Loop: Header=BB0_10 Depth=1
	ds_store_b32 v109, v0
                                        ; implicit-def: $vgpr1
.LBB0_129:                              ;   in Loop: Header=BB0_10 Depth=1
	s_and_not1_saveexec_b32 s4, s4
	s_cbranch_execz .LBB0_131
; %bb.130:                              ;   in Loop: Header=BB0_10 Depth=1
	v_mad_u64_u32 v[2:3], null, v1, s51, v[89:90]
	s_delay_alu instid0(VALU_DEP_1) | instskip(NEXT) | instid1(VALU_DEP_1)
	v_ashrrev_i32_e32 v3, 31, v2
	v_lshlrev_b64 v[1:2], 3, v[2:3]
	s_delay_alu instid0(VALU_DEP_1) | instskip(NEXT) | instid1(VALU_DEP_2)
	v_add_co_u32 v1, vcc_lo, s99, v1
	v_add_co_ci_u32_e32 v2, vcc_lo, s100, v2, vcc_lo
	global_load_b64 v[1:2], v[1:2], off
	s_waitcnt vmcnt(0)
	v_cvt_f16_f32_e32 v1, v1
	v_cvt_f16_f32_e32 v2, v2
	s_delay_alu instid0(VALU_DEP_1) | instskip(NEXT) | instid1(VALU_DEP_1)
	v_pack_b32_f16 v1, v1, v2
	v_pk_mul_f16 v1, v101, v1
	ds_store_b32 v109, v1
.LBB0_131:                              ;   in Loop: Header=BB0_10 Depth=1
	s_or_b32 exec_lo, exec_lo, s4
	v_add_nc_u32_e32 v1, s66, v160
	v_or_b32_e32 v2, s86, v161
	s_delay_alu instid0(VALU_DEP_2) | instskip(NEXT) | instid1(VALU_DEP_2)
	v_cmp_le_i32_e32 vcc_lo, s8, v1
	v_cmp_le_i32_e64 s4, s33, v2
	s_delay_alu instid0(VALU_DEP_1) | instskip(NEXT) | instid1(SALU_CYCLE_1)
	s_or_b32 s4, vcc_lo, s4
	s_and_saveexec_b32 s6, s4
	s_delay_alu instid0(SALU_CYCLE_1)
	s_xor_b32 s4, exec_lo, s6
	s_cbranch_execz .LBB0_133
; %bb.132:                              ;   in Loop: Header=BB0_10 Depth=1
	ds_store_b32 v120, v0
                                        ; implicit-def: $vgpr1
.LBB0_133:                              ;   in Loop: Header=BB0_10 Depth=1
	s_and_not1_saveexec_b32 s4, s4
	s_cbranch_execz .LBB0_135
; %bb.134:                              ;   in Loop: Header=BB0_10 Depth=1
	v_mad_u64_u32 v[2:3], null, v1, s51, v[90:91]
	s_delay_alu instid0(VALU_DEP_1) | instskip(NEXT) | instid1(VALU_DEP_1)
	v_ashrrev_i32_e32 v3, 31, v2
	v_lshlrev_b64 v[1:2], 3, v[2:3]
	s_delay_alu instid0(VALU_DEP_1) | instskip(NEXT) | instid1(VALU_DEP_2)
	v_add_co_u32 v1, vcc_lo, s99, v1
	v_add_co_ci_u32_e32 v2, vcc_lo, s100, v2, vcc_lo
	global_load_b64 v[1:2], v[1:2], off
	s_waitcnt vmcnt(0)
	v_cvt_f16_f32_e32 v1, v1
	v_cvt_f16_f32_e32 v2, v2
	s_delay_alu instid0(VALU_DEP_1) | instskip(NEXT) | instid1(VALU_DEP_1)
	v_pack_b32_f16 v1, v1, v2
	v_pk_mul_f16 v1, v101, v1
	ds_store_b32 v120, v1
.LBB0_135:                              ;   in Loop: Header=BB0_10 Depth=1
	s_or_b32 exec_lo, exec_lo, s4
	v_add_nc_u32_e32 v1, s66, v162
	s_delay_alu instid0(VALU_DEP_1) | instskip(SKIP_1) | instid1(SALU_CYCLE_1)
	v_cmp_le_i32_e32 vcc_lo, s8, v1
	s_or_b32 s4, vcc_lo, s5
	s_and_saveexec_b32 s5, s4
	s_delay_alu instid0(SALU_CYCLE_1)
	s_xor_b32 s4, exec_lo, s5
	s_cbranch_execz .LBB0_137
; %bb.136:                              ;   in Loop: Header=BB0_10 Depth=1
	ds_store_b32 v120, v0 offset:576
                                        ; implicit-def: $vgpr1
.LBB0_137:                              ;   in Loop: Header=BB0_10 Depth=1
	s_and_not1_saveexec_b32 s4, s4
	s_cbranch_execz .LBB0_139
; %bb.138:                              ;   in Loop: Header=BB0_10 Depth=1
	v_mad_u64_u32 v[2:3], null, v1, s51, v[89:90]
	s_delay_alu instid0(VALU_DEP_1) | instskip(NEXT) | instid1(VALU_DEP_1)
	v_ashrrev_i32_e32 v3, 31, v2
	v_lshlrev_b64 v[1:2], 3, v[2:3]
	s_delay_alu instid0(VALU_DEP_1) | instskip(NEXT) | instid1(VALU_DEP_2)
	v_add_co_u32 v1, vcc_lo, s99, v1
	v_add_co_ci_u32_e32 v2, vcc_lo, s100, v2, vcc_lo
	global_load_b64 v[1:2], v[1:2], off
	s_waitcnt vmcnt(0)
	v_cvt_f16_f32_e32 v1, v1
	v_cvt_f16_f32_e32 v2, v2
	s_delay_alu instid0(VALU_DEP_1) | instskip(NEXT) | instid1(VALU_DEP_1)
	v_pack_b32_f16 v1, v1, v2
	v_pk_mul_f16 v1, v101, v1
	ds_store_b32 v120, v1 offset:576
.LBB0_139:                              ;   in Loop: Header=BB0_10 Depth=1
	s_or_b32 exec_lo, exec_lo, s4
	v_add_nc_u32_e32 v1, s66, v163
	v_or_b32_e32 v2, s86, v164
	s_delay_alu instid0(VALU_DEP_2) | instskip(NEXT) | instid1(VALU_DEP_2)
	v_cmp_le_i32_e32 vcc_lo, s8, v1
	v_cmp_le_i32_e64 s4, s33, v2
	s_delay_alu instid0(VALU_DEP_1) | instskip(NEXT) | instid1(SALU_CYCLE_1)
	s_or_b32 s4, vcc_lo, s4
	s_and_saveexec_b32 s5, s4
	s_delay_alu instid0(SALU_CYCLE_1)
	s_xor_b32 s4, exec_lo, s5
	s_cbranch_execz .LBB0_141
; %bb.140:                              ;   in Loop: Header=BB0_10 Depth=1
	ds_store_b32 v120, v0 offset:1152
                                        ; implicit-def: $vgpr1
.LBB0_141:                              ;   in Loop: Header=BB0_10 Depth=1
	s_and_not1_saveexec_b32 s4, s4
	s_cbranch_execz .LBB0_143
; %bb.142:                              ;   in Loop: Header=BB0_10 Depth=1
	v_mad_u64_u32 v[2:3], null, v1, s51, v[91:92]
	s_delay_alu instid0(VALU_DEP_1) | instskip(NEXT) | instid1(VALU_DEP_1)
	v_ashrrev_i32_e32 v3, 31, v2
	v_lshlrev_b64 v[1:2], 3, v[2:3]
	s_delay_alu instid0(VALU_DEP_1) | instskip(NEXT) | instid1(VALU_DEP_2)
	v_add_co_u32 v1, vcc_lo, s99, v1
	v_add_co_ci_u32_e32 v2, vcc_lo, s100, v2, vcc_lo
	global_load_b64 v[1:2], v[1:2], off
	s_waitcnt vmcnt(0)
	v_cvt_f16_f32_e32 v1, v1
	v_cvt_f16_f32_e32 v2, v2
	s_delay_alu instid0(VALU_DEP_1) | instskip(NEXT) | instid1(VALU_DEP_1)
	v_pack_b32_f16 v1, v1, v2
	v_pk_mul_f16 v1, v101, v1
	ds_store_b32 v120, v1 offset:1152
.LBB0_143:                              ;   in Loop: Header=BB0_10 Depth=1
	s_or_b32 exec_lo, exec_lo, s4
	v_add_nc_u32_e32 v1, v106, v107
	s_waitcnt lgkmcnt(0)
	s_waitcnt_vscnt null, 0x0
	s_barrier
	buffer_gl0_inv
	v_mov_b32_e32 v15, 0
	ds_load_b128 v[32:35], v1
	ds_load_b128 v[36:39], v1 offset:16
	ds_load_b128 v[24:27], v1 offset:32
	;; [unrolled: 1-line block ×7, first 2 shown]
	v_xor_b32_e32 v201, 16, v99
	s_cmp_lt_i32 s91, 2
	s_mov_b32 s67, 0
	s_waitcnt lgkmcnt(0)
	s_barrier
	buffer_gl0_inv
	s_cbranch_scc1 .LBB0_148
; %bb.144:                              ;   in Loop: Header=BB0_10 Depth=1
	v_dual_mov_b32 v16, 0 :: v_dual_add_nc_u32 v1, s66, v95
	v_cmp_gt_i32_e32 vcc_lo, 32, v201
	s_add_i32 s67, s91, -1
	s_add_u32 s4, s96, s56
	s_delay_alu instid0(VALU_DEP_2)
	v_mul_hi_u32 v2, s12, v1
	s_addc_u32 s5, s97, s98
	s_add_u32 s6, s94, s95
	v_dual_mov_b32 v220, 0 :: v_dual_mov_b32 v17, v16
	v_mov_b32_e32 v18, v16
	v_mov_b32_e32 v19, v16
	v_mov_b32_e32 v20, v16
	v_dual_cndmask_b32 v3, v99, v201 :: v_dual_add_nc_u32 v2, v1, v2
	v_add_co_u32 v202, vcc_lo, v183, s4
	v_add_co_ci_u32_e32 v203, vcc_lo, s5, v184, vcc_lo
	s_delay_alu instid0(VALU_DEP_3) | instskip(SKIP_2) | instid1(VALU_DEP_3)
	v_lshrrev_b32_e32 v2, s13, v2
	v_add_co_u32 v204, vcc_lo, v185, s4
	v_add_co_ci_u32_e32 v205, vcc_lo, s5, v186, vcc_lo
	v_mul_lo_u32 v2, v2, s8
	v_add_co_u32 v206, vcc_lo, v187, s4
	v_add_co_ci_u32_e32 v207, vcc_lo, s5, v188, vcc_lo
	v_add_co_u32 v208, vcc_lo, v189, s4
	v_add_co_ci_u32_e32 v209, vcc_lo, s5, v190, vcc_lo
	v_sub_nc_u32_e32 v4, v1, v2
	s_addc_u32 s4, s92, s93
	v_add_co_u32 v211, vcc_lo, v191, s6
	v_add_co_ci_u32_e32 v212, vcc_lo, s4, v192, vcc_lo
	s_delay_alu instid0(VALU_DEP_3) | instskip(SKIP_3) | instid1(VALU_DEP_4)
	v_mad_i64_i32 v[1:2], null, s58, v4, v[93:94]
	v_add_co_u32 v213, vcc_lo, v193, s6
	v_add_co_ci_u32_e32 v214, vcc_lo, s4, v194, vcc_lo
	v_dual_mov_b32 v215, 0xfeffffff :: v_dual_lshlrev_b32 v210, 2, v3
	v_add_co_u32 v93, vcc_lo, v180, v1
	v_add_co_ci_u32_e32 v94, vcc_lo, v181, v2, vcc_lo
	v_add_co_u32 v216, vcc_lo, v195, s6
	v_add_co_ci_u32_e32 v217, vcc_lo, s4, v196, vcc_lo
	;; [unrolled: 2-line block ×3, first 2 shown]
	v_mov_b32_e32 v21, v16
	v_mov_b32_e32 v22, v16
	;; [unrolled: 1-line block ×11, first 2 shown]
	s_mov_b32 s56, s67
	s_and_saveexec_b32 s4, s0
	s_cbranch_execz .LBB0_146
.LBB0_145:                              ;   in Loop: Header=BB0_10 Depth=1
	global_load_b32 v1, v[93:94], off
	s_waitcnt vmcnt(0)
	ds_store_b32 v109, v1 offset:9216
.LBB0_146:                              ;   Parent Loop BB0_10 Depth=1
                                        ; =>  This Inner Loop Header: Depth=2
	s_or_b32 exec_lo, exec_lo, s4
	v_add_co_u32 v1, vcc_lo, v211, v182
	v_add_co_ci_u32_e32 v2, vcc_lo, 0, v212, vcc_lo
	v_add_co_u32 v5, vcc_lo, v213, v182
	v_add_co_ci_u32_e32 v6, vcc_lo, 0, v214, vcc_lo
	v_mov_b32_e32 v7, v0
	global_load_b128 v[1:4], v[1:2], off
	global_load_b128 v[221:224], v[5:6], off
	v_cmp_eq_u32_e64 s5, 0, v112
	v_cmp_eq_u32_e64 s6, 1, v112
	s_add_i32 s56, s56, -1
	s_waitcnt vmcnt(1)
	ds_store_b128 v111, v[1:4]
	s_waitcnt vmcnt(0)
	ds_store_b128 v155, v[221:224]
	v_add_co_u32 v1, vcc_lo, v216, v182
	v_add_co_ci_u32_e32 v2, vcc_lo, 0, v217, vcc_lo
	v_add_co_u32 v5, vcc_lo, v218, v182
	v_add_co_ci_u32_e32 v6, vcc_lo, 0, v219, vcc_lo
	global_load_b128 v[1:4], v[1:2], off
	global_load_b128 v[221:224], v[5:6], off
	v_mov_b32_e32 v5, v0
	v_mov_b32_e32 v6, v0
	s_cmp_lg_u32 s56, 0
	s_waitcnt vmcnt(1)
	ds_store_b128 v156, v[1:4]
	s_waitcnt vmcnt(0)
	ds_store_b128 v157, v[221:224]
	s_waitcnt lgkmcnt(0)
	s_barrier
	buffer_gl0_inv
	ds_load_b128 v[221:224], v113
	ds_load_b128 v[225:228], v113 offset:16
	v_mov_b32_e32 v1, v0
	v_mov_b32_e32 v2, v0
	;; [unrolled: 1-line block ×4, first 2 shown]
	v_dual_mov_b32 v236, v7 :: v_dual_mov_b32 v235, v6
	v_mov_b32_e32 v234, v5
	s_delay_alu instid0(VALU_DEP_4) | instskip(NEXT) | instid1(VALU_DEP_4)
	v_dual_mov_b32 v232, v3 :: v_dual_mov_b32 v231, v2
	v_dual_mov_b32 v233, v4 :: v_dual_mov_b32 v230, v1
	v_mov_b32_e32 v229, v0
	s_waitcnt lgkmcnt(0)
	s_delay_alu instid0(VALU_DEP_1)
	v_wmma_f32_16x16x16_f16 v[229:236], v[221:228], v[32:39], v[229:236]
	ds_load_b128 v[221:224], v113 offset:32
	ds_load_b128 v[225:228], v113 offset:48
	s_waitcnt lgkmcnt(0)
	v_wmma_f32_16x16x16_f16 v[229:236], v[221:228], v[24:31], v[229:236]
	ds_load_b128 v[221:224], v113 offset:64
	ds_load_b128 v[225:228], v113 offset:80
	s_waitcnt lgkmcnt(0)
	;; [unrolled: 4-line block ×3, first 2 shown]
	s_barrier
	buffer_gl0_inv
	ds_load_u16 v1, v114 offset:9216
	ds_load_u16 v2, v114 offset:9220
	;; [unrolled: 1-line block ×8, first 2 shown]
	s_waitcnt lgkmcnt(7)
	v_cvt_f32_f16_e32 v1, v1
	s_waitcnt lgkmcnt(6)
	v_cvt_f32_f16_e32 v2, v2
	;; [unrolled: 2-line block ×3, first 2 shown]
	v_wmma_f32_16x16x16_f16 v[229:236], v[221:228], v[48:55], v[229:236]
	s_waitcnt lgkmcnt(4)
	v_cvt_f32_f16_e32 v4, v4
	s_waitcnt lgkmcnt(3)
	v_cvt_f32_f16_e32 v5, v5
	;; [unrolled: 2-line block ×4, first 2 shown]
	v_add_f32_e32 v149, v231, v3
	v_dual_add_f32 v153, v232, v4 :: v_dual_add_f32 v4, v233, v5
	v_add_co_u32 v5, vcc_lo, v202, v182
	v_add_f32_e32 v3, v234, v6
	v_add_co_ci_u32_e32 v6, vcc_lo, 0, v203, vcc_lo
	v_add_co_u32 v225, vcc_lo, v204, v182
	v_add_co_ci_u32_e32 v226, vcc_lo, 0, v205, vcc_lo
	global_load_b128 v[221:224], v[5:6], off
	global_load_b128 v[225:228], v[225:226], off
	v_add_co_u32 v5, vcc_lo, v206, v182
	v_add_co_ci_u32_e32 v6, vcc_lo, 0, v207, vcc_lo
	v_dual_add_f32 v145, v229, v1 :: v_dual_add_f32 v148, v230, v2
	s_waitcnt lgkmcnt(0)
	v_cvt_f32_f16_e64 v144, v144
	v_add_f32_e32 v2, v235, v7
	s_waitcnt vmcnt(1)
	ds_store_b128 v111, v[221:224]
	s_waitcnt vmcnt(0)
	ds_store_b128 v155, v[225:228]
	v_add_co_u32 v225, vcc_lo, v208, v182
	v_add_co_ci_u32_e32 v226, vcc_lo, 0, v209, vcc_lo
	global_load_b128 v[221:224], v[5:6], off
	global_load_b128 v[225:228], v[225:226], off
	v_dual_add_f32 v5, 0x40051340, v145 :: v_dual_add_f32 v6, 0x40051340, v148
	v_add_f32_e32 v1, v236, v144
	s_waitcnt vmcnt(1)
	ds_store_b128 v156, v[221:224]
	s_waitcnt vmcnt(0)
	ds_store_b128 v157, v[225:228]
	v_max3_f32 v5, v215, v5, v6
	v_add_f32_e32 v6, 0x40051340, v149
	v_add_f32_e32 v7, 0x40051340, v153
	s_waitcnt lgkmcnt(0)
	s_barrier
	buffer_gl0_inv
	v_max3_f32 v5, v5, v6, v7
	v_dual_add_f32 v6, 0x40051340, v4 :: v_dual_add_f32 v7, 0x40051340, v3
	s_delay_alu instid0(VALU_DEP_1) | instskip(SKIP_1) | instid1(VALU_DEP_1)
	v_max3_f32 v5, v5, v6, v7
	v_dual_add_f32 v6, 0x40051340, v2 :: v_dual_add_f32 v7, 0x40051340, v1
	v_max3_f32 v5, v5, v6, v7
	ds_bpermute_b32 v6, v210, v5
	s_waitcnt lgkmcnt(0)
	v_max_f32_e32 v6, v6, v6
	s_delay_alu instid0(VALU_DEP_1) | instskip(NEXT) | instid1(VALU_DEP_1)
	v_max_f32_e32 v221, v5, v6
	v_sub_f32_e32 v5, v148, v221
	s_delay_alu instid0(VALU_DEP_1) | instskip(SKIP_3) | instid1(VALU_DEP_4)
	v_mul_f32_e32 v6, 0x3fb8aa3b, v5
	v_sub_f32_e32 v3, v3, v221
	v_sub_f32_e32 v2, v2, v221
	;; [unrolled: 1-line block ×3, first 2 shown]
	v_fma_f32 v7, 0x3fb8aa3b, v5, -v6
	v_rndne_f32_e32 v144, v6
	s_delay_alu instid0(VALU_DEP_1) | instskip(SKIP_1) | instid1(VALU_DEP_2)
	v_dual_fmac_f32 v7, 0x32a5705f, v5 :: v_dual_sub_f32 v6, v6, v144
	v_cvt_i32_f32_e32 v144, v144
	v_add_f32_e32 v6, v6, v7
	v_cmp_ngt_f32_e32 vcc_lo, 0xc2ce8ed0, v5
	s_delay_alu instid0(VALU_DEP_2) | instskip(SKIP_2) | instid1(VALU_DEP_1)
	v_exp_f32_e32 v6, v6
	s_waitcnt_depctr 0xfff
	v_ldexp_f32 v6, v6, v144
	v_cndmask_b32_e32 v6, 0, v6, vcc_lo
	v_cmp_nlt_f32_e32 vcc_lo, 0x42b17218, v5
	s_delay_alu instid0(VALU_DEP_2) | instskip(NEXT) | instid1(VALU_DEP_1)
	v_dual_sub_f32 v7, v145, v221 :: v_dual_cndmask_b32 v146, 0x7f800000, v6
	v_mul_f32_e32 v145, 0x3fb8aa3b, v7
	v_cmp_ngt_f32_e64 s4, 0xc2ce8ed0, v7
	v_cmp_eq_u32_e32 vcc_lo, 0, v158
	v_sub_f32_e32 v4, v4, v221
	s_delay_alu instid0(VALU_DEP_4) | instskip(SKIP_1) | instid1(VALU_DEP_1)
	v_fma_f32 v148, 0x3fb8aa3b, v7, -v145
	v_rndne_f32_e32 v154, v145
	v_dual_fmac_f32 v148, 0x32a5705f, v7 :: v_dual_sub_f32 v145, v145, v154
	s_delay_alu instid0(VALU_DEP_1) | instskip(NEXT) | instid1(VALU_DEP_1)
	v_add_f32_e32 v145, v145, v148
	v_exp_f32_e32 v144, v145
	v_cvt_i32_f32_e32 v145, v154
	s_waitcnt_depctr 0xfff
	v_ldexp_f32 v144, v144, v145
	s_delay_alu instid0(VALU_DEP_1)
	v_cndmask_b32_e64 v5, 0, v144, s4
	v_cmp_nlt_f32_e64 s4, 0x42b17218, v7
	ds_bpermute_b32 v144, v210, v146
	v_cndmask_b32_e64 v7, 0x7f800000, v5, s4
	v_cmp_eq_u32_e64 s4, 1, v158
	ds_bpermute_b32 v5, v210, v7
	s_waitcnt lgkmcnt(0)
	v_cndmask_b32_e64 v6, v7, v5, s4
	v_cndmask_b32_e32 v5, v7, v5, vcc_lo
	s_delay_alu instid0(VALU_DEP_2) | instskip(NEXT) | instid1(VALU_DEP_2)
	v_cndmask_b32_e64 v148, v6, v146, s6
	v_cndmask_b32_e64 v145, v5, v146, s5
	v_cvt_f16_f32_e32 v5, v5
	v_cvt_f16_f32_e32 v6, v6
	s_delay_alu instid0(VALU_DEP_1) | instskip(SKIP_1) | instid1(VALU_DEP_1)
	v_pack_b32_f16 v222, v5, v6
	v_sub_f32_e32 v5, v149, v221
	v_mul_f32_e32 v6, 0x3fb8aa3b, v5
	v_cmp_ngt_f32_e64 s7, 0xc2ce8ed0, v5
	s_delay_alu instid0(VALU_DEP_2) | instskip(SKIP_2) | instid1(VALU_DEP_2)
	v_rndne_f32_e32 v149, v6
	v_cndmask_b32_e32 v145, v145, v144, vcc_lo
	v_cndmask_b32_e64 v144, v148, v144, s4
	v_cvt_f16_f32_e64 v148, v145
	s_delay_alu instid0(VALU_DEP_2) | instskip(NEXT) | instid1(VALU_DEP_1)
	v_cvt_f16_f32_e64 v154, v144
	v_pack_b32_f16 v223, v148, v154
	v_fma_f32 v148, 0x3fb8aa3b, v5, -v6
	v_sub_f32_e32 v6, v6, v149
	s_delay_alu instid0(VALU_DEP_2) | instskip(NEXT) | instid1(VALU_DEP_1)
	v_fmac_f32_e32 v148, 0x32a5705f, v5
	v_add_f32_e32 v6, v6, v148
	v_cvt_i32_f32_e32 v148, v149
	s_delay_alu instid0(VALU_DEP_2) | instskip(SKIP_2) | instid1(VALU_DEP_1)
	v_exp_f32_e32 v6, v6
	s_waitcnt_depctr 0xfff
	v_ldexp_f32 v6, v6, v148
	v_cndmask_b32_e64 v6, 0, v6, s7
	v_cmp_nlt_f32_e64 s7, 0x42b17218, v5
	s_delay_alu instid0(VALU_DEP_1) | instskip(NEXT) | instid1(VALU_DEP_1)
	v_cndmask_b32_e64 v150, 0x7f800000, v6, s7
	v_cndmask_b32_e64 v5, v144, v150, s6
	ds_bpermute_b32 v144, v210, v150
	v_cndmask_b32_e64 v6, v145, v150, s5
	s_waitcnt lgkmcnt(0)
	s_delay_alu instid0(VALU_DEP_1) | instskip(SKIP_1) | instid1(VALU_DEP_2)
	v_cndmask_b32_e32 v6, v6, v144, vcc_lo
	v_cndmask_b32_e64 v5, v5, v144, s4
	v_cvt_f16_f32_e64 v144, v6
	s_delay_alu instid0(VALU_DEP_2) | instskip(NEXT) | instid1(VALU_DEP_1)
	v_cvt_f16_f32_e64 v145, v5
	v_pack_b32_f16 v224, v144, v145
	v_sub_f32_e32 v144, v153, v221
	s_delay_alu instid0(VALU_DEP_1) | instskip(SKIP_1) | instid1(VALU_DEP_2)
	v_mul_f32_e32 v145, 0x3fb8aa3b, v144
	v_cmp_ngt_f32_e64 s7, 0xc2ce8ed0, v144
	v_fma_f32 v148, 0x3fb8aa3b, v144, -v145
	v_rndne_f32_e32 v149, v145
	s_delay_alu instid0(VALU_DEP_1) | instskip(NEXT) | instid1(VALU_DEP_1)
	v_dual_fmac_f32 v148, 0x32a5705f, v144 :: v_dual_sub_f32 v145, v145, v149
	v_add_f32_e32 v145, v145, v148
	v_cvt_i32_f32_e32 v148, v149
	v_add_nc_u32_e32 v149, 0x800, v115
	s_delay_alu instid0(VALU_DEP_3) | instskip(SKIP_2) | instid1(VALU_DEP_1)
	v_exp_f32_e32 v145, v145
	s_waitcnt_depctr 0xfff
	v_ldexp_f32 v145, v145, v148
	v_cndmask_b32_e64 v145, 0, v145, s7
	v_cmp_nlt_f32_e64 s7, 0x42b17218, v144
	s_delay_alu instid0(VALU_DEP_1)
	v_cndmask_b32_e64 v152, 0x7f800000, v145, s7
	v_cmp_ngt_f32_e64 s7, 0xc2ce8ed0, v4
	ds_bpermute_b32 v144, v210, v152
	v_cndmask_b32_e64 v5, v5, v152, s6
	v_cndmask_b32_e64 v6, v6, v152, s5
	s_waitcnt lgkmcnt(0)
	s_delay_alu instid0(VALU_DEP_1) | instskip(NEXT) | instid1(VALU_DEP_3)
	v_cndmask_b32_e32 v6, v6, v144, vcc_lo
	v_cndmask_b32_e64 v5, v5, v144, s4
	s_delay_alu instid0(VALU_DEP_2) | instskip(NEXT) | instid1(VALU_DEP_2)
	v_cvt_f16_f32_e64 v144, v6
	v_cvt_f16_f32_e64 v145, v5
	s_delay_alu instid0(VALU_DEP_1) | instskip(SKIP_1) | instid1(VALU_DEP_1)
	v_pack_b32_f16 v225, v144, v145
	v_mul_f32_e32 v144, 0x3fb8aa3b, v4
	v_fma_f32 v145, 0x3fb8aa3b, v4, -v144
	v_rndne_f32_e32 v148, v144
	s_delay_alu instid0(VALU_DEP_2) | instskip(NEXT) | instid1(VALU_DEP_2)
	v_fmac_f32_e32 v145, 0x32a5705f, v4
	v_sub_f32_e32 v144, v144, v148
	s_delay_alu instid0(VALU_DEP_1) | instskip(SKIP_1) | instid1(VALU_DEP_2)
	v_add_f32_e32 v144, v144, v145
	v_cvt_i32_f32_e32 v145, v148
	v_exp_f32_e32 v144, v144
	s_waitcnt_depctr 0xfff
	v_ldexp_f32 v144, v144, v145
	s_delay_alu instid0(VALU_DEP_1) | instskip(SKIP_1) | instid1(VALU_DEP_1)
	v_cndmask_b32_e64 v144, 0, v144, s7
	v_cmp_nlt_f32_e64 s7, 0x42b17218, v4
	v_cndmask_b32_e64 v142, 0x7f800000, v144, s7
	s_delay_alu instid0(VALU_DEP_1)
	v_cndmask_b32_e64 v4, v5, v142, s6
	v_cndmask_b32_e64 v5, v6, v142, s5
	ds_bpermute_b32 v6, v210, v142
	s_waitcnt lgkmcnt(0)
	v_cndmask_b32_e32 v5, v5, v6, vcc_lo
	v_cndmask_b32_e64 v4, v4, v6, s4
	s_delay_alu instid0(VALU_DEP_2) | instskip(NEXT) | instid1(VALU_DEP_2)
	v_cvt_f16_f32_e32 v6, v5
	v_cvt_f16_f32_e64 v144, v4
	s_delay_alu instid0(VALU_DEP_1) | instskip(SKIP_1) | instid1(VALU_DEP_1)
	v_pack_b32_f16 v226, v6, v144
	v_mul_f32_e32 v6, 0x3fb8aa3b, v3
	v_fma_f32 v144, 0x3fb8aa3b, v3, -v6
	v_rndne_f32_e32 v145, v6
	s_delay_alu instid0(VALU_DEP_2) | instskip(NEXT) | instid1(VALU_DEP_2)
	v_fmac_f32_e32 v144, 0x32a5705f, v3
	v_sub_f32_e32 v6, v6, v145
	s_delay_alu instid0(VALU_DEP_1) | instskip(SKIP_2) | instid1(VALU_DEP_3)
	v_add_f32_e32 v6, v6, v144
	v_cvt_i32_f32_e32 v144, v145
	v_cmp_ngt_f32_e64 s7, 0xc2ce8ed0, v3
	v_exp_f32_e32 v6, v6
	s_waitcnt_depctr 0xfff
	v_ldexp_f32 v6, v6, v144
	s_delay_alu instid0(VALU_DEP_1) | instskip(SKIP_1) | instid1(VALU_DEP_1)
	v_cndmask_b32_e64 v6, 0, v6, s7
	v_cmp_nlt_f32_e64 s7, 0x42b17218, v3
	v_cndmask_b32_e64 v147, 0x7f800000, v6, s7
	v_cmp_ngt_f32_e64 s7, 0xc2ce8ed0, v2
	s_delay_alu instid0(VALU_DEP_2)
	v_cndmask_b32_e64 v3, v4, v147, s6
	v_cndmask_b32_e64 v4, v5, v147, s5
	ds_bpermute_b32 v5, v210, v147
	s_waitcnt lgkmcnt(0)
	v_cndmask_b32_e32 v4, v4, v5, vcc_lo
	v_cndmask_b32_e64 v3, v3, v5, s4
	s_delay_alu instid0(VALU_DEP_2) | instskip(NEXT) | instid1(VALU_DEP_2)
	v_cvt_f16_f32_e32 v5, v4
	v_cvt_f16_f32_e32 v6, v3
	s_delay_alu instid0(VALU_DEP_1) | instskip(SKIP_1) | instid1(VALU_DEP_1)
	v_pack_b32_f16 v227, v5, v6
	v_mul_f32_e32 v5, 0x3fb8aa3b, v2
	v_fma_f32 v6, 0x3fb8aa3b, v2, -v5
	v_rndne_f32_e32 v144, v5
	s_delay_alu instid0(VALU_DEP_1) | instskip(NEXT) | instid1(VALU_DEP_1)
	v_dual_fmac_f32 v6, 0x32a5705f, v2 :: v_dual_sub_f32 v5, v5, v144
	v_add_f32_e32 v5, v5, v6
	v_cvt_i32_f32_e32 v6, v144
	v_add_nc_u32_e32 v144, 0x400, v115
	s_delay_alu instid0(VALU_DEP_3) | instskip(SKIP_2) | instid1(VALU_DEP_1)
	v_exp_f32_e32 v5, v5
	s_waitcnt_depctr 0xfff
	v_ldexp_f32 v5, v5, v6
	v_cndmask_b32_e64 v5, 0, v5, s7
	v_cmp_nlt_f32_e64 s7, 0x42b17218, v2
	s_delay_alu instid0(VALU_DEP_1) | instskip(SKIP_1) | instid1(VALU_DEP_2)
	v_cndmask_b32_e64 v140, 0x7f800000, v5, s7
	v_cmp_ngt_f32_e64 s7, 0xc2ce8ed0, v1
	v_cndmask_b32_e64 v2, v3, v140, s6
	v_cndmask_b32_e64 v3, v4, v140, s5
	ds_bpermute_b32 v4, v210, v140
	s_waitcnt lgkmcnt(0)
	v_cndmask_b32_e32 v3, v3, v4, vcc_lo
	v_cndmask_b32_e64 v2, v2, v4, s4
	s_delay_alu instid0(VALU_DEP_2) | instskip(NEXT) | instid1(VALU_DEP_2)
	v_cvt_f16_f32_e32 v4, v3
	v_cvt_f16_f32_e32 v5, v2
	s_delay_alu instid0(VALU_DEP_1) | instskip(SKIP_1) | instid1(VALU_DEP_1)
	v_pack_b32_f16 v228, v4, v5
	v_mul_f32_e32 v4, 0x3fb8aa3b, v1
	v_fma_f32 v5, 0x3fb8aa3b, v1, -v4
	v_rndne_f32_e32 v6, v4
	s_delay_alu instid0(VALU_DEP_1) | instskip(NEXT) | instid1(VALU_DEP_1)
	v_dual_fmac_f32 v5, 0x32a5705f, v1 :: v_dual_sub_f32 v4, v4, v6
	v_add_f32_e32 v4, v4, v5
	v_cvt_i32_f32_e32 v5, v6
	s_delay_alu instid0(VALU_DEP_2) | instskip(SKIP_2) | instid1(VALU_DEP_1)
	v_exp_f32_e32 v4, v4
	s_waitcnt_depctr 0xfff
	v_ldexp_f32 v4, v4, v5
	v_cndmask_b32_e64 v4, 0, v4, s7
	v_cmp_nlt_f32_e64 s7, 0x42b17218, v1
	s_delay_alu instid0(VALU_DEP_1) | instskip(NEXT) | instid1(VALU_DEP_1)
	v_cndmask_b32_e64 v143, 0x7f800000, v4, s7
	v_cndmask_b32_e64 v1, v2, v143, s6
	;; [unrolled: 1-line block ×3, first 2 shown]
	ds_bpermute_b32 v3, v210, v143
	s_waitcnt lgkmcnt(0)
	v_cndmask_b32_e32 v2, v2, v3, vcc_lo
	v_cndmask_b32_e64 v1, v1, v3, s4
	s_delay_alu instid0(VALU_DEP_2) | instskip(NEXT) | instid1(VALU_DEP_2)
	v_cvt_f16_f32_e32 v2, v2
	v_cvt_f16_f32_e32 v1, v1
	s_delay_alu instid0(VALU_DEP_1) | instskip(SKIP_1) | instid1(VALU_DEP_1)
	v_pack_b32_f16 v229, v2, v1
	v_sub_f32_e32 v1, v215, v221
	v_mul_f32_e32 v2, 0x3fb8aa3b, v1
	v_cmp_ngt_f32_e32 vcc_lo, 0xc2ce8ed0, v1
	s_delay_alu instid0(VALU_DEP_2) | instskip(SKIP_1) | instid1(VALU_DEP_1)
	v_fma_f32 v3, 0x3fb8aa3b, v1, -v2
	v_rndne_f32_e32 v4, v2
	v_dual_fmac_f32 v3, 0x32a5705f, v1 :: v_dual_sub_f32 v2, v2, v4
	s_delay_alu instid0(VALU_DEP_1) | instskip(SKIP_1) | instid1(VALU_DEP_2)
	v_add_f32_e32 v2, v2, v3
	v_cvt_i32_f32_e32 v3, v4
	v_exp_f32_e32 v2, v2
	s_waitcnt_depctr 0xfff
	v_ldexp_f32 v2, v2, v3
	s_delay_alu instid0(VALU_DEP_1) | instskip(SKIP_1) | instid1(VALU_DEP_2)
	v_cndmask_b32_e32 v2, 0, v2, vcc_lo
	v_cmp_nlt_f32_e32 vcc_lo, 0x42b17218, v1
	v_cndmask_b32_e32 v2, 0x7f800000, v2, vcc_lo
	v_cmp_le_f32_e32 vcc_lo, 0xc1a00000, v1
	s_delay_alu instid0(VALU_DEP_2)
	v_cndmask_b32_e32 v179, 0, v2, vcc_lo
	ds_load_2addr_b32 v[1:2], v115 offset1:16
	ds_load_2addr_b32 v[3:4], v115 offset0:36 offset1:52
	ds_load_2addr_b32 v[5:6], v115 offset0:72 offset1:88
	;; [unrolled: 1-line block ×8, first 2 shown]
	v_cvt_f16_f32_e64 v148, v179
	ds_load_2addr_b32 v[250:251], v144 offset0:104 offset1:120
	ds_load_2addr_b32 v[252:253], v144 offset0:140 offset1:156
	;; [unrolled: 1-line block ×5, first 2 shown]
	v_add_co_u32 v93, vcc_lo, 0x80, v93
	v_pk_mul_f16 v16, v148, v16 op_sel_hi:[0,1]
	v_pk_mul_f16 v17, v148, v17 op_sel_hi:[0,1]
	;; [unrolled: 1-line block ×16, first 2 shown]
	v_add_nc_u32_e32 v148, 0x200, v116
	s_waitcnt lgkmcnt(12)
	v_perm_b32 v230, v3, v1, 0x5040100
	s_waitcnt lgkmcnt(10)
	v_perm_b32 v231, v238, v5, 0x5040100
	;; [unrolled: 2-line block ×4, first 2 shown]
	ds_load_2addr_b32 v[148:149], v148 offset0:16 offset1:160
	ds_load_b32 v215, v116 offset:1728
	ds_load_b32 v178, v115 offset:2224
	s_waitcnt lgkmcnt(8)
	v_perm_b32 v234, v248, v247, 0x5040100
	s_waitcnt lgkmcnt(6)
	v_perm_b32 v235, v252, v250, 0x5040100
	;; [unrolled: 2-line block ×4, first 2 shown]
	v_add_co_ci_u32_e32 v94, vcc_lo, 0, v94, vcc_lo
	v_add_co_u32 v202, vcc_lo, v202, s60
	s_delay_alu instid0(VALU_DEP_3)
	v_wmma_f16_16x16x16_f16 v[16:23], v[230:237], v[222:229], v[16:23]
	v_perm_b32 v230, v4, v2, 0x5040100
	v_perm_b32 v231, v239, v6, 0x5040100
	v_perm_b32 v233, v246, v244, 0x5040100
	v_perm_b32 v235, v253, v251, 0x5040100
	v_add_co_ci_u32_e32 v203, vcc_lo, s61, v203, vcc_lo
	v_add_co_u32 v204, vcc_lo, v204, s60
	v_add_co_ci_u32_e32 v205, vcc_lo, s61, v205, vcc_lo
	s_waitcnt lgkmcnt(2)
	v_perm_b32 v232, v242, v148, 0x5040100
	v_perm_b32 v234, v249, v149, 0x5040100
	s_waitcnt lgkmcnt(1)
	v_perm_b32 v236, v144, v215, 0x5040100
	s_waitcnt lgkmcnt(0)
	v_perm_b32 v237, v178, v153, 0x5040100
	v_add_co_u32 v206, vcc_lo, v206, s60
	v_add_co_ci_u32_e32 v207, vcc_lo, s61, v207, vcc_lo
	s_delay_alu instid0(VALU_DEP_3) | instskip(SKIP_4) | instid1(VALU_DEP_3)
	v_wmma_f16_16x16x16_f16 v[8:15], v[230:237], v[222:229], v[8:15]
	v_perm_b32 v230, v3, v1, 0x7060302
	v_add_f32_e32 v1, v7, v146
	v_add_co_u32 v208, vcc_lo, v208, s60
	v_add_co_ci_u32_e32 v209, vcc_lo, s61, v209, vcc_lo
	v_add_f32_e32 v1, v150, v1
	v_add_co_u32 v211, vcc_lo, v211, s62
	v_perm_b32 v232, v241, v240, 0x7060302
	v_perm_b32 v236, v255, v254, 0x7060302
	s_delay_alu instid0(VALU_DEP_4)
	v_add_f32_e32 v1, v152, v1
	v_perm_b32 v231, v238, v5, 0x7060302
	v_perm_b32 v233, v245, v243, 0x7060302
	;; [unrolled: 1-line block ×4, first 2 shown]
	v_add_f32_e32 v1, v142, v1
	v_perm_b32 v237, v154, v145, 0x7060302
	v_add_co_ci_u32_e32 v212, vcc_lo, s63, v212, vcc_lo
	v_add_co_u32 v213, vcc_lo, v213, s62
	s_delay_alu instid0(VALU_DEP_4) | instskip(SKIP_3) | instid1(VALU_DEP_4)
	v_add_f32_e32 v1, v147, v1
	v_add_co_ci_u32_e32 v214, vcc_lo, s63, v214, vcc_lo
	v_wmma_f16_16x16x16_f16 v[16:23], v[230:237], v[222:229], v[16:23] op_sel:[0,0,1]
	v_perm_b32 v230, v4, v2, 0x7060302
	v_add_f32_e32 v1, v140, v1
	v_perm_b32 v231, v239, v6, 0x7060302
	v_perm_b32 v233, v246, v244, 0x7060302
	;; [unrolled: 1-line block ×7, first 2 shown]
	v_add_f32_e32 v215, v143, v1
	v_add_co_u32 v216, vcc_lo, v216, s62
	v_add_co_ci_u32_e32 v217, vcc_lo, s63, v217, vcc_lo
	v_add_co_u32 v218, vcc_lo, v218, s62
	v_wmma_f16_16x16x16_f16 v[8:15], v[230:237], v[222:229], v[8:15] op_sel:[0,0,1]
	v_fmac_f32_e32 v215, v220, v179
	v_add_co_ci_u32_e32 v219, vcc_lo, s63, v219, vcc_lo
	s_barrier
	buffer_gl0_inv
	s_cbranch_scc0 .LBB0_149
; %bb.147:                              ;   in Loop: Header=BB0_146 Depth=2
	v_dual_mov_b32 v220, v215 :: v_dual_mov_b32 v215, v221
	s_and_saveexec_b32 s4, s0
	s_cbranch_execnz .LBB0_145
	s_branch .LBB0_146
.LBB0_148:                              ;   in Loop: Header=BB0_10 Depth=1
	v_dual_mov_b32 v215, 0 :: v_dual_mov_b32 v14, 0
	v_dual_mov_b32 v221, 0xfeffffff :: v_dual_mov_b32 v12, 0
	;; [unrolled: 1-line block ×8, first 2 shown]
	v_mov_b32_e32 v17, 0
.LBB0_149:                              ;   in Loop: Header=BB0_10 Depth=1
	s_lshl_b32 s56, s67, 6
	s_and_saveexec_b32 s4, s0
	s_cbranch_execz .LBB0_151
; %bb.150:                              ;   in Loop: Header=BB0_10 Depth=1
	v_or_b32_e32 v1, s66, v95
	s_lshl_b64 s[6:7], s[56:57], 1
	v_lshlrev_b32_e32 v5, 1, v108
	s_delay_alu instid0(VALU_DEP_2) | instskip(NEXT) | instid1(VALU_DEP_1)
	v_mul_hi_u32 v2, s12, v1
	v_add_nc_u32_e32 v2, v1, v2
	s_delay_alu instid0(VALU_DEP_1) | instskip(NEXT) | instid1(VALU_DEP_1)
	v_lshrrev_b32_e32 v2, s13, v2
	v_mul_lo_u32 v2, v2, s8
	s_delay_alu instid0(VALU_DEP_1) | instskip(NEXT) | instid1(VALU_DEP_1)
	v_sub_nc_u32_e32 v3, v1, v2
	v_mad_i64_i32 v[1:2], null, v3, s40, 0
	v_add_co_u32 v3, vcc_lo, v199, s6
	v_add_co_ci_u32_e32 v4, vcc_lo, s7, v200, vcc_lo
	s_delay_alu instid0(VALU_DEP_3) | instskip(NEXT) | instid1(VALU_DEP_1)
	v_lshlrev_b64 v[1:2], 1, v[1:2]
	v_add_co_u32 v1, vcc_lo, v3, v1
	s_delay_alu instid0(VALU_DEP_2) | instskip(NEXT) | instid1(VALU_DEP_2)
	v_add_co_ci_u32_e32 v2, vcc_lo, v4, v2, vcc_lo
	v_add_co_u32 v1, vcc_lo, v1, v5
	s_delay_alu instid0(VALU_DEP_2)
	v_add_co_ci_u32_e32 v2, vcc_lo, 0, v2, vcc_lo
	global_load_b32 v1, v[1:2], off
	s_waitcnt vmcnt(0)
	ds_store_b32 v109, v1 offset:9216
.LBB0_151:                              ;   in Loop: Header=BB0_10 Depth=1
	s_or_b32 exec_lo, exec_lo, s4
	s_mul_i32 s5, s56, s35
	s_mul_hi_u32 s6, s56, s34
	s_mul_i32 s4, s56, s34
	s_add_i32 s5, s6, s5
	v_lshlrev_b32_e32 v93, 2, v110
	s_lshl_b64 s[4:5], s[4:5], 2
	v_mov_b32_e32 v7, v0
	s_add_u32 s4, s89, s4
	s_addc_u32 s5, s90, s5
	v_add_co_u32 v1, vcc_lo, s4, v67
	v_add_co_ci_u32_e32 v2, vcc_lo, s5, v68, vcc_lo
	s_mul_hi_u32 s6, s56, s10
	s_delay_alu instid0(VALU_DEP_2) | instskip(NEXT) | instid1(VALU_DEP_2)
	v_add_co_u32 v1, vcc_lo, v1, v93
	v_add_co_ci_u32_e32 v2, vcc_lo, 0, v2, vcc_lo
	v_add_co_u32 v3, vcc_lo, s4, v69
	v_add_co_ci_u32_e32 v4, vcc_lo, s5, v70, vcc_lo
	v_add_nc_u32_e32 v152, 0x800, v115
	s_delay_alu instid0(VALU_DEP_3) | instskip(NEXT) | instid1(VALU_DEP_3)
	v_add_co_u32 v5, vcc_lo, v3, v93
	v_add_co_ci_u32_e32 v6, vcc_lo, 0, v4, vcc_lo
	s_clause 0x1
	global_load_b128 v[1:4], v[1:2], off
	global_load_b128 v[202:205], v[5:6], off
	s_waitcnt vmcnt(1)
	ds_store_b128 v111, v[1:4]
	s_waitcnt vmcnt(0)
	ds_store_b128 v155, v[202:205]
	v_add_co_u32 v1, vcc_lo, s4, v71
	v_add_co_ci_u32_e32 v2, vcc_lo, s5, v72, vcc_lo
	s_delay_alu instid0(VALU_DEP_2) | instskip(NEXT) | instid1(VALU_DEP_2)
	v_add_co_u32 v1, vcc_lo, v1, v93
	v_add_co_ci_u32_e32 v2, vcc_lo, 0, v2, vcc_lo
	v_add_co_u32 v3, vcc_lo, s4, v73
	v_add_co_ci_u32_e32 v4, vcc_lo, s5, v74, vcc_lo
	s_mul_i32 s5, s56, s11
	s_delay_alu instid0(VALU_DEP_2) | instskip(NEXT) | instid1(VALU_DEP_2)
	v_add_co_u32 v5, vcc_lo, v3, v93
	v_add_co_ci_u32_e32 v6, vcc_lo, 0, v4, vcc_lo
	s_clause 0x1
	global_load_b128 v[1:4], v[1:2], off
	global_load_b128 v[202:205], v[5:6], off
	v_mov_b32_e32 v5, v0
	v_mov_b32_e32 v6, v0
	v_cmp_gt_i32_e32 vcc_lo, 32, v201
	s_mul_i32 s4, s56, s10
	s_add_i32 s5, s6, s5
	v_cmp_eq_u32_e64 s6, 1, v112
	s_lshl_b64 s[4:5], s[4:5], 2
	s_waitcnt vmcnt(1)
	ds_store_b128 v156, v[1:4]
	s_waitcnt vmcnt(0)
	ds_store_b128 v157, v[202:205]
	s_waitcnt lgkmcnt(0)
	s_barrier
	buffer_gl0_inv
	ds_load_b128 v[202:205], v113
	ds_load_b128 v[206:209], v113 offset:16
	v_mov_b32_e32 v1, v0
	v_mov_b32_e32 v2, v0
	;; [unrolled: 1-line block ×4, first 2 shown]
	v_dual_mov_b32 v229, v7 :: v_dual_mov_b32 v228, v6
	v_mov_b32_e32 v227, v5
	s_delay_alu instid0(VALU_DEP_4) | instskip(NEXT) | instid1(VALU_DEP_4)
	v_dual_mov_b32 v225, v3 :: v_dual_mov_b32 v224, v2
	v_dual_mov_b32 v226, v4 :: v_dual_mov_b32 v223, v1
	v_mov_b32_e32 v222, v0
	s_add_u32 s4, s87, s4
	s_addc_u32 s5, s88, s5
	s_cmp_lg_u64 s[64:65], 0
	s_waitcnt lgkmcnt(0)
	v_wmma_f32_16x16x16_f16 v[222:229], v[202:209], v[32:39], v[222:229]
	ds_load_b128 v[32:35], v113 offset:32
	ds_load_b128 v[36:39], v113 offset:48
	s_waitcnt lgkmcnt(0)
	v_wmma_f32_16x16x16_f16 v[222:229], v[32:39], v[24:31], v[222:229]
	ds_load_b128 v[24:27], v113 offset:64
	ds_load_b128 v[28:31], v113 offset:80
	;; [unrolled: 4-line block ×3, first 2 shown]
	s_waitcnt lgkmcnt(0)
	s_barrier
	buffer_gl0_inv
	v_add_nc_u32_e32 v44, 0x400, v115
	v_wmma_f32_16x16x16_f16 v[222:229], v[24:31], v[48:55], v[222:229]
	ds_load_u16 v1, v117 offset:9216
	ds_load_u16 v2, v117 offset:9220
	;; [unrolled: 1-line block ×8, first 2 shown]
	s_waitcnt lgkmcnt(7)
	v_cvt_f32_f16_e32 v1, v1
	s_waitcnt lgkmcnt(6)
	v_cvt_f32_f16_e32 v2, v2
	;; [unrolled: 2-line block ×5, first 2 shown]
	v_dual_add_f32 v33, v222, v1 :: v_dual_add_f32 v34, v223, v2
	s_waitcnt lgkmcnt(2)
	v_cvt_f32_f16_e32 v6, v6
	s_waitcnt lgkmcnt(1)
	v_cvt_f32_f16_e32 v7, v7
	v_dual_add_f32 v35, v224, v3 :: v_dual_add_f32 v36, v225, v4
	v_dual_add_f32 v2, 0x40051340, v34 :: v_dual_add_f32 v1, 0x40051340, v33
	s_waitcnt lgkmcnt(0)
	v_cvt_f32_f16_e32 v24, v24
	v_dual_add_f32 v37, v226, v5 :: v_dual_add_f32 v28, v227, v6
	v_add_f32_e32 v27, v228, v7
	v_max3_f32 v1, v221, v1, v2
	v_dual_add_f32 v2, 0x40051340, v35 :: v_dual_add_f32 v3, 0x40051340, v36
	v_add_f32_e32 v26, v229, v24
	s_delay_alu instid0(VALU_DEP_2) | instskip(SKIP_1) | instid1(VALU_DEP_1)
	v_max3_f32 v1, v1, v2, v3
	v_dual_add_f32 v2, 0x40051340, v37 :: v_dual_add_f32 v3, 0x40051340, v28
	v_max3_f32 v1, v1, v2, v3
	s_delay_alu instid0(VALU_DEP_4) | instskip(NEXT) | instid1(VALU_DEP_1)
	v_dual_add_f32 v2, 0x40051340, v27 :: v_dual_add_f32 v3, 0x40051340, v26
	v_max3_f32 v1, v1, v2, v3
	v_cndmask_b32_e32 v2, v99, v201, vcc_lo
	s_delay_alu instid0(VALU_DEP_1) | instskip(SKIP_3) | instid1(VALU_DEP_1)
	v_lshlrev_b32_e32 v24, 2, v2
	ds_bpermute_b32 v2, v24, v1
	s_waitcnt lgkmcnt(0)
	v_max_f32_e32 v2, v2, v2
	v_max_f32_e32 v25, v1, v2
	s_delay_alu instid0(VALU_DEP_1) | instskip(NEXT) | instid1(VALU_DEP_1)
	v_sub_f32_e32 v1, v221, v25
	v_mul_f32_e32 v2, 0x3fb8aa3b, v1
	v_cmp_ngt_f32_e32 vcc_lo, 0xc2ce8ed0, v1
	s_delay_alu instid0(VALU_DEP_2) | instskip(SKIP_1) | instid1(VALU_DEP_1)
	v_fma_f32 v3, 0x3fb8aa3b, v1, -v2
	v_rndne_f32_e32 v4, v2
	v_dual_fmac_f32 v3, 0x32a5705f, v1 :: v_dual_sub_f32 v2, v2, v4
	s_delay_alu instid0(VALU_DEP_1) | instskip(SKIP_1) | instid1(VALU_DEP_2)
	v_add_f32_e32 v2, v2, v3
	v_cvt_i32_f32_e32 v3, v4
	v_exp_f32_e32 v2, v2
	s_waitcnt_depctr 0xfff
	v_ldexp_f32 v2, v2, v3
	s_delay_alu instid0(VALU_DEP_1) | instskip(SKIP_1) | instid1(VALU_DEP_2)
	v_cndmask_b32_e32 v2, 0, v2, vcc_lo
	v_cmp_nlt_f32_e32 vcc_lo, 0x42b17218, v1
	v_cndmask_b32_e32 v2, 0x7f800000, v2, vcc_lo
	v_cmp_le_f32_e32 vcc_lo, 0xc1a00000, v1
	s_delay_alu instid0(VALU_DEP_2) | instskip(NEXT) | instid1(VALU_DEP_1)
	v_cndmask_b32_e32 v55, 0, v2, vcc_lo
	v_cvt_f16_f32_e32 v29, v55
	s_delay_alu instid0(VALU_DEP_1) | instskip(SKIP_3) | instid1(VALU_DEP_3)
	v_pk_mul_f16 v2, v29, v9 op_sel_hi:[0,1]
	v_add_co_u32 v9, vcc_lo, s4, v59
	v_pk_mul_f16 v3, v29, v10 op_sel_hi:[0,1]
	v_add_co_ci_u32_e32 v10, vcc_lo, s5, v60, vcc_lo
	v_add_co_u32 v9, vcc_lo, v9, v93
	v_pk_mul_f16 v4, v29, v11 op_sel_hi:[0,1]
	s_delay_alu instid0(VALU_DEP_3) | instskip(SKIP_4) | instid1(VALU_DEP_4)
	v_add_co_ci_u32_e32 v10, vcc_lo, 0, v10, vcc_lo
	v_add_co_u32 v11, vcc_lo, s4, v61
	v_pk_mul_f16 v5, v29, v12 op_sel_hi:[0,1]
	v_add_co_ci_u32_e32 v12, vcc_lo, s5, v62, vcc_lo
	v_pk_mul_f16 v6, v29, v13 op_sel_hi:[0,1]
	v_add_co_u32 v13, vcc_lo, v11, v93
	v_pk_mul_f16 v7, v29, v14 op_sel_hi:[0,1]
	s_delay_alu instid0(VALU_DEP_4)
	v_add_co_ci_u32_e32 v14, vcc_lo, 0, v12, vcc_lo
	v_pk_mul_f16 v16, v29, v16 op_sel_hi:[0,1]
	v_pk_mul_f16 v17, v29, v17 op_sel_hi:[0,1]
	;; [unrolled: 1-line block ×10, first 2 shown]
	s_clause 0x1
	global_load_b128 v[9:12], v[9:10], off
	global_load_b128 v[29:32], v[13:14], off
	s_waitcnt vmcnt(1)
	ds_store_b128 v111, v[9:12]
	s_waitcnt vmcnt(0)
	ds_store_b128 v155, v[29:32]
	v_add_co_u32 v9, vcc_lo, s4, v63
	v_add_co_ci_u32_e32 v10, vcc_lo, s5, v64, vcc_lo
	s_delay_alu instid0(VALU_DEP_2) | instskip(NEXT) | instid1(VALU_DEP_2)
	v_add_co_u32 v9, vcc_lo, v9, v93
	v_add_co_ci_u32_e32 v10, vcc_lo, 0, v10, vcc_lo
	v_add_co_u32 v11, vcc_lo, s4, v65
	v_add_co_ci_u32_e32 v12, vcc_lo, s5, v66, vcc_lo
	v_cmp_eq_u32_e64 s5, 0, v112
	s_delay_alu instid0(VALU_DEP_3) | instskip(NEXT) | instid1(VALU_DEP_3)
	v_add_co_u32 v13, vcc_lo, v11, v93
	v_add_co_ci_u32_e32 v14, vcc_lo, 0, v12, vcc_lo
	s_clause 0x1
	global_load_b128 v[9:12], v[9:10], off
	global_load_b128 v[29:32], v[13:14], off
	s_waitcnt vmcnt(1)
	ds_store_b128 v156, v[9:12]
	s_waitcnt vmcnt(0)
	ds_store_b128 v157, v[29:32]
	v_sub_f32_e32 v9, v34, v25
	s_waitcnt lgkmcnt(0)
	s_barrier
	buffer_gl0_inv
	v_mul_f32_e32 v10, 0x3fb8aa3b, v9
	v_cmp_ngt_f32_e32 vcc_lo, 0xc2ce8ed0, v9
	s_delay_alu instid0(VALU_DEP_2) | instskip(SKIP_1) | instid1(VALU_DEP_1)
	v_fma_f32 v11, 0x3fb8aa3b, v9, -v10
	v_rndne_f32_e32 v12, v10
	v_dual_fmac_f32 v11, 0x32a5705f, v9 :: v_dual_sub_f32 v10, v10, v12
	v_cvt_i32_f32_e32 v12, v12
	s_delay_alu instid0(VALU_DEP_2) | instskip(NEXT) | instid1(VALU_DEP_1)
	v_dual_add_f32 v10, v10, v11 :: v_dual_sub_f32 v11, v33, v25
	v_mul_f32_e32 v13, 0x3fb8aa3b, v11
	v_cmp_ngt_f32_e64 s4, 0xc2ce8ed0, v11
	s_delay_alu instid0(VALU_DEP_2) | instskip(SKIP_1) | instid1(VALU_DEP_2)
	v_fma_f32 v14, 0x3fb8aa3b, v11, -v13
	v_rndne_f32_e32 v15, v13
	v_fmac_f32_e32 v14, 0x32a5705f, v11
	s_delay_alu instid0(VALU_DEP_2) | instskip(NEXT) | instid1(VALU_DEP_1)
	v_sub_f32_e32 v13, v13, v15
	v_add_f32_e32 v13, v13, v14
	v_exp_f32_e32 v10, v10
	s_waitcnt_depctr 0xfff
	v_ldexp_f32 v10, v10, v12
	v_exp_f32_e32 v12, v13
	v_cvt_i32_f32_e32 v13, v15
	s_delay_alu instid0(VALU_DEP_2)
	v_cndmask_b32_e32 v10, 0, v10, vcc_lo
	v_cmp_nlt_f32_e32 vcc_lo, 0x42b17218, v9
	s_waitcnt_depctr 0xfff
	v_ldexp_f32 v12, v12, v13
	v_cndmask_b32_e32 v140, 0x7f800000, v10, vcc_lo
	v_cmp_eq_u32_e32 vcc_lo, 0, v158
	s_delay_alu instid0(VALU_DEP_3) | instskip(SKIP_1) | instid1(VALU_DEP_1)
	v_cndmask_b32_e64 v9, 0, v12, s4
	v_cmp_nlt_f32_e64 s4, 0x42b17218, v11
	v_cndmask_b32_e64 v15, 0x7f800000, v9, s4
	v_cmp_eq_u32_e64 s4, 1, v158
	ds_bpermute_b32 v9, v24, v15
	s_waitcnt lgkmcnt(0)
	v_cndmask_b32_e64 v10, v15, v9, s4
	v_cndmask_b32_e32 v9, v15, v9, vcc_lo
	s_delay_alu instid0(VALU_DEP_2) | instskip(NEXT) | instid1(VALU_DEP_2)
	v_cndmask_b32_e64 v13, v10, v140, s6
	v_cndmask_b32_e64 v12, v9, v140, s5
	v_cvt_f16_f32_e32 v9, v9
	v_cvt_f16_f32_e32 v10, v10
	s_delay_alu instid0(VALU_DEP_1)
	v_pack_b32_f16 v29, v9, v10
	v_sub_f32_e32 v9, v35, v25
	ds_bpermute_b32 v11, v24, v140
	v_mul_f32_e32 v10, 0x3fb8aa3b, v9
	v_cmp_ngt_f32_e64 s7, 0xc2ce8ed0, v9
	s_waitcnt lgkmcnt(0)
	v_cndmask_b32_e32 v12, v12, v11, vcc_lo
	v_cndmask_b32_e64 v11, v13, v11, s4
	s_delay_alu instid0(VALU_DEP_2) | instskip(NEXT) | instid1(VALU_DEP_2)
	v_cvt_f16_f32_e32 v13, v12
	v_cvt_f16_f32_e32 v14, v11
	s_delay_alu instid0(VALU_DEP_1) | instskip(SKIP_2) | instid1(VALU_DEP_1)
	v_pack_b32_f16 v30, v13, v14
	v_fma_f32 v13, 0x3fb8aa3b, v9, -v10
	v_rndne_f32_e32 v14, v10
	v_dual_fmac_f32 v13, 0x32a5705f, v9 :: v_dual_sub_f32 v10, v10, v14
	s_delay_alu instid0(VALU_DEP_1) | instskip(SKIP_1) | instid1(VALU_DEP_2)
	v_add_f32_e32 v10, v10, v13
	v_cvt_i32_f32_e32 v13, v14
	v_exp_f32_e32 v10, v10
	s_waitcnt_depctr 0xfff
	v_ldexp_f32 v10, v10, v13
	s_delay_alu instid0(VALU_DEP_1) | instskip(SKIP_1) | instid1(VALU_DEP_1)
	v_cndmask_b32_e64 v10, 0, v10, s7
	v_cmp_nlt_f32_e64 s7, 0x42b17218, v9
	v_cndmask_b32_e64 v142, 0x7f800000, v10, s7
	s_delay_alu instid0(VALU_DEP_1) | instskip(SKIP_3) | instid1(VALU_DEP_1)
	v_cndmask_b32_e64 v9, v11, v142, s6
	ds_bpermute_b32 v11, v24, v142
	v_cndmask_b32_e64 v10, v12, v142, s5
	s_waitcnt lgkmcnt(0)
	v_cndmask_b32_e32 v10, v10, v11, vcc_lo
	v_cndmask_b32_e64 v9, v9, v11, s4
	s_delay_alu instid0(VALU_DEP_2) | instskip(NEXT) | instid1(VALU_DEP_2)
	v_cvt_f16_f32_e32 v11, v10
	v_cvt_f16_f32_e32 v12, v9
	s_delay_alu instid0(VALU_DEP_1) | instskip(SKIP_1) | instid1(VALU_DEP_1)
	v_pack_b32_f16 v31, v11, v12
	v_sub_f32_e32 v11, v36, v25
	v_mul_f32_e32 v12, 0x3fb8aa3b, v11
	v_cmp_ngt_f32_e64 s7, 0xc2ce8ed0, v11
	s_delay_alu instid0(VALU_DEP_2) | instskip(SKIP_1) | instid1(VALU_DEP_1)
	v_fma_f32 v13, 0x3fb8aa3b, v11, -v12
	v_rndne_f32_e32 v14, v12
	v_dual_fmac_f32 v13, 0x32a5705f, v11 :: v_dual_sub_f32 v12, v12, v14
	s_delay_alu instid0(VALU_DEP_1) | instskip(SKIP_1) | instid1(VALU_DEP_2)
	v_add_f32_e32 v12, v12, v13
	v_cvt_i32_f32_e32 v13, v14
	v_exp_f32_e32 v12, v12
	s_waitcnt_depctr 0xfff
	v_ldexp_f32 v12, v12, v13
	s_delay_alu instid0(VALU_DEP_1) | instskip(SKIP_1) | instid1(VALU_DEP_1)
	v_cndmask_b32_e64 v12, 0, v12, s7
	v_cmp_nlt_f32_e64 s7, 0x42b17218, v11
	v_cndmask_b32_e64 v143, 0x7f800000, v12, s7
	ds_bpermute_b32 v11, v24, v143
	v_cndmask_b32_e64 v9, v9, v143, s6
	v_cndmask_b32_e64 v10, v10, v143, s5
	s_waitcnt lgkmcnt(0)
	s_delay_alu instid0(VALU_DEP_1) | instskip(NEXT) | instid1(VALU_DEP_3)
	v_cndmask_b32_e32 v10, v10, v11, vcc_lo
	v_cndmask_b32_e64 v9, v9, v11, s4
	s_delay_alu instid0(VALU_DEP_2) | instskip(NEXT) | instid1(VALU_DEP_2)
	v_cvt_f16_f32_e32 v11, v10
	v_cvt_f16_f32_e32 v12, v9
	s_delay_alu instid0(VALU_DEP_1) | instskip(SKIP_1) | instid1(VALU_DEP_1)
	v_pack_b32_f16 v32, v11, v12
	v_sub_f32_e32 v11, v37, v25
	v_mul_f32_e32 v12, 0x3fb8aa3b, v11
	v_cmp_ngt_f32_e64 s7, 0xc2ce8ed0, v11
	s_delay_alu instid0(VALU_DEP_2) | instskip(SKIP_1) | instid1(VALU_DEP_1)
	v_fma_f32 v13, 0x3fb8aa3b, v11, -v12
	v_rndne_f32_e32 v14, v12
	v_dual_fmac_f32 v13, 0x32a5705f, v11 :: v_dual_sub_f32 v12, v12, v14
	s_delay_alu instid0(VALU_DEP_1) | instskip(SKIP_1) | instid1(VALU_DEP_2)
	v_add_f32_e32 v12, v12, v13
	v_cvt_i32_f32_e32 v13, v14
	v_exp_f32_e32 v12, v12
	s_waitcnt_depctr 0xfff
	v_ldexp_f32 v12, v12, v13
	s_delay_alu instid0(VALU_DEP_1) | instskip(SKIP_1) | instid1(VALU_DEP_1)
	v_cndmask_b32_e64 v12, 0, v12, s7
	v_cmp_nlt_f32_e64 s7, 0x42b17218, v11
	v_cndmask_b32_e64 v146, 0x7f800000, v12, s7
	ds_bpermute_b32 v11, v24, v146
	v_cndmask_b32_e64 v9, v9, v146, s6
	v_cndmask_b32_e64 v10, v10, v146, s5
	s_waitcnt lgkmcnt(0)
	s_delay_alu instid0(VALU_DEP_1) | instskip(NEXT) | instid1(VALU_DEP_3)
	;; [unrolled: 29-line block ×5, first 2 shown]
	v_cndmask_b32_e32 v10, v10, v11, vcc_lo
	v_cndmask_b32_e64 v9, v9, v11, s4
	s_cselect_b32 s4, -1, 0
	s_delay_alu instid0(SALU_CYCLE_1) | instskip(NEXT) | instid1(VALU_DEP_2)
	s_and_b32 s5, s1, s4
	v_cvt_f16_f32_e32 v10, v10
	s_delay_alu instid0(VALU_DEP_2) | instskip(NEXT) | instid1(VALU_DEP_1)
	v_cvt_f16_f32_e32 v9, v9
	v_pack_b32_f16 v36, v10, v9
	ds_load_2addr_b32 v[9:10], v115 offset1:16
	ds_load_2addr_b32 v[11:12], v115 offset0:36 offset1:52
	ds_load_2addr_b32 v[13:14], v115 offset0:72 offset1:88
	;; [unrolled: 1-line block ×13, first 2 shown]
	s_waitcnt lgkmcnt(12)
	v_perm_b32 v37, v11, v9, 0x5040100
	s_waitcnt lgkmcnt(10)
	v_perm_b32 v38, v26, v13, 0x5040100
	;; [unrolled: 2-line block ×8, first 2 shown]
	s_delay_alu instid0(VALU_DEP_1)
	v_wmma_f16_16x16x16_f16 v[16:23], v[37:44], v[29:36], v[16:23]
	v_add_nc_u32_e32 v39, 0x200, v116
	v_perm_b32 v37, v12, v10, 0x5040100
	v_perm_b32 v38, v27, v14, 0x5040100
	;; [unrolled: 1-line block ×4, first 2 shown]
	ds_load_2addr_b32 v[201:202], v39 offset0:16 offset1:160
	ds_load_b32 v152, v116 offset:1728
	ds_load_b32 v178, v115 offset:2224
	s_waitcnt lgkmcnt(0)
	s_barrier
	buffer_gl0_inv
	v_perm_b32 v39, v47, v201, 0x5040100
	v_perm_b32 v41, v54, v202, 0x5040100
	;; [unrolled: 1-line block ×4, first 2 shown]
	s_delay_alu instid0(VALU_DEP_1)
	v_wmma_f16_16x16x16_f16 v[1:8], v[37:44], v[29:36], v[1:8]
	v_perm_b32 v37, v11, v9, 0x7060302
	v_add_f32_e32 v9, v15, v140
	v_perm_b32 v39, v46, v45, 0x7060302
	v_perm_b32 v43, v149, v148, 0x7060302
	;; [unrolled: 1-line block ×4, first 2 shown]
	v_add_f32_e32 v9, v142, v9
	v_perm_b32 v41, v53, v52, 0x7060302
	v_perm_b32 v42, v144, v93, 0x7060302
	;; [unrolled: 1-line block ×3, first 2 shown]
	s_delay_alu instid0(VALU_DEP_4) | instskip(NEXT) | instid1(VALU_DEP_2)
	v_add_f32_e32 v9, v143, v9
	v_wmma_f16_16x16x16_f16 v[16:23], v[37:44], v[29:36], v[16:23] op_sel:[0,0,1]
	v_perm_b32 v37, v12, v10, 0x7060302
	s_delay_alu instid0(VALU_DEP_3)
	v_add_f32_e32 v9, v146, v9
	v_perm_b32 v38, v27, v14, 0x7060302
	v_perm_b32 v40, v51, v49, 0x7060302
	;; [unrolled: 1-line block ×4, first 2 shown]
	v_add_f32_e32 v9, v28, v9
	v_perm_b32 v42, v145, v94, 0x7060302
	v_perm_b32 v43, v153, v152, 0x7060302
	;; [unrolled: 1-line block ×3, first 2 shown]
	s_delay_alu instid0(VALU_DEP_4) | instskip(NEXT) | instid1(VALU_DEP_2)
	v_add_f32_e32 v9, v147, v9
	v_wmma_f16_16x16x16_f16 v[1:8], v[37:44], v[29:36], v[1:8] op_sel:[0,0,1]
	s_delay_alu instid0(VALU_DEP_2) | instskip(NEXT) | instid1(VALU_DEP_1)
	v_add_f32_e32 v9, v150, v9
	v_fmac_f32_e32 v9, v215, v55
	ds_bpermute_b32 v10, v24, v9
	s_waitcnt lgkmcnt(0)
	v_add_f32_e32 v9, v9, v10
	s_and_saveexec_b32 s4, s5
	s_cbranch_execz .LBB0_153
; %bb.152:                              ;   in Loop: Header=BB0_10 Depth=1
	v_dual_max_f32 v11, v25, v25 :: v_dual_lshlrev_b32 v10, 2, v159
	global_load_b32 v10, v10, s[64:65]
	s_waitcnt vmcnt(0)
	v_max_f32_e32 v12, v10, v10
	s_delay_alu instid0(VALU_DEP_1) | instskip(NEXT) | instid1(VALU_DEP_1)
	v_max_f32_e32 v11, v11, v12
	v_sub_f32_e32 v10, v10, v11
	s_delay_alu instid0(VALU_DEP_1) | instskip(NEXT) | instid1(VALU_DEP_1)
	v_dual_sub_f32 v12, v25, v11 :: v_dual_mul_f32 v25, 0x3fb8aa3b, v10
	v_cmp_ngt_f32_e32 vcc_lo, 0xc2ce8ed0, v12
	s_delay_alu instid0(VALU_DEP_2) | instskip(SKIP_1) | instid1(VALU_DEP_1)
	v_rndne_f32_e32 v27, v25
	v_mul_f32_e32 v13, 0x3fb8aa3b, v12
	v_fma_f32 v14, 0x3fb8aa3b, v12, -v13
	v_rndne_f32_e32 v15, v13
	s_delay_alu instid0(VALU_DEP_1) | instskip(SKIP_1) | instid1(VALU_DEP_2)
	v_dual_fmac_f32 v14, 0x32a5705f, v12 :: v_dual_sub_f32 v13, v13, v15
	v_cvt_i32_f32_e32 v15, v15
	v_add_f32_e32 v13, v13, v14
	v_fma_f32 v26, 0x3fb8aa3b, v10, -v25
	v_sub_f32_e32 v14, v25, v27
	s_delay_alu instid0(VALU_DEP_3) | instskip(NEXT) | instid1(VALU_DEP_2)
	v_exp_f32_e32 v13, v13
	v_dual_fmac_f32 v26, 0x32a5705f, v10 :: v_dual_mov_b32 v25, v11
	s_waitcnt_depctr 0xfff
	v_ldexp_f32 v13, v13, v15
	v_cvt_i32_f32_e32 v15, v27
	s_delay_alu instid0(VALU_DEP_2) | instskip(SKIP_1) | instid1(VALU_DEP_2)
	v_cndmask_b32_e32 v13, 0, v13, vcc_lo
	v_cmp_nlt_f32_e32 vcc_lo, 0x42b17218, v12
	v_dual_add_f32 v14, v14, v26 :: v_dual_cndmask_b32 v13, 0x7f800000, v13
	s_delay_alu instid0(VALU_DEP_1) | instskip(SKIP_3) | instid1(VALU_DEP_1)
	v_exp_f32_e32 v14, v14
	v_cmp_ngt_f32_e32 vcc_lo, 0xc2ce8ed0, v10
	s_waitcnt_depctr 0xfff
	v_ldexp_f32 v14, v14, v15
	v_cndmask_b32_e32 v14, 0, v14, vcc_lo
	v_cmp_le_f32_e32 vcc_lo, 0xc1a00000, v12
	v_cndmask_b32_e32 v12, 0, v13, vcc_lo
	v_cmp_nlt_f32_e32 vcc_lo, 0x42b17218, v10
	s_delay_alu instid0(VALU_DEP_4) | instskip(NEXT) | instid1(VALU_DEP_1)
	v_cndmask_b32_e32 v10, 0x7f800000, v14, vcc_lo
	v_fmac_f32_e32 v10, v9, v12
	s_delay_alu instid0(VALU_DEP_1) | instskip(SKIP_1) | instid1(VALU_DEP_1)
	v_mov_b32_e32 v9, v10
	v_cvt_f16_f32_e32 v13, v12
	v_pk_mul_f16 v16, v13, v16 op_sel_hi:[0,1]
	v_pk_mul_f16 v17, v13, v17 op_sel_hi:[0,1]
	;; [unrolled: 1-line block ×16, first 2 shown]
.LBB0_153:                              ;   in Loop: Header=BB0_10 Depth=1
	s_or_b32 exec_lo, exec_lo, s4
	s_and_saveexec_b32 s4, s3
	s_cbranch_execz .LBB0_155
; %bb.154:                              ;   in Loop: Header=BB0_10 Depth=1
	v_add_nc_u32_e32 v10, 0, v118
	ds_store_2addr_b32 v10, v25, v9 offset0:32 offset1:33
.LBB0_155:                              ;   in Loop: Header=BB0_10 Depth=1
	s_or_b32 exec_lo, exec_lo, s4
	s_waitcnt lgkmcnt(0)
	s_barrier
	buffer_gl0_inv
	s_and_saveexec_b32 s4, s2
	s_delay_alu instid0(SALU_CYCLE_1)
	s_xor_b32 s4, exec_lo, s4
	s_cbranch_execz .LBB0_157
; %bb.156:                              ;   in Loop: Header=BB0_10 Depth=1
	s_barrier
	buffer_gl0_inv
                                        ; implicit-def: $vgpr24
.LBB0_157:                              ;   in Loop: Header=BB0_10 Depth=1
	s_and_not1_saveexec_b32 s4, s4
	s_cbranch_execz .LBB0_159
; %bb.158:                              ;   in Loop: Header=BB0_10 Depth=1
	v_add_nc_u32_e32 v9, 0, v118
	s_delay_alu instid0(VALU_DEP_1)
	v_add_nc_u32_e32 v13, 0x80, v9
	ds_load_2addr_stride64_b64 v[9:12], v13 offset1:9
	s_waitcnt lgkmcnt(0)
	s_barrier
	buffer_gl0_inv
	v_dual_max_f32 v14, v11, v11 :: v_dual_max_f32 v15, v9, v9
	s_delay_alu instid0(VALU_DEP_1) | instskip(SKIP_3) | instid1(VALU_DEP_1)
	v_max_f32_e32 v14, v15, v14
	ds_bpermute_b32 v15, v24, v14
	s_waitcnt lgkmcnt(0)
	v_max_f32_e32 v15, v15, v15
	v_max_f32_e32 v14, v14, v15
	s_delay_alu instid0(VALU_DEP_1) | instskip(NEXT) | instid1(VALU_DEP_1)
	v_sub_f32_e32 v11, v11, v14
	v_dual_sub_f32 v14, v9, v14 :: v_dual_mul_f32 v9, 0x3fb8aa3b, v11
	s_delay_alu instid0(VALU_DEP_1) | instskip(SKIP_1) | instid1(VALU_DEP_3)
	v_mul_f32_e32 v15, 0x3fb8aa3b, v14
	v_cmp_ngt_f32_e32 vcc_lo, 0xc2ce8ed0, v11
	v_fma_f32 v25, 0x3fb8aa3b, v11, -v9
	v_rndne_f32_e32 v26, v9
	s_delay_alu instid0(VALU_DEP_4) | instskip(SKIP_1) | instid1(VALU_DEP_4)
	v_fma_f32 v27, 0x3fb8aa3b, v14, -v15
	v_rndne_f32_e32 v28, v15
	v_fmac_f32_e32 v25, 0x32a5705f, v11
	s_delay_alu instid0(VALU_DEP_4) | instskip(NEXT) | instid1(VALU_DEP_4)
	v_sub_f32_e32 v9, v9, v26
	v_fmac_f32_e32 v27, 0x32a5705f, v14
	s_delay_alu instid0(VALU_DEP_4) | instskip(NEXT) | instid1(VALU_DEP_3)
	v_sub_f32_e32 v15, v15, v28
	v_add_f32_e32 v9, v9, v25
	v_cvt_i32_f32_e32 v25, v26
	s_delay_alu instid0(VALU_DEP_3) | instskip(SKIP_1) | instid1(VALU_DEP_4)
	v_add_f32_e32 v15, v15, v27
	v_cvt_i32_f32_e32 v26, v28
	v_exp_f32_e32 v9, v9
	s_delay_alu instid0(VALU_DEP_2) | instskip(SKIP_3) | instid1(VALU_DEP_2)
	v_exp_f32_e32 v15, v15
	s_waitcnt_depctr 0xfff
	v_ldexp_f32 v9, v9, v25
	v_ldexp_f32 v15, v15, v26
	v_cndmask_b32_e32 v9, 0, v9, vcc_lo
	v_cmp_ngt_f32_e32 vcc_lo, 0xc2ce8ed0, v14
	s_delay_alu instid0(VALU_DEP_3) | instskip(SKIP_1) | instid1(VALU_DEP_4)
	v_cndmask_b32_e32 v15, 0, v15, vcc_lo
	v_cmp_nlt_f32_e32 vcc_lo, 0x42b17218, v11
	v_cndmask_b32_e32 v9, 0x7f800000, v9, vcc_lo
	v_cmp_nlt_f32_e32 vcc_lo, 0x42b17218, v14
	s_delay_alu instid0(VALU_DEP_2) | instskip(NEXT) | instid1(VALU_DEP_1)
	v_dual_mul_f32 v12, v12, v9 :: v_dual_cndmask_b32 v11, 0x7f800000, v15
	v_fmac_f32_e32 v12, v10, v11
	ds_bpermute_b32 v10, v24, v12
	s_waitcnt lgkmcnt(0)
	v_add_f32_e32 v12, v12, v10
	s_delay_alu instid0(VALU_DEP_1)
	v_mov_b32_e32 v10, v12
	ds_store_2addr_stride64_b64 v13, v[11:12], v[9:10] offset1:9
.LBB0_159:                              ;   in Loop: Header=BB0_10 Depth=1
	s_or_b32 exec_lo, exec_lo, s4
	ds_store_2addr_b32 v119, v16, v17 offset1:2
	ds_store_2addr_b32 v119, v18, v19 offset0:4 offset1:6
	ds_store_2addr_b32 v119, v20, v21 offset0:8 offset1:10
	;; [unrolled: 1-line block ×7, first 2 shown]
	s_waitcnt lgkmcnt(0)
	s_barrier
	buffer_gl0_inv
	s_and_saveexec_b32 s6, s1
	s_cbranch_execz .LBB0_8
; %bb.160:                              ;   in Loop: Header=BB0_10 Depth=1
	v_add_nc_u32_e32 v1, s66, v165
	v_or_b32_e32 v2, s86, v92
	s_delay_alu instid0(VALU_DEP_1) | instskip(SKIP_1) | instid1(VALU_DEP_4)
	v_cmp_gt_i32_e64 s4, s33, v2
	v_mov_b32_e32 v2, 0x47
	v_cmp_gt_i32_e32 vcc_lo, s8, v1
	s_delay_alu instid0(VALU_DEP_3) | instskip(NEXT) | instid1(SALU_CYCLE_1)
	s_and_b32 s5, vcc_lo, s4
	s_and_saveexec_b32 s7, s5
	s_cbranch_execz .LBB0_162
; %bb.161:                              ;   in Loop: Header=BB0_10 Depth=1
	v_add_nc_u32_e32 v10, 0, v121
	ds_load_2addr_stride64_b32 v[2:3], v122 offset1:9
	v_add_nc_u32_e32 v6, 0x80, v10
	ds_load_2addr_b32 v[4:5], v10 offset0:32 offset1:33
	ds_load_2addr_stride64_b32 v[6:7], v6 offset0:9 offset1:18
	ds_load_2addr_stride64_b32 v[8:9], v122 offset0:18 offset1:27
	ds_load_b32 v10, v10 offset:7040
	s_waitcnt lgkmcnt(3)
	v_fma_mix_f32 v11, v4, v2, 0 op_sel_hi:[0,1,0]
	v_fma_mix_f32 v2, v4, v2, 0 op_sel:[0,1,0] op_sel_hi:[0,1,0]
	s_waitcnt lgkmcnt(2)
	s_delay_alu instid0(VALU_DEP_2) | instskip(NEXT) | instid1(VALU_DEP_2)
	v_fma_mix_f32 v4, v6, v3, v11 op_sel_hi:[0,1,0]
	v_fma_mix_f32 v2, v6, v3, v2 op_sel:[0,1,0] op_sel_hi:[0,1,0]
	s_waitcnt lgkmcnt(1)
	s_delay_alu instid0(VALU_DEP_2) | instskip(NEXT) | instid1(VALU_DEP_2)
	;; [unrolled: 4-line block ×3, first 2 shown]
	v_fma_mix_f32 v4, v10, v9, v3 op_sel_hi:[0,1,0]
	v_fma_mix_f32 v6, v10, v9, v2 op_sel:[0,1,0] op_sel_hi:[0,1,0]
	s_delay_alu instid0(VALU_DEP_2) | instskip(NEXT) | instid1(VALU_DEP_2)
	v_div_scale_f32 v7, null, v5, v5, v4
	v_div_scale_f32 v8, null, v5, v5, v6
	v_div_scale_f32 v11, vcc_lo, v4, v5, v4
	s_delay_alu instid0(VALU_DEP_3) | instskip(NEXT) | instid1(VALU_DEP_2)
	v_rcp_f32_e32 v9, v7
	v_rcp_f32_e32 v10, v8
	v_div_scale_f32 v12, s5, v6, v5, v6
	s_waitcnt_depctr 0xfff
	v_fma_f32 v2, -v7, v9, 1.0
	v_fma_f32 v3, -v8, v10, 1.0
	s_delay_alu instid0(VALU_DEP_2) | instskip(NEXT) | instid1(VALU_DEP_1)
	v_fmac_f32_e32 v9, v2, v9
	v_mul_f32_e32 v13, v11, v9
	s_delay_alu instid0(VALU_DEP_3) | instskip(SKIP_1) | instid1(VALU_DEP_3)
	v_fmac_f32_e32 v10, v3, v10
	v_mad_u64_u32 v[2:3], null, v1, s9, v[92:93]
	v_fma_f32 v1, -v7, v13, v11
	s_delay_alu instid0(VALU_DEP_1) | instskip(NEXT) | instid1(VALU_DEP_3)
	v_dual_fmac_f32 v13, v1, v9 :: v_dual_mul_f32 v14, v12, v10
	v_lshl_add_u32 v1, v2, 5, v56
	s_delay_alu instid0(VALU_DEP_2) | instskip(NEXT) | instid1(VALU_DEP_2)
	v_fma_f32 v3, -v8, v14, v12
	v_ashrrev_i32_e32 v2, 31, v1
	s_delay_alu instid0(VALU_DEP_2) | instskip(SKIP_1) | instid1(VALU_DEP_3)
	v_fmac_f32_e32 v14, v3, v10
	v_fma_f32 v3, -v7, v13, v11
	v_lshlrev_b64 v[1:2], 3, v[1:2]
	s_delay_alu instid0(VALU_DEP_3) | instskip(NEXT) | instid1(VALU_DEP_3)
	v_fma_f32 v7, -v8, v14, v12
	v_div_fmas_f32 v3, v3, v9, v13
	s_mov_b32 vcc_lo, s5
	s_delay_alu instid0(VALU_DEP_2) | instskip(NEXT) | instid1(VALU_DEP_2)
	v_div_fmas_f32 v7, v7, v10, v14
	v_div_fixup_f32 v3, v3, v5, v4
	s_delay_alu instid0(VALU_DEP_2)
	v_div_fixup_f32 v4, v7, v5, v6
	v_add_co_u32 v5, vcc_lo, s41, v1
	v_add_co_ci_u32_e32 v6, vcc_lo, s59, v2, vcc_lo
	v_mov_b32_e32 v2, 0
	global_store_b64 v[5:6], v[3:4], off
.LBB0_162:                              ;   in Loop: Header=BB0_10 Depth=1
	s_or_b32 exec_lo, exec_lo, s7
	s_mov_b32 s5, -1
	s_mov_b32 s7, exec_lo
	v_cmpx_gt_i32_e32 0x47, v2
; %bb.163:                              ;   in Loop: Header=BB0_10 Depth=1
	v_cmp_eq_u32_e32 vcc_lo, 0, v2
	s_or_not1_b32 s5, vcc_lo, exec_lo
; %bb.164:                              ;   in Loop: Header=BB0_10 Depth=1
	s_or_b32 exec_lo, exec_lo, s7
	s_delay_alu instid0(SALU_CYCLE_1)
	s_and_b32 exec_lo, exec_lo, s5
	s_cbranch_execz .LBB0_8
; %bb.165:                              ;   in Loop: Header=BB0_10 Depth=1
	v_add_nc_u32_e32 v1, s66, v166
	v_or_b32_e32 v2, s86, v75
	s_delay_alu instid0(VALU_DEP_1) | instskip(SKIP_1) | instid1(VALU_DEP_4)
	v_cmp_gt_i32_e64 s5, s33, v2
	v_mov_b32_e32 v2, 0x47
	v_cmp_gt_i32_e32 vcc_lo, s8, v1
	s_delay_alu instid0(VALU_DEP_3) | instskip(NEXT) | instid1(SALU_CYCLE_1)
	s_and_b32 s5, vcc_lo, s5
	s_and_saveexec_b32 s7, s5
	s_cbranch_execz .LBB0_167
; %bb.166:                              ;   in Loop: Header=BB0_10 Depth=1
	v_add_nc_u32_e32 v10, 0, v123
	ds_load_2addr_stride64_b32 v[2:3], v124 offset1:9
	v_add_nc_u32_e32 v6, 0x80, v10
	ds_load_2addr_b32 v[4:5], v10 offset0:32 offset1:33
	ds_load_2addr_stride64_b32 v[6:7], v6 offset0:9 offset1:18
	ds_load_2addr_stride64_b32 v[8:9], v124 offset0:18 offset1:27
	ds_load_b32 v10, v10 offset:7040
	s_waitcnt lgkmcnt(3)
	v_fma_mix_f32 v11, v4, v2, 0 op_sel_hi:[0,1,0]
	v_fma_mix_f32 v2, v4, v2, 0 op_sel:[0,1,0] op_sel_hi:[0,1,0]
	s_waitcnt lgkmcnt(2)
	s_delay_alu instid0(VALU_DEP_2) | instskip(NEXT) | instid1(VALU_DEP_2)
	v_fma_mix_f32 v4, v6, v3, v11 op_sel_hi:[0,1,0]
	v_fma_mix_f32 v2, v6, v3, v2 op_sel:[0,1,0] op_sel_hi:[0,1,0]
	s_waitcnt lgkmcnt(1)
	s_delay_alu instid0(VALU_DEP_2) | instskip(NEXT) | instid1(VALU_DEP_2)
	;; [unrolled: 4-line block ×3, first 2 shown]
	v_fma_mix_f32 v4, v10, v9, v3 op_sel_hi:[0,1,0]
	v_fma_mix_f32 v6, v10, v9, v2 op_sel:[0,1,0] op_sel_hi:[0,1,0]
	s_delay_alu instid0(VALU_DEP_2) | instskip(NEXT) | instid1(VALU_DEP_2)
	v_div_scale_f32 v7, null, v5, v5, v4
	v_div_scale_f32 v8, null, v5, v5, v6
	v_div_scale_f32 v11, vcc_lo, v4, v5, v4
	s_delay_alu instid0(VALU_DEP_3) | instskip(NEXT) | instid1(VALU_DEP_2)
	v_rcp_f32_e32 v9, v7
	v_rcp_f32_e32 v10, v8
	v_div_scale_f32 v12, s5, v6, v5, v6
	s_waitcnt_depctr 0xfff
	v_fma_f32 v2, -v7, v9, 1.0
	v_fma_f32 v3, -v8, v10, 1.0
	s_delay_alu instid0(VALU_DEP_2) | instskip(NEXT) | instid1(VALU_DEP_1)
	v_fmac_f32_e32 v9, v2, v9
	v_mul_f32_e32 v13, v11, v9
	s_delay_alu instid0(VALU_DEP_3) | instskip(SKIP_1) | instid1(VALU_DEP_3)
	v_fmac_f32_e32 v10, v3, v10
	v_mad_u64_u32 v[2:3], null, v1, s9, v[75:76]
	v_fma_f32 v1, -v7, v13, v11
	s_delay_alu instid0(VALU_DEP_1) | instskip(NEXT) | instid1(VALU_DEP_3)
	v_dual_fmac_f32 v13, v1, v9 :: v_dual_mul_f32 v14, v12, v10
	v_lshl_add_u32 v1, v2, 5, v56
	s_delay_alu instid0(VALU_DEP_2) | instskip(NEXT) | instid1(VALU_DEP_2)
	v_fma_f32 v3, -v8, v14, v12
	v_ashrrev_i32_e32 v2, 31, v1
	s_delay_alu instid0(VALU_DEP_2) | instskip(SKIP_1) | instid1(VALU_DEP_3)
	v_fmac_f32_e32 v14, v3, v10
	v_fma_f32 v3, -v7, v13, v11
	v_lshlrev_b64 v[1:2], 3, v[1:2]
	s_delay_alu instid0(VALU_DEP_3) | instskip(NEXT) | instid1(VALU_DEP_3)
	v_fma_f32 v7, -v8, v14, v12
	v_div_fmas_f32 v3, v3, v9, v13
	s_mov_b32 vcc_lo, s5
	s_delay_alu instid0(VALU_DEP_2) | instskip(NEXT) | instid1(VALU_DEP_2)
	v_div_fmas_f32 v7, v7, v10, v14
	v_div_fixup_f32 v3, v3, v5, v4
	s_delay_alu instid0(VALU_DEP_2)
	v_div_fixup_f32 v4, v7, v5, v6
	v_add_co_u32 v5, vcc_lo, s41, v1
	v_add_co_ci_u32_e32 v6, vcc_lo, s59, v2, vcc_lo
	v_mov_b32_e32 v2, 0
	global_store_b64 v[5:6], v[3:4], off
.LBB0_167:                              ;   in Loop: Header=BB0_10 Depth=1
	s_or_b32 exec_lo, exec_lo, s7
	s_mov_b32 s5, -1
	s_mov_b32 s7, exec_lo
	v_cmpx_gt_i32_e32 0x47, v2
; %bb.168:                              ;   in Loop: Header=BB0_10 Depth=1
	v_cmp_eq_u32_e32 vcc_lo, 0, v2
	s_or_not1_b32 s5, vcc_lo, exec_lo
; %bb.169:                              ;   in Loop: Header=BB0_10 Depth=1
	s_or_b32 exec_lo, exec_lo, s7
	s_delay_alu instid0(SALU_CYCLE_1)
	s_and_b32 exec_lo, exec_lo, s5
	s_cbranch_execz .LBB0_8
; %bb.170:                              ;   in Loop: Header=BB0_10 Depth=1
	v_add_nc_u32_e32 v1, s66, v167
	v_or_b32_e32 v2, s86, v76
	s_delay_alu instid0(VALU_DEP_1) | instskip(SKIP_1) | instid1(VALU_DEP_4)
	v_cmp_gt_i32_e64 s5, s33, v2
	v_mov_b32_e32 v2, 0x47
	v_cmp_gt_i32_e32 vcc_lo, s8, v1
	s_delay_alu instid0(VALU_DEP_3) | instskip(NEXT) | instid1(SALU_CYCLE_1)
	s_and_b32 s5, vcc_lo, s5
	s_and_saveexec_b32 s7, s5
	s_cbranch_execz .LBB0_172
; %bb.171:                              ;   in Loop: Header=BB0_10 Depth=1
	v_add_nc_u32_e32 v10, 0, v125
	ds_load_2addr_stride64_b32 v[2:3], v126 offset1:9
	v_add_nc_u32_e32 v6, 0x80, v10
	ds_load_2addr_b32 v[4:5], v10 offset0:32 offset1:33
	ds_load_2addr_stride64_b32 v[6:7], v6 offset0:9 offset1:18
	ds_load_2addr_stride64_b32 v[8:9], v126 offset0:18 offset1:27
	ds_load_b32 v10, v10 offset:7040
	s_waitcnt lgkmcnt(3)
	v_fma_mix_f32 v11, v4, v2, 0 op_sel_hi:[0,1,0]
	v_fma_mix_f32 v2, v4, v2, 0 op_sel:[0,1,0] op_sel_hi:[0,1,0]
	s_waitcnt lgkmcnt(2)
	s_delay_alu instid0(VALU_DEP_2) | instskip(NEXT) | instid1(VALU_DEP_2)
	v_fma_mix_f32 v4, v6, v3, v11 op_sel_hi:[0,1,0]
	v_fma_mix_f32 v2, v6, v3, v2 op_sel:[0,1,0] op_sel_hi:[0,1,0]
	s_waitcnt lgkmcnt(1)
	s_delay_alu instid0(VALU_DEP_2) | instskip(NEXT) | instid1(VALU_DEP_2)
	v_fma_mix_f32 v3, v7, v8, v4 op_sel_hi:[0,1,0]
	v_fma_mix_f32 v2, v7, v8, v2 op_sel:[0,1,0] op_sel_hi:[0,1,0]
	s_waitcnt lgkmcnt(0)
	s_delay_alu instid0(VALU_DEP_2) | instskip(NEXT) | instid1(VALU_DEP_2)
	v_fma_mix_f32 v4, v10, v9, v3 op_sel_hi:[0,1,0]
	v_fma_mix_f32 v6, v10, v9, v2 op_sel:[0,1,0] op_sel_hi:[0,1,0]
	s_delay_alu instid0(VALU_DEP_2) | instskip(NEXT) | instid1(VALU_DEP_2)
	v_div_scale_f32 v7, null, v5, v5, v4
	v_div_scale_f32 v8, null, v5, v5, v6
	v_div_scale_f32 v11, vcc_lo, v4, v5, v4
	s_delay_alu instid0(VALU_DEP_3) | instskip(NEXT) | instid1(VALU_DEP_2)
	v_rcp_f32_e32 v9, v7
	v_rcp_f32_e32 v10, v8
	v_div_scale_f32 v12, s5, v6, v5, v6
	s_waitcnt_depctr 0xfff
	v_fma_f32 v2, -v7, v9, 1.0
	v_fma_f32 v3, -v8, v10, 1.0
	s_delay_alu instid0(VALU_DEP_2) | instskip(NEXT) | instid1(VALU_DEP_1)
	v_fmac_f32_e32 v9, v2, v9
	v_mul_f32_e32 v13, v11, v9
	s_delay_alu instid0(VALU_DEP_3) | instskip(SKIP_1) | instid1(VALU_DEP_3)
	v_fmac_f32_e32 v10, v3, v10
	v_mad_u64_u32 v[2:3], null, v1, s9, v[76:77]
	v_fma_f32 v1, -v7, v13, v11
	s_delay_alu instid0(VALU_DEP_1) | instskip(NEXT) | instid1(VALU_DEP_3)
	v_dual_fmac_f32 v13, v1, v9 :: v_dual_mul_f32 v14, v12, v10
	v_lshl_add_u32 v1, v2, 5, v56
	s_delay_alu instid0(VALU_DEP_2) | instskip(NEXT) | instid1(VALU_DEP_2)
	v_fma_f32 v3, -v8, v14, v12
	v_ashrrev_i32_e32 v2, 31, v1
	s_delay_alu instid0(VALU_DEP_2) | instskip(SKIP_1) | instid1(VALU_DEP_3)
	v_fmac_f32_e32 v14, v3, v10
	v_fma_f32 v3, -v7, v13, v11
	v_lshlrev_b64 v[1:2], 3, v[1:2]
	s_delay_alu instid0(VALU_DEP_3) | instskip(NEXT) | instid1(VALU_DEP_3)
	v_fma_f32 v7, -v8, v14, v12
	v_div_fmas_f32 v3, v3, v9, v13
	s_mov_b32 vcc_lo, s5
	s_delay_alu instid0(VALU_DEP_2) | instskip(NEXT) | instid1(VALU_DEP_2)
	v_div_fmas_f32 v7, v7, v10, v14
	v_div_fixup_f32 v3, v3, v5, v4
	s_delay_alu instid0(VALU_DEP_2)
	v_div_fixup_f32 v4, v7, v5, v6
	v_add_co_u32 v5, vcc_lo, s41, v1
	v_add_co_ci_u32_e32 v6, vcc_lo, s59, v2, vcc_lo
	v_mov_b32_e32 v2, 0
	global_store_b64 v[5:6], v[3:4], off
.LBB0_172:                              ;   in Loop: Header=BB0_10 Depth=1
	s_or_b32 exec_lo, exec_lo, s7
	s_mov_b32 s5, -1
	s_mov_b32 s7, exec_lo
	v_cmpx_gt_i32_e32 0x47, v2
; %bb.173:                              ;   in Loop: Header=BB0_10 Depth=1
	v_cmp_eq_u32_e32 vcc_lo, 0, v2
	s_or_not1_b32 s5, vcc_lo, exec_lo
; %bb.174:                              ;   in Loop: Header=BB0_10 Depth=1
	s_or_b32 exec_lo, exec_lo, s7
	s_delay_alu instid0(SALU_CYCLE_1)
	s_and_b32 exec_lo, exec_lo, s5
	s_cbranch_execz .LBB0_8
; %bb.175:                              ;   in Loop: Header=BB0_10 Depth=1
	v_add_nc_u32_e32 v1, s66, v168
	v_or_b32_e32 v2, s86, v77
	s_delay_alu instid0(VALU_DEP_1) | instskip(SKIP_1) | instid1(VALU_DEP_4)
	v_cmp_gt_i32_e64 s5, s33, v2
	v_mov_b32_e32 v2, 0x47
	v_cmp_gt_i32_e32 vcc_lo, s8, v1
	s_delay_alu instid0(VALU_DEP_3) | instskip(NEXT) | instid1(SALU_CYCLE_1)
	s_and_b32 s5, vcc_lo, s5
	s_and_saveexec_b32 s7, s5
	s_cbranch_execz .LBB0_177
; %bb.176:                              ;   in Loop: Header=BB0_10 Depth=1
	v_add_nc_u32_e32 v10, 0, v127
	ds_load_2addr_stride64_b32 v[2:3], v128 offset1:9
	v_add_nc_u32_e32 v6, 0x80, v10
	ds_load_2addr_b32 v[4:5], v10 offset0:32 offset1:33
	ds_load_2addr_stride64_b32 v[6:7], v6 offset0:9 offset1:18
	ds_load_2addr_stride64_b32 v[8:9], v128 offset0:18 offset1:27
	ds_load_b32 v10, v10 offset:7040
	s_waitcnt lgkmcnt(3)
	v_fma_mix_f32 v11, v4, v2, 0 op_sel_hi:[0,1,0]
	v_fma_mix_f32 v2, v4, v2, 0 op_sel:[0,1,0] op_sel_hi:[0,1,0]
	s_waitcnt lgkmcnt(2)
	s_delay_alu instid0(VALU_DEP_2) | instskip(NEXT) | instid1(VALU_DEP_2)
	v_fma_mix_f32 v4, v6, v3, v11 op_sel_hi:[0,1,0]
	v_fma_mix_f32 v2, v6, v3, v2 op_sel:[0,1,0] op_sel_hi:[0,1,0]
	s_waitcnt lgkmcnt(1)
	s_delay_alu instid0(VALU_DEP_2) | instskip(NEXT) | instid1(VALU_DEP_2)
	;; [unrolled: 4-line block ×3, first 2 shown]
	v_fma_mix_f32 v4, v10, v9, v3 op_sel_hi:[0,1,0]
	v_fma_mix_f32 v6, v10, v9, v2 op_sel:[0,1,0] op_sel_hi:[0,1,0]
	s_delay_alu instid0(VALU_DEP_2) | instskip(NEXT) | instid1(VALU_DEP_2)
	v_div_scale_f32 v7, null, v5, v5, v4
	v_div_scale_f32 v8, null, v5, v5, v6
	v_div_scale_f32 v11, vcc_lo, v4, v5, v4
	s_delay_alu instid0(VALU_DEP_3) | instskip(NEXT) | instid1(VALU_DEP_2)
	v_rcp_f32_e32 v9, v7
	v_rcp_f32_e32 v10, v8
	v_div_scale_f32 v12, s5, v6, v5, v6
	s_waitcnt_depctr 0xfff
	v_fma_f32 v2, -v7, v9, 1.0
	v_fma_f32 v3, -v8, v10, 1.0
	s_delay_alu instid0(VALU_DEP_2) | instskip(NEXT) | instid1(VALU_DEP_1)
	v_fmac_f32_e32 v9, v2, v9
	v_mul_f32_e32 v13, v11, v9
	s_delay_alu instid0(VALU_DEP_3) | instskip(SKIP_1) | instid1(VALU_DEP_3)
	v_fmac_f32_e32 v10, v3, v10
	v_mad_u64_u32 v[2:3], null, v1, s9, v[77:78]
	v_fma_f32 v1, -v7, v13, v11
	s_delay_alu instid0(VALU_DEP_1) | instskip(NEXT) | instid1(VALU_DEP_3)
	v_dual_fmac_f32 v13, v1, v9 :: v_dual_mul_f32 v14, v12, v10
	v_lshl_add_u32 v1, v2, 5, v56
	s_delay_alu instid0(VALU_DEP_2) | instskip(NEXT) | instid1(VALU_DEP_2)
	v_fma_f32 v3, -v8, v14, v12
	v_ashrrev_i32_e32 v2, 31, v1
	s_delay_alu instid0(VALU_DEP_2) | instskip(SKIP_1) | instid1(VALU_DEP_3)
	v_fmac_f32_e32 v14, v3, v10
	v_fma_f32 v3, -v7, v13, v11
	v_lshlrev_b64 v[1:2], 3, v[1:2]
	s_delay_alu instid0(VALU_DEP_3) | instskip(NEXT) | instid1(VALU_DEP_3)
	v_fma_f32 v7, -v8, v14, v12
	v_div_fmas_f32 v3, v3, v9, v13
	s_mov_b32 vcc_lo, s5
	s_delay_alu instid0(VALU_DEP_2) | instskip(NEXT) | instid1(VALU_DEP_2)
	v_div_fmas_f32 v7, v7, v10, v14
	v_div_fixup_f32 v3, v3, v5, v4
	s_delay_alu instid0(VALU_DEP_2)
	v_div_fixup_f32 v4, v7, v5, v6
	v_add_co_u32 v5, vcc_lo, s41, v1
	v_add_co_ci_u32_e32 v6, vcc_lo, s59, v2, vcc_lo
	v_mov_b32_e32 v2, 0
	global_store_b64 v[5:6], v[3:4], off
.LBB0_177:                              ;   in Loop: Header=BB0_10 Depth=1
	s_or_b32 exec_lo, exec_lo, s7
	s_mov_b32 s5, -1
	s_mov_b32 s7, exec_lo
	v_cmpx_gt_i32_e32 0x47, v2
; %bb.178:                              ;   in Loop: Header=BB0_10 Depth=1
	v_cmp_eq_u32_e32 vcc_lo, 0, v2
	s_or_not1_b32 s5, vcc_lo, exec_lo
; %bb.179:                              ;   in Loop: Header=BB0_10 Depth=1
	s_or_b32 exec_lo, exec_lo, s7
	s_delay_alu instid0(SALU_CYCLE_1)
	s_and_b32 exec_lo, exec_lo, s5
	s_cbranch_execz .LBB0_8
; %bb.180:                              ;   in Loop: Header=BB0_10 Depth=1
	v_add_nc_u32_e32 v1, s66, v169
	v_or_b32_e32 v2, s86, v78
	s_delay_alu instid0(VALU_DEP_1) | instskip(SKIP_1) | instid1(VALU_DEP_4)
	v_cmp_gt_i32_e64 s5, s33, v2
	v_mov_b32_e32 v2, 0x47
	v_cmp_gt_i32_e32 vcc_lo, s8, v1
	s_delay_alu instid0(VALU_DEP_3) | instskip(NEXT) | instid1(SALU_CYCLE_1)
	s_and_b32 s5, vcc_lo, s5
	s_and_saveexec_b32 s7, s5
	s_cbranch_execz .LBB0_182
; %bb.181:                              ;   in Loop: Header=BB0_10 Depth=1
	v_add_nc_u32_e32 v10, 0, v129
	ds_load_2addr_stride64_b32 v[2:3], v130 offset1:9
	v_add_nc_u32_e32 v6, 0x80, v10
	ds_load_2addr_b32 v[4:5], v10 offset0:32 offset1:33
	ds_load_2addr_stride64_b32 v[6:7], v6 offset0:9 offset1:18
	ds_load_2addr_stride64_b32 v[8:9], v130 offset0:18 offset1:27
	ds_load_b32 v10, v10 offset:7040
	s_waitcnt lgkmcnt(3)
	v_fma_mix_f32 v11, v4, v2, 0 op_sel_hi:[0,1,0]
	v_fma_mix_f32 v2, v4, v2, 0 op_sel:[0,1,0] op_sel_hi:[0,1,0]
	s_waitcnt lgkmcnt(2)
	s_delay_alu instid0(VALU_DEP_2) | instskip(NEXT) | instid1(VALU_DEP_2)
	v_fma_mix_f32 v4, v6, v3, v11 op_sel_hi:[0,1,0]
	v_fma_mix_f32 v2, v6, v3, v2 op_sel:[0,1,0] op_sel_hi:[0,1,0]
	s_waitcnt lgkmcnt(1)
	s_delay_alu instid0(VALU_DEP_2) | instskip(NEXT) | instid1(VALU_DEP_2)
	;; [unrolled: 4-line block ×3, first 2 shown]
	v_fma_mix_f32 v4, v10, v9, v3 op_sel_hi:[0,1,0]
	v_fma_mix_f32 v6, v10, v9, v2 op_sel:[0,1,0] op_sel_hi:[0,1,0]
	s_delay_alu instid0(VALU_DEP_2) | instskip(NEXT) | instid1(VALU_DEP_2)
	v_div_scale_f32 v7, null, v5, v5, v4
	v_div_scale_f32 v8, null, v5, v5, v6
	v_div_scale_f32 v11, vcc_lo, v4, v5, v4
	s_delay_alu instid0(VALU_DEP_3) | instskip(NEXT) | instid1(VALU_DEP_2)
	v_rcp_f32_e32 v9, v7
	v_rcp_f32_e32 v10, v8
	v_div_scale_f32 v12, s5, v6, v5, v6
	s_waitcnt_depctr 0xfff
	v_fma_f32 v2, -v7, v9, 1.0
	v_fma_f32 v3, -v8, v10, 1.0
	s_delay_alu instid0(VALU_DEP_2) | instskip(NEXT) | instid1(VALU_DEP_1)
	v_fmac_f32_e32 v9, v2, v9
	v_mul_f32_e32 v13, v11, v9
	s_delay_alu instid0(VALU_DEP_3) | instskip(SKIP_1) | instid1(VALU_DEP_3)
	v_fmac_f32_e32 v10, v3, v10
	v_mad_u64_u32 v[2:3], null, v1, s9, v[78:79]
	v_fma_f32 v1, -v7, v13, v11
	s_delay_alu instid0(VALU_DEP_1) | instskip(NEXT) | instid1(VALU_DEP_3)
	v_dual_fmac_f32 v13, v1, v9 :: v_dual_mul_f32 v14, v12, v10
	v_lshl_add_u32 v1, v2, 5, v56
	s_delay_alu instid0(VALU_DEP_2) | instskip(NEXT) | instid1(VALU_DEP_2)
	v_fma_f32 v3, -v8, v14, v12
	v_ashrrev_i32_e32 v2, 31, v1
	s_delay_alu instid0(VALU_DEP_2) | instskip(SKIP_1) | instid1(VALU_DEP_3)
	v_fmac_f32_e32 v14, v3, v10
	v_fma_f32 v3, -v7, v13, v11
	v_lshlrev_b64 v[1:2], 3, v[1:2]
	s_delay_alu instid0(VALU_DEP_3) | instskip(NEXT) | instid1(VALU_DEP_3)
	v_fma_f32 v7, -v8, v14, v12
	v_div_fmas_f32 v3, v3, v9, v13
	s_mov_b32 vcc_lo, s5
	s_delay_alu instid0(VALU_DEP_2) | instskip(NEXT) | instid1(VALU_DEP_2)
	v_div_fmas_f32 v7, v7, v10, v14
	v_div_fixup_f32 v3, v3, v5, v4
	s_delay_alu instid0(VALU_DEP_2)
	v_div_fixup_f32 v4, v7, v5, v6
	v_add_co_u32 v5, vcc_lo, s41, v1
	v_add_co_ci_u32_e32 v6, vcc_lo, s59, v2, vcc_lo
	v_mov_b32_e32 v2, 0
	global_store_b64 v[5:6], v[3:4], off
.LBB0_182:                              ;   in Loop: Header=BB0_10 Depth=1
	s_or_b32 exec_lo, exec_lo, s7
	s_mov_b32 s5, -1
	s_mov_b32 s7, exec_lo
	v_cmpx_gt_i32_e32 0x47, v2
; %bb.183:                              ;   in Loop: Header=BB0_10 Depth=1
	v_cmp_eq_u32_e32 vcc_lo, 0, v2
	s_or_not1_b32 s5, vcc_lo, exec_lo
; %bb.184:                              ;   in Loop: Header=BB0_10 Depth=1
	s_or_b32 exec_lo, exec_lo, s7
	s_delay_alu instid0(SALU_CYCLE_1)
	s_and_b32 exec_lo, exec_lo, s5
	s_cbranch_execz .LBB0_8
; %bb.185:                              ;   in Loop: Header=BB0_10 Depth=1
	v_add_nc_u32_e32 v1, s66, v170
	v_or_b32_e32 v2, s86, v79
	s_delay_alu instid0(VALU_DEP_1) | instskip(SKIP_1) | instid1(VALU_DEP_4)
	v_cmp_gt_i32_e64 s5, s33, v2
	v_mov_b32_e32 v2, 0x47
	v_cmp_gt_i32_e32 vcc_lo, s8, v1
	s_delay_alu instid0(VALU_DEP_3) | instskip(NEXT) | instid1(SALU_CYCLE_1)
	s_and_b32 s5, vcc_lo, s5
	s_and_saveexec_b32 s7, s5
	s_cbranch_execz .LBB0_187
; %bb.186:                              ;   in Loop: Header=BB0_10 Depth=1
	v_add_nc_u32_e32 v10, 0, v131
	ds_load_2addr_stride64_b32 v[2:3], v132 offset1:9
	v_add_nc_u32_e32 v6, 0x80, v10
	ds_load_2addr_b32 v[4:5], v10 offset0:32 offset1:33
	ds_load_2addr_stride64_b32 v[6:7], v6 offset0:9 offset1:18
	ds_load_2addr_stride64_b32 v[8:9], v132 offset0:18 offset1:27
	ds_load_b32 v10, v10 offset:7040
	s_waitcnt lgkmcnt(3)
	v_fma_mix_f32 v11, v4, v2, 0 op_sel_hi:[0,1,0]
	v_fma_mix_f32 v2, v4, v2, 0 op_sel:[0,1,0] op_sel_hi:[0,1,0]
	s_waitcnt lgkmcnt(2)
	s_delay_alu instid0(VALU_DEP_2) | instskip(NEXT) | instid1(VALU_DEP_2)
	v_fma_mix_f32 v4, v6, v3, v11 op_sel_hi:[0,1,0]
	v_fma_mix_f32 v2, v6, v3, v2 op_sel:[0,1,0] op_sel_hi:[0,1,0]
	s_waitcnt lgkmcnt(1)
	s_delay_alu instid0(VALU_DEP_2) | instskip(NEXT) | instid1(VALU_DEP_2)
	;; [unrolled: 4-line block ×3, first 2 shown]
	v_fma_mix_f32 v4, v10, v9, v3 op_sel_hi:[0,1,0]
	v_fma_mix_f32 v6, v10, v9, v2 op_sel:[0,1,0] op_sel_hi:[0,1,0]
	s_delay_alu instid0(VALU_DEP_2) | instskip(NEXT) | instid1(VALU_DEP_2)
	v_div_scale_f32 v7, null, v5, v5, v4
	v_div_scale_f32 v8, null, v5, v5, v6
	v_div_scale_f32 v11, vcc_lo, v4, v5, v4
	s_delay_alu instid0(VALU_DEP_3) | instskip(NEXT) | instid1(VALU_DEP_2)
	v_rcp_f32_e32 v9, v7
	v_rcp_f32_e32 v10, v8
	v_div_scale_f32 v12, s5, v6, v5, v6
	s_waitcnt_depctr 0xfff
	v_fma_f32 v2, -v7, v9, 1.0
	v_fma_f32 v3, -v8, v10, 1.0
	s_delay_alu instid0(VALU_DEP_2) | instskip(NEXT) | instid1(VALU_DEP_1)
	v_fmac_f32_e32 v9, v2, v9
	v_mul_f32_e32 v13, v11, v9
	s_delay_alu instid0(VALU_DEP_3) | instskip(SKIP_1) | instid1(VALU_DEP_3)
	v_fmac_f32_e32 v10, v3, v10
	v_mad_u64_u32 v[2:3], null, v1, s9, v[79:80]
	v_fma_f32 v1, -v7, v13, v11
	s_delay_alu instid0(VALU_DEP_1) | instskip(NEXT) | instid1(VALU_DEP_3)
	v_dual_fmac_f32 v13, v1, v9 :: v_dual_mul_f32 v14, v12, v10
	v_lshl_add_u32 v1, v2, 5, v56
	s_delay_alu instid0(VALU_DEP_2) | instskip(NEXT) | instid1(VALU_DEP_2)
	v_fma_f32 v3, -v8, v14, v12
	v_ashrrev_i32_e32 v2, 31, v1
	s_delay_alu instid0(VALU_DEP_2) | instskip(SKIP_1) | instid1(VALU_DEP_3)
	v_fmac_f32_e32 v14, v3, v10
	v_fma_f32 v3, -v7, v13, v11
	v_lshlrev_b64 v[1:2], 3, v[1:2]
	s_delay_alu instid0(VALU_DEP_3) | instskip(NEXT) | instid1(VALU_DEP_3)
	v_fma_f32 v7, -v8, v14, v12
	v_div_fmas_f32 v3, v3, v9, v13
	s_mov_b32 vcc_lo, s5
	s_delay_alu instid0(VALU_DEP_2) | instskip(NEXT) | instid1(VALU_DEP_2)
	v_div_fmas_f32 v7, v7, v10, v14
	v_div_fixup_f32 v3, v3, v5, v4
	s_delay_alu instid0(VALU_DEP_2)
	v_div_fixup_f32 v4, v7, v5, v6
	v_add_co_u32 v5, vcc_lo, s41, v1
	v_add_co_ci_u32_e32 v6, vcc_lo, s59, v2, vcc_lo
	v_mov_b32_e32 v2, 0
	global_store_b64 v[5:6], v[3:4], off
.LBB0_187:                              ;   in Loop: Header=BB0_10 Depth=1
	s_or_b32 exec_lo, exec_lo, s7
	s_mov_b32 s5, -1
	s_mov_b32 s7, exec_lo
	v_cmpx_gt_i32_e32 0x47, v2
; %bb.188:                              ;   in Loop: Header=BB0_10 Depth=1
	v_cmp_eq_u32_e32 vcc_lo, 0, v2
	s_or_not1_b32 s5, vcc_lo, exec_lo
; %bb.189:                              ;   in Loop: Header=BB0_10 Depth=1
	s_or_b32 exec_lo, exec_lo, s7
	s_delay_alu instid0(SALU_CYCLE_1)
	s_and_b32 exec_lo, exec_lo, s5
	s_cbranch_execz .LBB0_8
; %bb.190:                              ;   in Loop: Header=BB0_10 Depth=1
	v_add_nc_u32_e32 v1, s66, v171
	v_or_b32_e32 v2, s86, v80
	s_delay_alu instid0(VALU_DEP_1) | instskip(SKIP_1) | instid1(VALU_DEP_4)
	v_cmp_gt_i32_e64 s5, s33, v2
	v_mov_b32_e32 v2, 0x47
	v_cmp_gt_i32_e32 vcc_lo, s8, v1
	s_delay_alu instid0(VALU_DEP_3) | instskip(NEXT) | instid1(SALU_CYCLE_1)
	s_and_b32 s5, vcc_lo, s5
	s_and_saveexec_b32 s7, s5
	s_cbranch_execz .LBB0_192
; %bb.191:                              ;   in Loop: Header=BB0_10 Depth=1
	v_add_nc_u32_e32 v10, 0, v133
	ds_load_2addr_stride64_b32 v[2:3], v134 offset1:9
	v_add_nc_u32_e32 v6, 0x80, v10
	ds_load_2addr_b32 v[4:5], v10 offset0:32 offset1:33
	ds_load_2addr_stride64_b32 v[6:7], v6 offset0:9 offset1:18
	ds_load_2addr_stride64_b32 v[8:9], v134 offset0:18 offset1:27
	ds_load_b32 v10, v10 offset:7040
	s_waitcnt lgkmcnt(3)
	v_fma_mix_f32 v11, v4, v2, 0 op_sel_hi:[0,1,0]
	v_fma_mix_f32 v2, v4, v2, 0 op_sel:[0,1,0] op_sel_hi:[0,1,0]
	s_waitcnt lgkmcnt(2)
	s_delay_alu instid0(VALU_DEP_2) | instskip(NEXT) | instid1(VALU_DEP_2)
	v_fma_mix_f32 v4, v6, v3, v11 op_sel_hi:[0,1,0]
	v_fma_mix_f32 v2, v6, v3, v2 op_sel:[0,1,0] op_sel_hi:[0,1,0]
	s_waitcnt lgkmcnt(1)
	s_delay_alu instid0(VALU_DEP_2) | instskip(NEXT) | instid1(VALU_DEP_2)
	;; [unrolled: 4-line block ×3, first 2 shown]
	v_fma_mix_f32 v4, v10, v9, v3 op_sel_hi:[0,1,0]
	v_fma_mix_f32 v6, v10, v9, v2 op_sel:[0,1,0] op_sel_hi:[0,1,0]
	s_delay_alu instid0(VALU_DEP_2) | instskip(NEXT) | instid1(VALU_DEP_2)
	v_div_scale_f32 v7, null, v5, v5, v4
	v_div_scale_f32 v8, null, v5, v5, v6
	v_div_scale_f32 v11, vcc_lo, v4, v5, v4
	s_delay_alu instid0(VALU_DEP_3) | instskip(NEXT) | instid1(VALU_DEP_2)
	v_rcp_f32_e32 v9, v7
	v_rcp_f32_e32 v10, v8
	v_div_scale_f32 v12, s5, v6, v5, v6
	s_waitcnt_depctr 0xfff
	v_fma_f32 v2, -v7, v9, 1.0
	v_fma_f32 v3, -v8, v10, 1.0
	s_delay_alu instid0(VALU_DEP_2) | instskip(NEXT) | instid1(VALU_DEP_1)
	v_fmac_f32_e32 v9, v2, v9
	v_mul_f32_e32 v13, v11, v9
	s_delay_alu instid0(VALU_DEP_3) | instskip(SKIP_1) | instid1(VALU_DEP_3)
	v_fmac_f32_e32 v10, v3, v10
	v_mad_u64_u32 v[2:3], null, v1, s9, v[80:81]
	v_fma_f32 v1, -v7, v13, v11
	s_delay_alu instid0(VALU_DEP_1) | instskip(NEXT) | instid1(VALU_DEP_3)
	v_dual_fmac_f32 v13, v1, v9 :: v_dual_mul_f32 v14, v12, v10
	v_lshl_add_u32 v1, v2, 5, v56
	s_delay_alu instid0(VALU_DEP_2) | instskip(NEXT) | instid1(VALU_DEP_2)
	v_fma_f32 v3, -v8, v14, v12
	v_ashrrev_i32_e32 v2, 31, v1
	s_delay_alu instid0(VALU_DEP_2) | instskip(SKIP_1) | instid1(VALU_DEP_3)
	v_fmac_f32_e32 v14, v3, v10
	v_fma_f32 v3, -v7, v13, v11
	v_lshlrev_b64 v[1:2], 3, v[1:2]
	s_delay_alu instid0(VALU_DEP_3) | instskip(NEXT) | instid1(VALU_DEP_3)
	v_fma_f32 v7, -v8, v14, v12
	v_div_fmas_f32 v3, v3, v9, v13
	s_mov_b32 vcc_lo, s5
	s_delay_alu instid0(VALU_DEP_2) | instskip(NEXT) | instid1(VALU_DEP_2)
	v_div_fmas_f32 v7, v7, v10, v14
	v_div_fixup_f32 v3, v3, v5, v4
	s_delay_alu instid0(VALU_DEP_2)
	v_div_fixup_f32 v4, v7, v5, v6
	v_add_co_u32 v5, vcc_lo, s41, v1
	v_add_co_ci_u32_e32 v6, vcc_lo, s59, v2, vcc_lo
	v_mov_b32_e32 v2, 0
	global_store_b64 v[5:6], v[3:4], off
.LBB0_192:                              ;   in Loop: Header=BB0_10 Depth=1
	s_or_b32 exec_lo, exec_lo, s7
	s_mov_b32 s5, -1
	s_mov_b32 s7, exec_lo
	v_cmpx_gt_i32_e32 0x47, v2
; %bb.193:                              ;   in Loop: Header=BB0_10 Depth=1
	v_cmp_eq_u32_e32 vcc_lo, 0, v2
	s_or_not1_b32 s5, vcc_lo, exec_lo
; %bb.194:                              ;   in Loop: Header=BB0_10 Depth=1
	s_or_b32 exec_lo, exec_lo, s7
	s_delay_alu instid0(SALU_CYCLE_1)
	s_and_b32 exec_lo, exec_lo, s5
	s_cbranch_execz .LBB0_8
; %bb.195:                              ;   in Loop: Header=BB0_10 Depth=1
	v_add_nc_u32_e32 v1, s66, v172
	v_or_b32_e32 v2, s86, v81
	s_delay_alu instid0(VALU_DEP_1) | instskip(SKIP_1) | instid1(VALU_DEP_4)
	v_cmp_gt_i32_e64 s5, s33, v2
	v_mov_b32_e32 v2, 0x47
	v_cmp_gt_i32_e32 vcc_lo, s8, v1
	s_delay_alu instid0(VALU_DEP_3) | instskip(NEXT) | instid1(SALU_CYCLE_1)
	s_and_b32 s5, vcc_lo, s5
	s_and_saveexec_b32 s7, s5
	s_cbranch_execz .LBB0_197
; %bb.196:                              ;   in Loop: Header=BB0_10 Depth=1
	v_add_nc_u32_e32 v10, 0, v135
	ds_load_2addr_stride64_b32 v[2:3], v136 offset1:9
	v_add_nc_u32_e32 v6, 0x80, v10
	ds_load_2addr_b32 v[4:5], v10 offset0:32 offset1:33
	ds_load_2addr_stride64_b32 v[6:7], v6 offset0:9 offset1:18
	ds_load_2addr_stride64_b32 v[8:9], v136 offset0:18 offset1:27
	ds_load_b32 v10, v10 offset:7040
	s_waitcnt lgkmcnt(3)
	v_fma_mix_f32 v11, v4, v2, 0 op_sel_hi:[0,1,0]
	v_fma_mix_f32 v2, v4, v2, 0 op_sel:[0,1,0] op_sel_hi:[0,1,0]
	s_waitcnt lgkmcnt(2)
	s_delay_alu instid0(VALU_DEP_2) | instskip(NEXT) | instid1(VALU_DEP_2)
	v_fma_mix_f32 v4, v6, v3, v11 op_sel_hi:[0,1,0]
	v_fma_mix_f32 v2, v6, v3, v2 op_sel:[0,1,0] op_sel_hi:[0,1,0]
	s_waitcnt lgkmcnt(1)
	s_delay_alu instid0(VALU_DEP_2) | instskip(NEXT) | instid1(VALU_DEP_2)
	;; [unrolled: 4-line block ×3, first 2 shown]
	v_fma_mix_f32 v4, v10, v9, v3 op_sel_hi:[0,1,0]
	v_fma_mix_f32 v6, v10, v9, v2 op_sel:[0,1,0] op_sel_hi:[0,1,0]
	s_delay_alu instid0(VALU_DEP_2) | instskip(NEXT) | instid1(VALU_DEP_2)
	v_div_scale_f32 v7, null, v5, v5, v4
	v_div_scale_f32 v8, null, v5, v5, v6
	v_div_scale_f32 v11, vcc_lo, v4, v5, v4
	s_delay_alu instid0(VALU_DEP_3) | instskip(NEXT) | instid1(VALU_DEP_2)
	v_rcp_f32_e32 v9, v7
	v_rcp_f32_e32 v10, v8
	v_div_scale_f32 v12, s5, v6, v5, v6
	s_waitcnt_depctr 0xfff
	v_fma_f32 v2, -v7, v9, 1.0
	v_fma_f32 v3, -v8, v10, 1.0
	s_delay_alu instid0(VALU_DEP_2) | instskip(NEXT) | instid1(VALU_DEP_1)
	v_fmac_f32_e32 v9, v2, v9
	v_mul_f32_e32 v13, v11, v9
	s_delay_alu instid0(VALU_DEP_3) | instskip(SKIP_1) | instid1(VALU_DEP_3)
	v_fmac_f32_e32 v10, v3, v10
	v_mad_u64_u32 v[2:3], null, v1, s9, v[81:82]
	v_fma_f32 v1, -v7, v13, v11
	s_delay_alu instid0(VALU_DEP_1) | instskip(NEXT) | instid1(VALU_DEP_3)
	v_dual_fmac_f32 v13, v1, v9 :: v_dual_mul_f32 v14, v12, v10
	v_lshl_add_u32 v1, v2, 5, v56
	s_delay_alu instid0(VALU_DEP_2) | instskip(NEXT) | instid1(VALU_DEP_2)
	v_fma_f32 v3, -v8, v14, v12
	v_ashrrev_i32_e32 v2, 31, v1
	s_delay_alu instid0(VALU_DEP_2) | instskip(SKIP_1) | instid1(VALU_DEP_3)
	v_fmac_f32_e32 v14, v3, v10
	v_fma_f32 v3, -v7, v13, v11
	v_lshlrev_b64 v[1:2], 3, v[1:2]
	s_delay_alu instid0(VALU_DEP_3) | instskip(NEXT) | instid1(VALU_DEP_3)
	v_fma_f32 v7, -v8, v14, v12
	v_div_fmas_f32 v3, v3, v9, v13
	s_mov_b32 vcc_lo, s5
	s_delay_alu instid0(VALU_DEP_2) | instskip(NEXT) | instid1(VALU_DEP_2)
	v_div_fmas_f32 v7, v7, v10, v14
	v_div_fixup_f32 v3, v3, v5, v4
	s_delay_alu instid0(VALU_DEP_2)
	v_div_fixup_f32 v4, v7, v5, v6
	v_add_co_u32 v5, vcc_lo, s41, v1
	v_add_co_ci_u32_e32 v6, vcc_lo, s59, v2, vcc_lo
	v_mov_b32_e32 v2, 0
	global_store_b64 v[5:6], v[3:4], off
.LBB0_197:                              ;   in Loop: Header=BB0_10 Depth=1
	s_or_b32 exec_lo, exec_lo, s7
	s_mov_b32 s5, -1
	s_mov_b32 s7, exec_lo
	v_cmpx_gt_i32_e32 0x47, v2
; %bb.198:                              ;   in Loop: Header=BB0_10 Depth=1
	v_cmp_eq_u32_e32 vcc_lo, 0, v2
	s_or_not1_b32 s5, vcc_lo, exec_lo
; %bb.199:                              ;   in Loop: Header=BB0_10 Depth=1
	s_or_b32 exec_lo, exec_lo, s7
	s_delay_alu instid0(SALU_CYCLE_1)
	s_and_b32 exec_lo, exec_lo, s5
	s_cbranch_execz .LBB0_8
; %bb.200:                              ;   in Loop: Header=BB0_10 Depth=1
	v_dual_mov_b32 v2, 0x47 :: v_dual_add_nc_u32 v1, s66, v137
	s_delay_alu instid0(VALU_DEP_1) | instskip(SKIP_1) | instid1(SALU_CYCLE_1)
	v_cmp_gt_i32_e32 vcc_lo, s8, v1
	s_and_b32 s4, vcc_lo, s4
	s_and_saveexec_b32 s5, s4
	s_cbranch_execz .LBB0_202
; %bb.201:                              ;   in Loop: Header=BB0_10 Depth=1
	v_add_nc_u32_e32 v10, 0, v138
	ds_load_2addr_stride64_b32 v[2:3], v139 offset1:9
	v_add_nc_u32_e32 v6, 0x80, v10
	ds_load_2addr_b32 v[4:5], v10 offset0:32 offset1:33
	ds_load_2addr_stride64_b32 v[6:7], v6 offset0:9 offset1:18
	ds_load_2addr_stride64_b32 v[8:9], v139 offset0:18 offset1:27
	ds_load_b32 v10, v10 offset:7040
	s_waitcnt lgkmcnt(3)
	v_fma_mix_f32 v11, v4, v2, 0 op_sel_hi:[0,1,0]
	v_fma_mix_f32 v2, v4, v2, 0 op_sel:[0,1,0] op_sel_hi:[0,1,0]
	s_waitcnt lgkmcnt(2)
	s_delay_alu instid0(VALU_DEP_2) | instskip(NEXT) | instid1(VALU_DEP_2)
	v_fma_mix_f32 v4, v6, v3, v11 op_sel_hi:[0,1,0]
	v_fma_mix_f32 v2, v6, v3, v2 op_sel:[0,1,0] op_sel_hi:[0,1,0]
	s_waitcnt lgkmcnt(1)
	s_delay_alu instid0(VALU_DEP_2) | instskip(NEXT) | instid1(VALU_DEP_2)
	;; [unrolled: 4-line block ×3, first 2 shown]
	v_fma_mix_f32 v4, v10, v9, v3 op_sel_hi:[0,1,0]
	v_fma_mix_f32 v6, v10, v9, v2 op_sel:[0,1,0] op_sel_hi:[0,1,0]
	s_delay_alu instid0(VALU_DEP_2) | instskip(NEXT) | instid1(VALU_DEP_2)
	v_div_scale_f32 v7, null, v5, v5, v4
	v_div_scale_f32 v8, null, v5, v5, v6
	v_div_scale_f32 v11, vcc_lo, v4, v5, v4
	s_delay_alu instid0(VALU_DEP_3) | instskip(NEXT) | instid1(VALU_DEP_2)
	v_rcp_f32_e32 v9, v7
	v_rcp_f32_e32 v10, v8
	v_div_scale_f32 v12, s4, v6, v5, v6
	s_waitcnt_depctr 0xfff
	v_fma_f32 v2, -v7, v9, 1.0
	v_fma_f32 v3, -v8, v10, 1.0
	s_delay_alu instid0(VALU_DEP_2) | instskip(NEXT) | instid1(VALU_DEP_1)
	v_fmac_f32_e32 v9, v2, v9
	v_mul_f32_e32 v13, v11, v9
	s_delay_alu instid0(VALU_DEP_3) | instskip(SKIP_1) | instid1(VALU_DEP_3)
	v_fmac_f32_e32 v10, v3, v10
	v_mad_u64_u32 v[2:3], null, v1, s9, v[92:93]
	v_fma_f32 v1, -v7, v13, v11
	s_delay_alu instid0(VALU_DEP_1) | instskip(NEXT) | instid1(VALU_DEP_3)
	v_dual_fmac_f32 v13, v1, v9 :: v_dual_mul_f32 v14, v12, v10
	v_lshl_add_u32 v1, v2, 5, v56
	s_delay_alu instid0(VALU_DEP_2) | instskip(NEXT) | instid1(VALU_DEP_2)
	v_fma_f32 v3, -v8, v14, v12
	v_ashrrev_i32_e32 v2, 31, v1
	s_delay_alu instid0(VALU_DEP_2) | instskip(SKIP_1) | instid1(VALU_DEP_3)
	v_fmac_f32_e32 v14, v3, v10
	v_fma_f32 v3, -v7, v13, v11
	v_lshlrev_b64 v[1:2], 3, v[1:2]
	s_delay_alu instid0(VALU_DEP_3) | instskip(NEXT) | instid1(VALU_DEP_3)
	v_fma_f32 v7, -v8, v14, v12
	v_div_fmas_f32 v3, v3, v9, v13
	s_mov_b32 vcc_lo, s4
	s_delay_alu instid0(VALU_DEP_2) | instskip(NEXT) | instid1(VALU_DEP_2)
	v_div_fmas_f32 v7, v7, v10, v14
	v_div_fixup_f32 v3, v3, v5, v4
	s_delay_alu instid0(VALU_DEP_2)
	v_div_fixup_f32 v4, v7, v5, v6
	v_add_co_u32 v5, vcc_lo, s41, v1
	v_add_co_ci_u32_e32 v6, vcc_lo, s59, v2, vcc_lo
	v_mov_b32_e32 v2, 0
	global_store_b64 v[5:6], v[3:4], off
.LBB0_202:                              ;   in Loop: Header=BB0_10 Depth=1
	s_or_b32 exec_lo, exec_lo, s5
	s_mov_b32 s4, -1
	s_mov_b32 s5, exec_lo
	v_cmpx_gt_i32_e32 0x47, v2
; %bb.203:                              ;   in Loop: Header=BB0_10 Depth=1
	v_cmp_eq_u32_e32 vcc_lo, 0, v2
	s_or_not1_b32 s4, vcc_lo, exec_lo
; %bb.204:                              ;   in Loop: Header=BB0_10 Depth=1
	s_or_b32 exec_lo, exec_lo, s5
	s_delay_alu instid0(SALU_CYCLE_1)
	s_and_b32 exec_lo, exec_lo, s4
	s_cbranch_execz .LBB0_8
; %bb.205:                              ;   in Loop: Header=BB0_10 Depth=1
	v_add_nc_u32_e32 v1, s66, v173
	v_or_b32_e32 v2, s86, v82
	s_delay_alu instid0(VALU_DEP_1) | instskip(SKIP_1) | instid1(VALU_DEP_4)
	v_cmp_gt_i32_e64 s4, s33, v2
	v_mov_b32_e32 v2, 0x47
	v_cmp_gt_i32_e32 vcc_lo, s8, v1
	s_delay_alu instid0(VALU_DEP_3) | instskip(NEXT) | instid1(SALU_CYCLE_1)
	s_and_b32 s4, vcc_lo, s4
	s_and_saveexec_b32 s5, s4
	s_cbranch_execz .LBB0_207
; %bb.206:                              ;   in Loop: Header=BB0_10 Depth=1
	scratch_load_b32 v2, off, off           ; 4-byte Folded Reload
	s_waitcnt vmcnt(0)
	v_add_nc_u32_e32 v10, 0, v2
	ds_load_2addr_stride64_b32 v[2:3], v141 offset1:9
	v_add_nc_u32_e32 v6, 0x80, v10
	ds_load_2addr_b32 v[4:5], v10 offset0:32 offset1:33
	ds_load_2addr_stride64_b32 v[6:7], v6 offset0:9 offset1:18
	ds_load_2addr_stride64_b32 v[8:9], v141 offset0:18 offset1:27
	ds_load_b32 v10, v10 offset:7040
	s_waitcnt lgkmcnt(3)
	v_fma_mix_f32 v11, v4, v2, 0 op_sel_hi:[0,1,0]
	v_fma_mix_f32 v2, v4, v2, 0 op_sel:[0,1,0] op_sel_hi:[0,1,0]
	s_waitcnt lgkmcnt(2)
	s_delay_alu instid0(VALU_DEP_2) | instskip(NEXT) | instid1(VALU_DEP_2)
	v_fma_mix_f32 v4, v6, v3, v11 op_sel_hi:[0,1,0]
	v_fma_mix_f32 v2, v6, v3, v2 op_sel:[0,1,0] op_sel_hi:[0,1,0]
	s_waitcnt lgkmcnt(1)
	s_delay_alu instid0(VALU_DEP_2) | instskip(NEXT) | instid1(VALU_DEP_2)
	;; [unrolled: 4-line block ×3, first 2 shown]
	v_fma_mix_f32 v4, v10, v9, v3 op_sel_hi:[0,1,0]
	v_fma_mix_f32 v6, v10, v9, v2 op_sel:[0,1,0] op_sel_hi:[0,1,0]
	s_delay_alu instid0(VALU_DEP_2) | instskip(NEXT) | instid1(VALU_DEP_2)
	v_div_scale_f32 v7, null, v5, v5, v4
	v_div_scale_f32 v8, null, v5, v5, v6
	v_div_scale_f32 v11, vcc_lo, v4, v5, v4
	s_delay_alu instid0(VALU_DEP_3) | instskip(NEXT) | instid1(VALU_DEP_2)
	v_rcp_f32_e32 v9, v7
	v_rcp_f32_e32 v10, v8
	v_div_scale_f32 v12, s4, v6, v5, v6
	s_waitcnt_depctr 0xfff
	v_fma_f32 v2, -v7, v9, 1.0
	v_fma_f32 v3, -v8, v10, 1.0
	s_delay_alu instid0(VALU_DEP_2) | instskip(NEXT) | instid1(VALU_DEP_1)
	v_fmac_f32_e32 v9, v2, v9
	v_mul_f32_e32 v13, v11, v9
	s_delay_alu instid0(VALU_DEP_3) | instskip(SKIP_1) | instid1(VALU_DEP_3)
	v_fmac_f32_e32 v10, v3, v10
	v_mad_u64_u32 v[2:3], null, v1, s9, v[82:83]
	v_fma_f32 v1, -v7, v13, v11
	s_delay_alu instid0(VALU_DEP_1) | instskip(NEXT) | instid1(VALU_DEP_3)
	v_dual_fmac_f32 v13, v1, v9 :: v_dual_mul_f32 v14, v12, v10
	v_lshl_add_u32 v1, v2, 5, v56
	s_delay_alu instid0(VALU_DEP_2) | instskip(NEXT) | instid1(VALU_DEP_2)
	v_fma_f32 v3, -v8, v14, v12
	v_ashrrev_i32_e32 v2, 31, v1
	s_delay_alu instid0(VALU_DEP_2) | instskip(SKIP_1) | instid1(VALU_DEP_3)
	v_fmac_f32_e32 v14, v3, v10
	v_fma_f32 v3, -v7, v13, v11
	v_lshlrev_b64 v[1:2], 3, v[1:2]
	s_delay_alu instid0(VALU_DEP_3) | instskip(NEXT) | instid1(VALU_DEP_3)
	v_fma_f32 v7, -v8, v14, v12
	v_div_fmas_f32 v3, v3, v9, v13
	s_mov_b32 vcc_lo, s4
	s_delay_alu instid0(VALU_DEP_2) | instskip(NEXT) | instid1(VALU_DEP_2)
	v_div_fmas_f32 v7, v7, v10, v14
	v_div_fixup_f32 v3, v3, v5, v4
	s_delay_alu instid0(VALU_DEP_2)
	v_div_fixup_f32 v4, v7, v5, v6
	v_add_co_u32 v5, vcc_lo, s41, v1
	v_add_co_ci_u32_e32 v6, vcc_lo, s59, v2, vcc_lo
	v_mov_b32_e32 v2, 0
	global_store_b64 v[5:6], v[3:4], off
.LBB0_207:                              ;   in Loop: Header=BB0_10 Depth=1
	s_or_b32 exec_lo, exec_lo, s5
	s_mov_b32 s4, -1
	s_mov_b32 s5, exec_lo
	v_cmpx_gt_i32_e32 0x47, v2
; %bb.208:                              ;   in Loop: Header=BB0_10 Depth=1
	v_cmp_eq_u32_e32 vcc_lo, 0, v2
	s_or_not1_b32 s4, vcc_lo, exec_lo
; %bb.209:                              ;   in Loop: Header=BB0_10 Depth=1
	s_or_b32 exec_lo, exec_lo, s5
	s_delay_alu instid0(SALU_CYCLE_1)
	s_and_b32 exec_lo, exec_lo, s4
	s_cbranch_execz .LBB0_8
; %bb.210:                              ;   in Loop: Header=BB0_10 Depth=1
	v_add_nc_u32_e32 v1, s66, v174
	v_or_b32_e32 v2, s86, v83
	s_delay_alu instid0(VALU_DEP_1) | instskip(SKIP_1) | instid1(VALU_DEP_4)
	v_cmp_gt_i32_e64 s4, s33, v2
	v_mov_b32_e32 v2, 0x47
	v_cmp_gt_i32_e32 vcc_lo, s8, v1
	s_delay_alu instid0(VALU_DEP_3) | instskip(NEXT) | instid1(SALU_CYCLE_1)
	s_and_b32 s4, vcc_lo, s4
	s_and_saveexec_b32 s5, s4
	s_cbranch_execz .LBB0_212
; %bb.211:                              ;   in Loop: Header=BB0_10 Depth=1
	s_clause 0x1
	scratch_load_b32 v2, off, off offset:4
	scratch_load_b32 v8, off, off offset:8
	s_waitcnt vmcnt(1)
	v_add_nc_u32_e32 v10, 0, v2
	s_waitcnt vmcnt(0)
	ds_load_2addr_stride64_b32 v[2:3], v8 offset1:9
	v_add_nc_u32_e32 v6, 0x80, v10
	ds_load_2addr_b32 v[4:5], v10 offset0:32 offset1:33
	ds_load_2addr_stride64_b32 v[6:7], v6 offset0:9 offset1:18
	ds_load_2addr_stride64_b32 v[8:9], v8 offset0:18 offset1:27
	ds_load_b32 v10, v10 offset:7040
	s_waitcnt lgkmcnt(3)
	v_fma_mix_f32 v11, v4, v2, 0 op_sel_hi:[0,1,0]
	v_fma_mix_f32 v2, v4, v2, 0 op_sel:[0,1,0] op_sel_hi:[0,1,0]
	s_waitcnt lgkmcnt(2)
	s_delay_alu instid0(VALU_DEP_2) | instskip(NEXT) | instid1(VALU_DEP_2)
	v_fma_mix_f32 v4, v6, v3, v11 op_sel_hi:[0,1,0]
	v_fma_mix_f32 v2, v6, v3, v2 op_sel:[0,1,0] op_sel_hi:[0,1,0]
	s_waitcnt lgkmcnt(1)
	s_delay_alu instid0(VALU_DEP_2) | instskip(NEXT) | instid1(VALU_DEP_2)
	;; [unrolled: 4-line block ×3, first 2 shown]
	v_fma_mix_f32 v4, v10, v9, v3 op_sel_hi:[0,1,0]
	v_fma_mix_f32 v6, v10, v9, v2 op_sel:[0,1,0] op_sel_hi:[0,1,0]
	s_delay_alu instid0(VALU_DEP_2) | instskip(NEXT) | instid1(VALU_DEP_2)
	v_div_scale_f32 v7, null, v5, v5, v4
	v_div_scale_f32 v8, null, v5, v5, v6
	v_div_scale_f32 v11, vcc_lo, v4, v5, v4
	s_delay_alu instid0(VALU_DEP_3) | instskip(NEXT) | instid1(VALU_DEP_2)
	v_rcp_f32_e32 v9, v7
	v_rcp_f32_e32 v10, v8
	v_div_scale_f32 v12, s4, v6, v5, v6
	s_waitcnt_depctr 0xfff
	v_fma_f32 v2, -v7, v9, 1.0
	v_fma_f32 v3, -v8, v10, 1.0
	s_delay_alu instid0(VALU_DEP_2) | instskip(NEXT) | instid1(VALU_DEP_1)
	v_fmac_f32_e32 v9, v2, v9
	v_mul_f32_e32 v13, v11, v9
	s_delay_alu instid0(VALU_DEP_3) | instskip(SKIP_1) | instid1(VALU_DEP_3)
	v_fmac_f32_e32 v10, v3, v10
	v_mad_u64_u32 v[2:3], null, v1, s9, v[83:84]
	v_fma_f32 v1, -v7, v13, v11
	s_delay_alu instid0(VALU_DEP_1) | instskip(NEXT) | instid1(VALU_DEP_3)
	v_dual_fmac_f32 v13, v1, v9 :: v_dual_mul_f32 v14, v12, v10
	v_lshl_add_u32 v1, v2, 5, v56
	s_delay_alu instid0(VALU_DEP_2) | instskip(NEXT) | instid1(VALU_DEP_2)
	v_fma_f32 v3, -v8, v14, v12
	v_ashrrev_i32_e32 v2, 31, v1
	s_delay_alu instid0(VALU_DEP_2) | instskip(SKIP_1) | instid1(VALU_DEP_3)
	v_fmac_f32_e32 v14, v3, v10
	v_fma_f32 v3, -v7, v13, v11
	v_lshlrev_b64 v[1:2], 3, v[1:2]
	s_delay_alu instid0(VALU_DEP_3) | instskip(NEXT) | instid1(VALU_DEP_3)
	v_fma_f32 v7, -v8, v14, v12
	v_div_fmas_f32 v3, v3, v9, v13
	s_mov_b32 vcc_lo, s4
	s_delay_alu instid0(VALU_DEP_2) | instskip(NEXT) | instid1(VALU_DEP_2)
	v_div_fmas_f32 v7, v7, v10, v14
	v_div_fixup_f32 v3, v3, v5, v4
	s_delay_alu instid0(VALU_DEP_2)
	v_div_fixup_f32 v4, v7, v5, v6
	v_add_co_u32 v5, vcc_lo, s41, v1
	v_add_co_ci_u32_e32 v6, vcc_lo, s59, v2, vcc_lo
	v_mov_b32_e32 v2, 0
	global_store_b64 v[5:6], v[3:4], off
.LBB0_212:                              ;   in Loop: Header=BB0_10 Depth=1
	s_or_b32 exec_lo, exec_lo, s5
	s_mov_b32 s4, -1
	s_mov_b32 s5, exec_lo
	v_cmpx_gt_i32_e32 0x47, v2
; %bb.213:                              ;   in Loop: Header=BB0_10 Depth=1
	v_cmp_eq_u32_e32 vcc_lo, 0, v2
	s_or_not1_b32 s4, vcc_lo, exec_lo
; %bb.214:                              ;   in Loop: Header=BB0_10 Depth=1
	s_or_b32 exec_lo, exec_lo, s5
	s_delay_alu instid0(SALU_CYCLE_1)
	s_and_b32 exec_lo, exec_lo, s4
	s_cbranch_execz .LBB0_8
; %bb.215:                              ;   in Loop: Header=BB0_10 Depth=1
	v_add_nc_u32_e32 v1, s66, v175
	v_or_b32_e32 v2, s86, v84
	s_delay_alu instid0(VALU_DEP_1) | instskip(SKIP_1) | instid1(VALU_DEP_4)
	v_cmp_gt_i32_e64 s4, s33, v2
	v_mov_b32_e32 v2, 0x47
	v_cmp_gt_i32_e32 vcc_lo, s8, v1
	s_delay_alu instid0(VALU_DEP_3) | instskip(NEXT) | instid1(SALU_CYCLE_1)
	s_and_b32 s4, vcc_lo, s4
	s_and_saveexec_b32 s5, s4
	s_cbranch_execz .LBB0_217
; %bb.216:                              ;   in Loop: Header=BB0_10 Depth=1
	s_clause 0x1
	scratch_load_b32 v2, off, off offset:12
	scratch_load_b32 v8, off, off offset:16
	s_waitcnt vmcnt(1)
	v_add_nc_u32_e32 v10, 0, v2
	s_waitcnt vmcnt(0)
	ds_load_2addr_stride64_b32 v[2:3], v8 offset1:9
	v_add_nc_u32_e32 v6, 0x80, v10
	ds_load_2addr_b32 v[4:5], v10 offset0:32 offset1:33
	ds_load_2addr_stride64_b32 v[6:7], v6 offset0:9 offset1:18
	ds_load_2addr_stride64_b32 v[8:9], v8 offset0:18 offset1:27
	ds_load_b32 v10, v10 offset:7040
	s_waitcnt lgkmcnt(3)
	v_fma_mix_f32 v11, v4, v2, 0 op_sel_hi:[0,1,0]
	v_fma_mix_f32 v2, v4, v2, 0 op_sel:[0,1,0] op_sel_hi:[0,1,0]
	s_waitcnt lgkmcnt(2)
	s_delay_alu instid0(VALU_DEP_2) | instskip(NEXT) | instid1(VALU_DEP_2)
	v_fma_mix_f32 v4, v6, v3, v11 op_sel_hi:[0,1,0]
	v_fma_mix_f32 v2, v6, v3, v2 op_sel:[0,1,0] op_sel_hi:[0,1,0]
	s_waitcnt lgkmcnt(1)
	s_delay_alu instid0(VALU_DEP_2) | instskip(NEXT) | instid1(VALU_DEP_2)
	;; [unrolled: 4-line block ×3, first 2 shown]
	v_fma_mix_f32 v4, v10, v9, v3 op_sel_hi:[0,1,0]
	v_fma_mix_f32 v6, v10, v9, v2 op_sel:[0,1,0] op_sel_hi:[0,1,0]
	s_delay_alu instid0(VALU_DEP_2) | instskip(NEXT) | instid1(VALU_DEP_2)
	v_div_scale_f32 v7, null, v5, v5, v4
	v_div_scale_f32 v8, null, v5, v5, v6
	v_div_scale_f32 v11, vcc_lo, v4, v5, v4
	s_delay_alu instid0(VALU_DEP_3) | instskip(NEXT) | instid1(VALU_DEP_2)
	v_rcp_f32_e32 v9, v7
	v_rcp_f32_e32 v10, v8
	v_div_scale_f32 v12, s4, v6, v5, v6
	s_waitcnt_depctr 0xfff
	v_fma_f32 v2, -v7, v9, 1.0
	v_fma_f32 v3, -v8, v10, 1.0
	s_delay_alu instid0(VALU_DEP_2) | instskip(NEXT) | instid1(VALU_DEP_1)
	v_fmac_f32_e32 v9, v2, v9
	v_mul_f32_e32 v13, v11, v9
	s_delay_alu instid0(VALU_DEP_3) | instskip(SKIP_1) | instid1(VALU_DEP_3)
	v_fmac_f32_e32 v10, v3, v10
	v_mad_u64_u32 v[2:3], null, v1, s9, v[84:85]
	v_fma_f32 v1, -v7, v13, v11
	s_delay_alu instid0(VALU_DEP_1) | instskip(NEXT) | instid1(VALU_DEP_3)
	v_dual_fmac_f32 v13, v1, v9 :: v_dual_mul_f32 v14, v12, v10
	v_lshl_add_u32 v1, v2, 5, v56
	s_delay_alu instid0(VALU_DEP_2) | instskip(NEXT) | instid1(VALU_DEP_2)
	v_fma_f32 v3, -v8, v14, v12
	v_ashrrev_i32_e32 v2, 31, v1
	s_delay_alu instid0(VALU_DEP_2) | instskip(SKIP_1) | instid1(VALU_DEP_3)
	v_fmac_f32_e32 v14, v3, v10
	v_fma_f32 v3, -v7, v13, v11
	v_lshlrev_b64 v[1:2], 3, v[1:2]
	s_delay_alu instid0(VALU_DEP_3) | instskip(NEXT) | instid1(VALU_DEP_3)
	v_fma_f32 v7, -v8, v14, v12
	v_div_fmas_f32 v3, v3, v9, v13
	s_mov_b32 vcc_lo, s4
	s_delay_alu instid0(VALU_DEP_2) | instskip(NEXT) | instid1(VALU_DEP_2)
	v_div_fmas_f32 v7, v7, v10, v14
	v_div_fixup_f32 v3, v3, v5, v4
	s_delay_alu instid0(VALU_DEP_2)
	v_div_fixup_f32 v4, v7, v5, v6
	v_add_co_u32 v5, vcc_lo, s41, v1
	v_add_co_ci_u32_e32 v6, vcc_lo, s59, v2, vcc_lo
	v_mov_b32_e32 v2, 0
	global_store_b64 v[5:6], v[3:4], off
.LBB0_217:                              ;   in Loop: Header=BB0_10 Depth=1
	s_or_b32 exec_lo, exec_lo, s5
	s_mov_b32 s4, -1
	s_mov_b32 s5, exec_lo
	v_cmpx_gt_i32_e32 0x47, v2
; %bb.218:                              ;   in Loop: Header=BB0_10 Depth=1
	v_cmp_eq_u32_e32 vcc_lo, 0, v2
	s_or_not1_b32 s4, vcc_lo, exec_lo
; %bb.219:                              ;   in Loop: Header=BB0_10 Depth=1
	s_or_b32 exec_lo, exec_lo, s5
	s_delay_alu instid0(SALU_CYCLE_1)
	s_and_b32 exec_lo, exec_lo, s4
	s_cbranch_execz .LBB0_8
; %bb.220:                              ;   in Loop: Header=BB0_10 Depth=1
	v_add_nc_u32_e32 v1, s66, v176
	v_or_b32_e32 v2, s86, v85
	s_delay_alu instid0(VALU_DEP_1) | instskip(SKIP_1) | instid1(VALU_DEP_4)
	v_cmp_gt_i32_e64 s4, s33, v2
	v_mov_b32_e32 v2, 0x47
	v_cmp_gt_i32_e32 vcc_lo, s8, v1
	s_delay_alu instid0(VALU_DEP_3) | instskip(NEXT) | instid1(SALU_CYCLE_1)
	s_and_b32 s4, vcc_lo, s4
	s_and_saveexec_b32 s5, s4
	s_cbranch_execz .LBB0_222
; %bb.221:                              ;   in Loop: Header=BB0_10 Depth=1
	scratch_load_b32 v2, off, off offset:20 ; 4-byte Folded Reload
	s_waitcnt vmcnt(0)
	v_add_nc_u32_e32 v10, 0, v2
	ds_load_2addr_stride64_b32 v[2:3], v88 offset1:9
	v_add_nc_u32_e32 v6, 0x80, v10
	ds_load_2addr_b32 v[4:5], v10 offset0:32 offset1:33
	ds_load_2addr_stride64_b32 v[6:7], v6 offset0:9 offset1:18
	ds_load_2addr_stride64_b32 v[8:9], v88 offset0:18 offset1:27
	ds_load_b32 v10, v10 offset:7040
	s_waitcnt lgkmcnt(3)
	v_fma_mix_f32 v11, v4, v2, 0 op_sel_hi:[0,1,0]
	v_fma_mix_f32 v2, v4, v2, 0 op_sel:[0,1,0] op_sel_hi:[0,1,0]
	s_waitcnt lgkmcnt(2)
	s_delay_alu instid0(VALU_DEP_2) | instskip(NEXT) | instid1(VALU_DEP_2)
	v_fma_mix_f32 v4, v6, v3, v11 op_sel_hi:[0,1,0]
	v_fma_mix_f32 v2, v6, v3, v2 op_sel:[0,1,0] op_sel_hi:[0,1,0]
	s_waitcnt lgkmcnt(1)
	s_delay_alu instid0(VALU_DEP_2) | instskip(NEXT) | instid1(VALU_DEP_2)
	;; [unrolled: 4-line block ×3, first 2 shown]
	v_fma_mix_f32 v4, v10, v9, v3 op_sel_hi:[0,1,0]
	v_fma_mix_f32 v6, v10, v9, v2 op_sel:[0,1,0] op_sel_hi:[0,1,0]
	s_delay_alu instid0(VALU_DEP_2) | instskip(NEXT) | instid1(VALU_DEP_2)
	v_div_scale_f32 v7, null, v5, v5, v4
	v_div_scale_f32 v8, null, v5, v5, v6
	v_div_scale_f32 v11, vcc_lo, v4, v5, v4
	s_delay_alu instid0(VALU_DEP_3) | instskip(NEXT) | instid1(VALU_DEP_2)
	v_rcp_f32_e32 v9, v7
	v_rcp_f32_e32 v10, v8
	v_div_scale_f32 v12, s4, v6, v5, v6
	s_waitcnt_depctr 0xfff
	v_fma_f32 v2, -v7, v9, 1.0
	v_fma_f32 v3, -v8, v10, 1.0
	s_delay_alu instid0(VALU_DEP_2) | instskip(NEXT) | instid1(VALU_DEP_1)
	v_fmac_f32_e32 v9, v2, v9
	v_mul_f32_e32 v13, v11, v9
	s_delay_alu instid0(VALU_DEP_3) | instskip(SKIP_1) | instid1(VALU_DEP_3)
	v_fmac_f32_e32 v10, v3, v10
	v_mad_u64_u32 v[2:3], null, v1, s9, v[85:86]
	v_fma_f32 v1, -v7, v13, v11
	s_delay_alu instid0(VALU_DEP_1) | instskip(NEXT) | instid1(VALU_DEP_3)
	v_dual_fmac_f32 v13, v1, v9 :: v_dual_mul_f32 v14, v12, v10
	v_lshl_add_u32 v1, v2, 5, v56
	s_delay_alu instid0(VALU_DEP_2) | instskip(NEXT) | instid1(VALU_DEP_2)
	v_fma_f32 v3, -v8, v14, v12
	v_ashrrev_i32_e32 v2, 31, v1
	s_delay_alu instid0(VALU_DEP_2) | instskip(SKIP_1) | instid1(VALU_DEP_3)
	v_fmac_f32_e32 v14, v3, v10
	v_fma_f32 v3, -v7, v13, v11
	v_lshlrev_b64 v[1:2], 3, v[1:2]
	s_delay_alu instid0(VALU_DEP_3) | instskip(NEXT) | instid1(VALU_DEP_3)
	v_fma_f32 v7, -v8, v14, v12
	v_div_fmas_f32 v3, v3, v9, v13
	s_mov_b32 vcc_lo, s4
	s_delay_alu instid0(VALU_DEP_2) | instskip(NEXT) | instid1(VALU_DEP_2)
	v_div_fmas_f32 v7, v7, v10, v14
	v_div_fixup_f32 v3, v3, v5, v4
	s_delay_alu instid0(VALU_DEP_2)
	v_div_fixup_f32 v4, v7, v5, v6
	v_add_co_u32 v5, vcc_lo, s41, v1
	v_add_co_ci_u32_e32 v6, vcc_lo, s59, v2, vcc_lo
	v_mov_b32_e32 v2, 0
	global_store_b64 v[5:6], v[3:4], off
.LBB0_222:                              ;   in Loop: Header=BB0_10 Depth=1
	s_or_b32 exec_lo, exec_lo, s5
	s_mov_b32 s4, -1
	s_mov_b32 s5, exec_lo
	v_cmpx_gt_i32_e32 0x47, v2
; %bb.223:                              ;   in Loop: Header=BB0_10 Depth=1
	v_cmp_eq_u32_e32 vcc_lo, 0, v2
	s_or_not1_b32 s4, vcc_lo, exec_lo
; %bb.224:                              ;   in Loop: Header=BB0_10 Depth=1
	s_or_b32 exec_lo, exec_lo, s5
	s_delay_alu instid0(SALU_CYCLE_1)
	s_and_b32 exec_lo, exec_lo, s4
	s_cbranch_execz .LBB0_8
; %bb.225:                              ;   in Loop: Header=BB0_10 Depth=1
	scratch_load_b32 v1, off, off offset:24 ; 4-byte Folded Reload
	v_or_b32_e32 v2, s86, v86
	s_delay_alu instid0(VALU_DEP_1) | instskip(SKIP_2) | instid1(VALU_DEP_1)
	v_cmp_gt_i32_e64 s4, s33, v2
	s_waitcnt vmcnt(0)
	v_dual_mov_b32 v2, 0x47 :: v_dual_add_nc_u32 v1, s66, v1
	v_cmp_gt_i32_e32 vcc_lo, s8, v1
	s_delay_alu instid0(VALU_DEP_3) | instskip(NEXT) | instid1(SALU_CYCLE_1)
	s_and_b32 s4, vcc_lo, s4
	s_and_saveexec_b32 s5, s4
	s_cbranch_execz .LBB0_227
; %bb.226:                              ;   in Loop: Header=BB0_10 Depth=1
	scratch_load_b32 v2, off, off offset:36 ; 4-byte Folded Reload
	s_waitcnt vmcnt(0)
	v_add_nc_u32_e32 v10, 0, v2
	ds_load_2addr_stride64_b32 v[2:3], v87 offset1:9
	v_add_nc_u32_e32 v6, 0x80, v10
	ds_load_2addr_b32 v[4:5], v10 offset0:32 offset1:33
	ds_load_2addr_stride64_b32 v[6:7], v6 offset0:9 offset1:18
	ds_load_2addr_stride64_b32 v[8:9], v87 offset0:18 offset1:27
	ds_load_b32 v10, v10 offset:7040
	s_waitcnt lgkmcnt(3)
	v_fma_mix_f32 v11, v4, v2, 0 op_sel_hi:[0,1,0]
	v_fma_mix_f32 v2, v4, v2, 0 op_sel:[0,1,0] op_sel_hi:[0,1,0]
	s_waitcnt lgkmcnt(2)
	s_delay_alu instid0(VALU_DEP_2) | instskip(NEXT) | instid1(VALU_DEP_2)
	v_fma_mix_f32 v4, v6, v3, v11 op_sel_hi:[0,1,0]
	v_fma_mix_f32 v2, v6, v3, v2 op_sel:[0,1,0] op_sel_hi:[0,1,0]
	s_waitcnt lgkmcnt(1)
	s_delay_alu instid0(VALU_DEP_2) | instskip(NEXT) | instid1(VALU_DEP_2)
	;; [unrolled: 4-line block ×3, first 2 shown]
	v_fma_mix_f32 v4, v10, v9, v3 op_sel_hi:[0,1,0]
	v_fma_mix_f32 v6, v10, v9, v2 op_sel:[0,1,0] op_sel_hi:[0,1,0]
	s_delay_alu instid0(VALU_DEP_2) | instskip(NEXT) | instid1(VALU_DEP_2)
	v_div_scale_f32 v7, null, v5, v5, v4
	v_div_scale_f32 v8, null, v5, v5, v6
	v_div_scale_f32 v11, vcc_lo, v4, v5, v4
	s_delay_alu instid0(VALU_DEP_3) | instskip(NEXT) | instid1(VALU_DEP_2)
	v_rcp_f32_e32 v9, v7
	v_rcp_f32_e32 v10, v8
	v_div_scale_f32 v12, s4, v6, v5, v6
	s_waitcnt_depctr 0xfff
	v_fma_f32 v2, -v7, v9, 1.0
	v_fma_f32 v3, -v8, v10, 1.0
	s_delay_alu instid0(VALU_DEP_2) | instskip(NEXT) | instid1(VALU_DEP_1)
	v_fmac_f32_e32 v9, v2, v9
	v_mul_f32_e32 v13, v11, v9
	s_delay_alu instid0(VALU_DEP_3) | instskip(SKIP_1) | instid1(VALU_DEP_3)
	v_fmac_f32_e32 v10, v3, v10
	v_mad_u64_u32 v[2:3], null, v1, s9, v[86:87]
	v_fma_f32 v1, -v7, v13, v11
	s_delay_alu instid0(VALU_DEP_1) | instskip(NEXT) | instid1(VALU_DEP_3)
	v_dual_fmac_f32 v13, v1, v9 :: v_dual_mul_f32 v14, v12, v10
	v_lshl_add_u32 v1, v2, 5, v56
	s_delay_alu instid0(VALU_DEP_2) | instskip(NEXT) | instid1(VALU_DEP_2)
	v_fma_f32 v3, -v8, v14, v12
	v_ashrrev_i32_e32 v2, 31, v1
	s_delay_alu instid0(VALU_DEP_2) | instskip(SKIP_1) | instid1(VALU_DEP_3)
	v_fmac_f32_e32 v14, v3, v10
	v_fma_f32 v3, -v7, v13, v11
	v_lshlrev_b64 v[1:2], 3, v[1:2]
	s_delay_alu instid0(VALU_DEP_3) | instskip(NEXT) | instid1(VALU_DEP_3)
	v_fma_f32 v7, -v8, v14, v12
	v_div_fmas_f32 v3, v3, v9, v13
	s_mov_b32 vcc_lo, s4
	s_delay_alu instid0(VALU_DEP_2) | instskip(NEXT) | instid1(VALU_DEP_2)
	v_div_fmas_f32 v7, v7, v10, v14
	v_div_fixup_f32 v3, v3, v5, v4
	s_delay_alu instid0(VALU_DEP_2)
	v_div_fixup_f32 v4, v7, v5, v6
	v_add_co_u32 v5, vcc_lo, s41, v1
	v_add_co_ci_u32_e32 v6, vcc_lo, s59, v2, vcc_lo
	v_mov_b32_e32 v2, 0
	global_store_b64 v[5:6], v[3:4], off
.LBB0_227:                              ;   in Loop: Header=BB0_10 Depth=1
	s_or_b32 exec_lo, exec_lo, s5
	s_mov_b32 s4, -1
	s_mov_b32 s5, exec_lo
	v_cmpx_gt_i32_e32 0x47, v2
; %bb.228:                              ;   in Loop: Header=BB0_10 Depth=1
	v_cmp_eq_u32_e32 vcc_lo, 0, v2
	s_or_not1_b32 s4, vcc_lo, exec_lo
; %bb.229:                              ;   in Loop: Header=BB0_10 Depth=1
	s_or_b32 exec_lo, exec_lo, s5
	s_delay_alu instid0(SALU_CYCLE_1)
	s_and_b32 exec_lo, exec_lo, s4
	s_cbranch_execz .LBB0_8
; %bb.230:                              ;   in Loop: Header=BB0_10 Depth=1
	s_clause 0x1
	scratch_load_b32 v1, off, off offset:40
	scratch_load_b64 v[2:3], off, off offset:28
	s_waitcnt vmcnt(1)
	v_add_nc_u32_e32 v1, s66, v1
	s_waitcnt vmcnt(0)
	v_or_b32_e32 v2, s86, v2
	s_delay_alu instid0(VALU_DEP_1) | instskip(SKIP_2) | instid1(VALU_DEP_3)
	v_cmp_gt_i32_e64 s4, s33, v2
	v_mov_b32_e32 v2, 0x47
	v_cmp_gt_i32_e32 vcc_lo, s8, v1
	s_and_b32 s4, vcc_lo, s4
	s_delay_alu instid0(SALU_CYCLE_1)
	s_and_saveexec_b32 s5, s4
	s_cbranch_execz .LBB0_232
; %bb.231:                              ;   in Loop: Header=BB0_10 Depth=1
	s_clause 0x1
	scratch_load_b32 v2, off, off offset:52
	scratch_load_b32 v8, off, off offset:56
	s_waitcnt vmcnt(1)
	v_add_nc_u32_e32 v10, 0, v2
	s_waitcnt vmcnt(0)
	ds_load_2addr_stride64_b32 v[2:3], v8 offset1:9
	v_add_nc_u32_e32 v6, 0x80, v10
	ds_load_2addr_b32 v[4:5], v10 offset0:32 offset1:33
	ds_load_2addr_stride64_b32 v[6:7], v6 offset0:9 offset1:18
	ds_load_2addr_stride64_b32 v[8:9], v8 offset0:18 offset1:27
	ds_load_b32 v10, v10 offset:7040
	scratch_load_b64 v[15:16], off, off offset:28 ; 8-byte Folded Reload
	s_waitcnt lgkmcnt(3)
	v_fma_mix_f32 v11, v4, v2, 0 op_sel_hi:[0,1,0]
	v_fma_mix_f32 v2, v4, v2, 0 op_sel:[0,1,0] op_sel_hi:[0,1,0]
	s_waitcnt lgkmcnt(2)
	s_delay_alu instid0(VALU_DEP_2) | instskip(NEXT) | instid1(VALU_DEP_2)
	v_fma_mix_f32 v4, v6, v3, v11 op_sel_hi:[0,1,0]
	v_fma_mix_f32 v2, v6, v3, v2 op_sel:[0,1,0] op_sel_hi:[0,1,0]
	s_waitcnt lgkmcnt(1)
	s_delay_alu instid0(VALU_DEP_2) | instskip(NEXT) | instid1(VALU_DEP_2)
	;; [unrolled: 4-line block ×3, first 2 shown]
	v_fma_mix_f32 v4, v10, v9, v3 op_sel_hi:[0,1,0]
	v_fma_mix_f32 v6, v10, v9, v2 op_sel:[0,1,0] op_sel_hi:[0,1,0]
	s_delay_alu instid0(VALU_DEP_2) | instskip(NEXT) | instid1(VALU_DEP_2)
	v_div_scale_f32 v7, null, v5, v5, v4
	v_div_scale_f32 v8, null, v5, v5, v6
	v_div_scale_f32 v11, vcc_lo, v4, v5, v4
	s_delay_alu instid0(VALU_DEP_3) | instskip(NEXT) | instid1(VALU_DEP_2)
	v_rcp_f32_e32 v9, v7
	v_rcp_f32_e32 v10, v8
	v_div_scale_f32 v12, s4, v6, v5, v6
	s_waitcnt_depctr 0xfff
	v_fma_f32 v2, -v7, v9, 1.0
	v_fma_f32 v3, -v8, v10, 1.0
	s_delay_alu instid0(VALU_DEP_2) | instskip(NEXT) | instid1(VALU_DEP_1)
	v_fmac_f32_e32 v9, v2, v9
	v_mul_f32_e32 v13, v11, v9
	s_delay_alu instid0(VALU_DEP_3) | instskip(SKIP_2) | instid1(VALU_DEP_3)
	v_fmac_f32_e32 v10, v3, v10
	s_waitcnt vmcnt(0)
	v_mad_u64_u32 v[2:3], null, v1, s9, v[15:16]
	v_fma_f32 v1, -v7, v13, v11
	s_delay_alu instid0(VALU_DEP_1) | instskip(NEXT) | instid1(VALU_DEP_3)
	v_dual_fmac_f32 v13, v1, v9 :: v_dual_mul_f32 v14, v12, v10
	v_lshl_add_u32 v1, v2, 5, v56
	s_delay_alu instid0(VALU_DEP_2) | instskip(NEXT) | instid1(VALU_DEP_2)
	v_fma_f32 v3, -v8, v14, v12
	v_ashrrev_i32_e32 v2, 31, v1
	s_delay_alu instid0(VALU_DEP_2) | instskip(SKIP_1) | instid1(VALU_DEP_3)
	v_fmac_f32_e32 v14, v3, v10
	v_fma_f32 v3, -v7, v13, v11
	v_lshlrev_b64 v[1:2], 3, v[1:2]
	s_delay_alu instid0(VALU_DEP_3) | instskip(NEXT) | instid1(VALU_DEP_3)
	v_fma_f32 v7, -v8, v14, v12
	v_div_fmas_f32 v3, v3, v9, v13
	s_mov_b32 vcc_lo, s4
	s_delay_alu instid0(VALU_DEP_2) | instskip(NEXT) | instid1(VALU_DEP_2)
	v_div_fmas_f32 v7, v7, v10, v14
	v_div_fixup_f32 v3, v3, v5, v4
	s_delay_alu instid0(VALU_DEP_2)
	v_div_fixup_f32 v4, v7, v5, v6
	v_add_co_u32 v5, vcc_lo, s41, v1
	v_add_co_ci_u32_e32 v6, vcc_lo, s59, v2, vcc_lo
	v_mov_b32_e32 v2, 0
	global_store_b64 v[5:6], v[3:4], off
.LBB0_232:                              ;   in Loop: Header=BB0_10 Depth=1
	s_or_b32 exec_lo, exec_lo, s5
	s_mov_b32 s4, -1
	s_mov_b32 s5, exec_lo
	v_cmpx_gt_i32_e32 0x47, v2
; %bb.233:                              ;   in Loop: Header=BB0_10 Depth=1
	v_cmp_eq_u32_e32 vcc_lo, 0, v2
	s_or_not1_b32 s4, vcc_lo, exec_lo
; %bb.234:                              ;   in Loop: Header=BB0_10 Depth=1
	s_or_b32 exec_lo, exec_lo, s5
	s_delay_alu instid0(SALU_CYCLE_1)
	s_and_b32 exec_lo, exec_lo, s4
	s_cbranch_execz .LBB0_8
; %bb.235:                              ;   in Loop: Header=BB0_10 Depth=1
	s_clause 0x1
	scratch_load_b32 v1, off, off offset:60
	scratch_load_b64 v[2:3], off, off offset:44
	s_waitcnt vmcnt(1)
	v_add_nc_u32_e32 v1, s66, v1
	s_waitcnt vmcnt(0)
	v_or_b32_e32 v2, s86, v2
	s_delay_alu instid0(VALU_DEP_2) | instskip(NEXT) | instid1(VALU_DEP_2)
	v_cmp_gt_i32_e32 vcc_lo, s8, v1
	v_cmp_gt_i32_e64 s4, s33, v2
	s_delay_alu instid0(VALU_DEP_1) | instskip(NEXT) | instid1(SALU_CYCLE_1)
	s_and_b32 s4, vcc_lo, s4
	s_and_b32 exec_lo, exec_lo, s4
	s_cbranch_execz .LBB0_8
; %bb.236:                              ;   in Loop: Header=BB0_10 Depth=1
	scratch_load_b32 v2, off, off offset:64 ; 4-byte Folded Reload
	s_waitcnt vmcnt(0)
	v_add_nc_u32_e32 v10, 0, v2
	ds_load_2addr_stride64_b32 v[2:3], v177 offset1:9
	v_add_nc_u32_e32 v6, 0x80, v10
	ds_load_2addr_b32 v[4:5], v10 offset0:32 offset1:33
	ds_load_2addr_stride64_b32 v[6:7], v6 offset0:9 offset1:18
	ds_load_2addr_stride64_b32 v[8:9], v177 offset0:18 offset1:27
	ds_load_b32 v10, v10 offset:7040
	scratch_load_b64 v[15:16], off, off offset:44 ; 8-byte Folded Reload
	s_waitcnt lgkmcnt(3)
	v_fma_mix_f32 v11, v4, v2, 0 op_sel_hi:[0,1,0]
	v_fma_mix_f32 v2, v4, v2, 0 op_sel:[0,1,0] op_sel_hi:[0,1,0]
	s_waitcnt lgkmcnt(2)
	s_delay_alu instid0(VALU_DEP_2) | instskip(NEXT) | instid1(VALU_DEP_2)
	v_fma_mix_f32 v4, v6, v3, v11 op_sel_hi:[0,1,0]
	v_fma_mix_f32 v2, v6, v3, v2 op_sel:[0,1,0] op_sel_hi:[0,1,0]
	s_waitcnt lgkmcnt(1)
	s_delay_alu instid0(VALU_DEP_2) | instskip(NEXT) | instid1(VALU_DEP_2)
	;; [unrolled: 4-line block ×3, first 2 shown]
	v_fma_mix_f32 v4, v10, v9, v3 op_sel_hi:[0,1,0]
	v_fma_mix_f32 v6, v10, v9, v2 op_sel:[0,1,0] op_sel_hi:[0,1,0]
	s_delay_alu instid0(VALU_DEP_2) | instskip(NEXT) | instid1(VALU_DEP_2)
	v_div_scale_f32 v7, null, v5, v5, v4
	v_div_scale_f32 v8, null, v5, v5, v6
	v_div_scale_f32 v11, vcc_lo, v4, v5, v4
	s_delay_alu instid0(VALU_DEP_3) | instskip(NEXT) | instid1(VALU_DEP_2)
	v_rcp_f32_e32 v9, v7
	v_rcp_f32_e32 v10, v8
	v_div_scale_f32 v12, s4, v6, v5, v6
	s_waitcnt_depctr 0xfff
	v_fma_f32 v2, -v7, v9, 1.0
	v_fma_f32 v3, -v8, v10, 1.0
	s_delay_alu instid0(VALU_DEP_2) | instskip(NEXT) | instid1(VALU_DEP_1)
	v_fmac_f32_e32 v9, v2, v9
	v_mul_f32_e32 v13, v11, v9
	s_delay_alu instid0(VALU_DEP_3) | instskip(SKIP_2) | instid1(VALU_DEP_3)
	v_fmac_f32_e32 v10, v3, v10
	s_waitcnt vmcnt(0)
	v_mad_u64_u32 v[2:3], null, v1, s9, v[15:16]
	v_fma_f32 v1, -v7, v13, v11
	s_delay_alu instid0(VALU_DEP_1) | instskip(NEXT) | instid1(VALU_DEP_3)
	v_dual_fmac_f32 v13, v1, v9 :: v_dual_mul_f32 v14, v12, v10
	v_lshl_add_u32 v1, v2, 5, v56
	s_delay_alu instid0(VALU_DEP_2) | instskip(NEXT) | instid1(VALU_DEP_2)
	v_fma_f32 v3, -v8, v14, v12
	v_ashrrev_i32_e32 v2, 31, v1
	s_delay_alu instid0(VALU_DEP_2) | instskip(SKIP_1) | instid1(VALU_DEP_3)
	v_fmac_f32_e32 v14, v3, v10
	v_fma_f32 v3, -v7, v13, v11
	v_lshlrev_b64 v[1:2], 3, v[1:2]
	s_delay_alu instid0(VALU_DEP_3) | instskip(NEXT) | instid1(VALU_DEP_3)
	v_fma_f32 v7, -v8, v14, v12
	v_div_fmas_f32 v3, v3, v9, v13
	s_mov_b32 vcc_lo, s4
	s_delay_alu instid0(VALU_DEP_2) | instskip(NEXT) | instid1(VALU_DEP_4)
	v_div_fmas_f32 v7, v7, v10, v14
	v_add_co_u32 v1, vcc_lo, s41, v1
	s_delay_alu instid0(VALU_DEP_3) | instskip(SKIP_1) | instid1(VALU_DEP_4)
	v_div_fixup_f32 v3, v3, v5, v4
	v_add_co_ci_u32_e32 v2, vcc_lo, s59, v2, vcc_lo
	v_div_fixup_f32 v4, v7, v5, v6
	global_store_b64 v[1:2], v[3:4], off
	s_branch .LBB0_8
.LBB0_237:
	s_and_not1_b32 vcc_lo, exec_lo, s4
	s_cbranch_vccnz .LBB0_277
; %bb.238:
	s_abs_i32 s0, s71
	s_abs_i32 s3, s50
	v_cvt_f32_u32_e32 v0, s0
	s_sub_i32 s2, 0, s0
	s_delay_alu instid0(VALU_DEP_1) | instskip(SKIP_2) | instid1(VALU_DEP_1)
	v_rcp_iflag_f32_e32 v0, v0
	s_waitcnt_depctr 0xfff
	v_mul_f32_e32 v0, 0x4f7ffffe, v0
	v_cvt_u32_f32_e32 v0, v0
	s_delay_alu instid0(VALU_DEP_1) | instskip(NEXT) | instid1(VALU_DEP_1)
	v_readfirstlane_b32 s1, v0
	s_mul_i32 s2, s2, s1
	s_delay_alu instid0(SALU_CYCLE_1) | instskip(NEXT) | instid1(SALU_CYCLE_1)
	s_mul_hi_u32 s2, s1, s2
	s_add_i32 s1, s1, s2
	s_xor_b32 s2, s50, s71
	s_mul_hi_u32 s1, s3, s1
	s_ashr_i32 s2, s2, 31
	s_mul_i32 s4, s1, s0
	s_delay_alu instid0(SALU_CYCLE_1)
	s_sub_i32 s3, s3, s4
	s_add_i32 s4, s1, 1
	s_sub_i32 s5, s3, s0
	s_cmp_ge_u32 s3, s0
	s_cselect_b32 s1, s4, s1
	s_cselect_b32 s3, s5, s3
	s_add_i32 s4, s1, 1
	s_cmp_ge_u32 s3, s0
	s_cselect_b32 s0, s4, s1
	s_abs_i32 s3, s70
	s_xor_b32 s0, s0, s2
	v_cvt_f32_u32_e32 v0, s3
	s_sub_i32 s1, s0, s2
	s_sub_i32 s0, 0, s3
	s_mul_i32 s2, s1, s71
	s_delay_alu instid0(VALU_DEP_1) | instskip(SKIP_1) | instid1(SALU_CYCLE_1)
	v_rcp_iflag_f32_e32 v0, v0
	s_sub_i32 s5, s50, s2
	s_abs_i32 s2, s5
	s_waitcnt_depctr 0xfff
	v_mul_f32_e32 v0, 0x4f7ffffe, v0
	s_delay_alu instid0(VALU_DEP_1) | instskip(NEXT) | instid1(VALU_DEP_1)
	v_cvt_u32_f32_e32 v0, v0
	v_readfirstlane_b32 s4, v0
	s_delay_alu instid0(VALU_DEP_1) | instskip(NEXT) | instid1(SALU_CYCLE_1)
	s_mul_i32 s0, s0, s4
	s_mul_hi_u32 s0, s4, s0
	s_delay_alu instid0(SALU_CYCLE_1) | instskip(NEXT) | instid1(SALU_CYCLE_1)
	s_add_i32 s4, s4, s0
	s_mul_hi_u32 s0, s2, s4
	s_xor_b32 s4, s5, s70
	s_mul_i32 s6, s0, s3
	s_ashr_i32 s4, s4, 31
	s_sub_i32 s2, s2, s6
	s_add_i32 s6, s0, 1
	s_sub_i32 s7, s2, s3
	s_cmp_ge_u32 s2, s3
	s_cselect_b32 s0, s6, s0
	s_cselect_b32 s2, s7, s2
	s_add_i32 s6, s0, 1
	s_cmp_ge_u32 s2, s3
	s_cselect_b32 s0, s6, s0
	s_abs_i32 s3, s69
	s_xor_b32 s0, s0, s4
	v_cvt_f32_u32_e32 v0, s3
	s_sub_i32 s2, s0, s4
	s_sub_i32 s0, 0, s3
	s_mul_i32 s4, s2, s70
	s_delay_alu instid0(VALU_DEP_1) | instskip(SKIP_1) | instid1(SALU_CYCLE_1)
	v_rcp_iflag_f32_e32 v0, v0
	s_sub_i32 s4, s5, s4
	s_abs_i32 s5, s4
	s_waitcnt_depctr 0xfff
	v_mul_f32_e32 v0, 0x4f7ffffe, v0
	s_delay_alu instid0(VALU_DEP_1) | instskip(NEXT) | instid1(VALU_DEP_1)
	v_cvt_u32_f32_e32 v0, v0
	v_readfirstlane_b32 s6, v0
	s_delay_alu instid0(VALU_DEP_1) | instskip(NEXT) | instid1(SALU_CYCLE_1)
	s_mul_i32 s0, s0, s6
	s_mul_hi_u32 s0, s6, s0
	s_delay_alu instid0(SALU_CYCLE_1) | instskip(NEXT) | instid1(SALU_CYCLE_1)
	s_add_i32 s6, s6, s0
	s_mul_hi_u32 s0, s5, s6
	s_xor_b32 s6, s4, s69
	s_mul_i32 s7, s0, s3
	s_ashr_i32 s6, s6, 31
	s_sub_i32 s5, s5, s7
	s_add_i32 s7, s0, 1
	s_sub_i32 s9, s5, s3
	s_cmp_ge_u32 s5, s3
	s_cselect_b32 s0, s7, s0
	s_cselect_b32 s5, s9, s5
	s_add_i32 s7, s0, 1
	s_cmp_ge_u32 s5, s3
	s_cselect_b32 s0, s7, s0
	s_delay_alu instid0(SALU_CYCLE_1) | instskip(NEXT) | instid1(SALU_CYCLE_1)
	s_xor_b32 s0, s0, s6
	s_sub_i32 s0, s0, s6
	s_delay_alu instid0(SALU_CYCLE_1) | instskip(NEXT) | instid1(SALU_CYCLE_1)
	s_mul_i32 s3, s0, s69
	s_sub_i32 s3, s4, s3
	s_delay_alu instid0(SALU_CYCLE_1) | instskip(SKIP_4) | instid1(SALU_CYCLE_1)
	s_abs_i32 s4, s3
	s_ashr_i32 s3, s3, 31
	s_mul_hi_u32 s5, s4, s75
	s_xor_b32 s9, s3, s74
	s_mul_i32 s6, s5, s73
	s_sub_i32 s3, s4, s6
	s_add_i32 s4, s5, 1
	s_sub_i32 s6, s3, s73
	s_cmp_ge_u32 s3, s73
	s_cselect_b32 s4, s4, s5
	s_cselect_b32 s3, s6, s3
	s_add_i32 s5, s4, 1
	s_cmp_ge_u32 s3, s73
	s_cselect_b32 s4, s5, s4
	s_abs_i32 s3, s52
	s_xor_b32 s4, s4, s9
	v_cvt_f32_u32_e32 v0, s3
	s_sub_i32 s9, s4, s9
	s_cmp_eq_u64 s[26:27], 0
	s_delay_alu instid0(VALU_DEP_1) | instskip(SKIP_2) | instid1(VALU_DEP_1)
	v_rcp_iflag_f32_e32 v0, v0
	s_waitcnt_depctr 0xfff
	v_mul_f32_e32 v0, 0x4f7ffffe, v0
	v_cvt_u32_f32_e32 v0, v0
	s_delay_alu instid0(VALU_DEP_1)
	v_readfirstlane_b32 s7, v0
	v_mov_b32_e32 v0, s91
	s_cbranch_scc1 .LBB0_240
; %bb.239:
	s_mul_i32 s4, s1, s68
	v_mov_b32_e32 v0, 0
	s_add_i32 s4, s9, s4
	s_delay_alu instid0(SALU_CYCLE_1) | instskip(NEXT) | instid1(SALU_CYCLE_1)
	s_ashr_i32 s5, s4, 31
	s_lshl_b64 s[4:5], s[4:5], 2
	s_delay_alu instid0(SALU_CYCLE_1) | instskip(SKIP_4) | instid1(VALU_DEP_1)
	s_add_u32 s4, s26, s4
	s_addc_u32 s5, s27, s5
	global_load_b32 v0, v0, s[4:5]
	s_waitcnt vmcnt(0)
	v_ashrrev_i32_e32 v1, 31, v0
	v_lshrrev_b32_e32 v1, 26, v1
	s_delay_alu instid0(VALU_DEP_1) | instskip(NEXT) | instid1(VALU_DEP_1)
	v_add_nc_u32_e32 v0, v0, v1
	v_ashrrev_i32_e32 v0, 6, v0
	s_delay_alu instid0(VALU_DEP_1)
	v_min_i32_e32 v0, s91, v0
.LBB0_240:
	s_mul_i32 s4, s2, s33
	s_lshl_b32 s6, s0, 3
	s_mul_i32 s0, s1, s45
	s_add_i32 s4, s6, s4
	s_ashr_i32 s5, s0, 31
	s_mul_i32 s4, s4, s44
	s_add_u32 s0, s16, s0
	s_addc_u32 s5, s17, s5
	s_ashr_i32 s11, s4, 31
	s_add_u32 s4, s0, s4
	s_addc_u32 s5, s5, s11
	s_lshl_b32 s9, s9, 1
	v_or_b32_e32 v2, s6, v103
	v_add_nc_u32_e32 v1, s9, v105
	s_delay_alu instid0(VALU_DEP_2) | instskip(NEXT) | instid1(VALU_DEP_2)
	v_cmp_gt_i32_e32 vcc_lo, s33, v2
	v_cmp_le_i32_e64 s0, s8, v1
	s_xor_b32 s11, vcc_lo, -1
	s_delay_alu instid0(VALU_DEP_1) | instid1(SALU_CYCLE_1)
	s_or_b32 s0, s0, s11
	s_delay_alu instid0(SALU_CYCLE_1) | instskip(NEXT) | instid1(SALU_CYCLE_1)
	s_and_saveexec_b32 s16, s0
	s_xor_b32 s0, exec_lo, s16
	s_cbranch_execz .LBB0_242
; %bb.241:
	v_mad_u32_u24 v1, v95, 36, v56
	v_mov_b32_e32 v2, 0
	s_delay_alu instid0(VALU_DEP_2)
	v_lshl_add_u32 v1, v1, 2, 0
	ds_store_b32 v1, v2
                                        ; implicit-def: $vgpr1
.LBB0_242:
	s_and_not1_saveexec_b32 s0, s0
	s_cbranch_execz .LBB0_244
; %bb.243:
	v_mul_lo_u32 v1, v1, s51
	v_mul_lo_u32 v2, v103, s55
	s_delay_alu instid0(VALU_DEP_1) | instskip(NEXT) | instid1(VALU_DEP_1)
	v_add3_u32 v1, v2, v56, v1
	v_ashrrev_i32_e32 v2, 31, v1
	s_delay_alu instid0(VALU_DEP_1) | instskip(NEXT) | instid1(VALU_DEP_1)
	v_lshlrev_b64 v[1:2], 3, v[1:2]
	v_add_co_u32 v1, vcc_lo, s4, v1
	s_delay_alu instid0(VALU_DEP_2) | instskip(SKIP_4) | instid1(VALU_DEP_1)
	v_add_co_ci_u32_e32 v2, vcc_lo, s5, v2, vcc_lo
	global_load_b64 v[1:2], v[1:2], off
	s_waitcnt vmcnt(0)
	v_cvt_f16_f32_e32 v1, v1
	v_cvt_f16_f32_e32 v2, v2
	v_pack_b32_f16 v1, v1, v2
	v_mad_u32_u24 v2, v95, 36, v56
	s_delay_alu instid0(VALU_DEP_2) | instskip(NEXT) | instid1(VALU_DEP_2)
	v_pk_mul_f16 v1, v101, v1
	v_lshl_add_u32 v2, v2, 2, 0
	ds_store_b32 v2, v1
.LBB0_244:
	s_or_b32 exec_lo, exec_lo, s0
	v_lshrrev_b32_e32 v2, 3, v104
	v_and_b32_e32 v1, 7, v104
	s_sub_i32 s16, 0, s3
	s_delay_alu instid0(VALU_DEP_2) | instskip(NEXT) | instid1(VALU_DEP_2)
	v_add_nc_u32_e32 v2, s9, v2
	v_or_b32_e32 v3, s6, v1
	s_delay_alu instid0(VALU_DEP_2) | instskip(NEXT) | instid1(VALU_DEP_2)
	v_cmp_le_i32_e32 vcc_lo, s8, v2
	v_cmp_le_i32_e64 s0, s33, v3
	s_delay_alu instid0(VALU_DEP_1) | instskip(NEXT) | instid1(SALU_CYCLE_1)
	s_or_b32 s0, vcc_lo, s0
	s_and_saveexec_b32 s17, s0
	s_delay_alu instid0(SALU_CYCLE_1)
	s_xor_b32 s0, exec_lo, s17
	s_cbranch_execz .LBB0_246
; %bb.245:
	v_mad_u32_u24 v1, v104, 36, v56
	v_mov_b32_e32 v2, 0
                                        ; implicit-def: $vgpr104
	s_delay_alu instid0(VALU_DEP_2)
	v_lshl_add_u32 v1, v1, 2, 0
	ds_store_b32 v1, v2
                                        ; implicit-def: $vgpr2
                                        ; implicit-def: $vgpr1
.LBB0_246:
	s_or_saveexec_b32 s0, s0
	s_mul_i32 s16, s16, s7
	s_xor_b32 exec_lo, exec_lo, s0
	s_cbranch_execz .LBB0_248
; %bb.247:
	v_mul_lo_u32 v2, v2, s51
	v_mul_lo_u32 v1, v1, s55
	s_delay_alu instid0(VALU_DEP_1) | instskip(NEXT) | instid1(VALU_DEP_1)
	v_add3_u32 v1, v1, v56, v2
	v_ashrrev_i32_e32 v2, 31, v1
	s_delay_alu instid0(VALU_DEP_1) | instskip(NEXT) | instid1(VALU_DEP_1)
	v_lshlrev_b64 v[1:2], 3, v[1:2]
	v_add_co_u32 v1, vcc_lo, s4, v1
	s_delay_alu instid0(VALU_DEP_2) | instskip(SKIP_4) | instid1(VALU_DEP_1)
	v_add_co_ci_u32_e32 v2, vcc_lo, s5, v2, vcc_lo
	global_load_b64 v[1:2], v[1:2], off
	s_waitcnt vmcnt(0)
	v_cvt_f16_f32_e32 v1, v1
	v_cvt_f16_f32_e32 v2, v2
	v_pack_b32_f16 v1, v1, v2
	v_mad_u32_u24 v2, v104, 36, v56
	s_delay_alu instid0(VALU_DEP_2) | instskip(NEXT) | instid1(VALU_DEP_2)
	v_pk_mul_f16 v1, v101, v1
	v_lshl_add_u32 v2, v2, 2, 0
	ds_store_b32 v2, v1
.LBB0_248:
	s_or_b32 exec_lo, exec_lo, s0
	v_lshrrev_b32_e32 v1, 3, v102
	s_mul_hi_u32 s16, s7, s16
	s_delay_alu instid0(VALU_DEP_1) | instskip(NEXT) | instid1(VALU_DEP_1)
	v_add_nc_u32_e32 v1, s9, v1
	v_cmp_le_i32_e32 vcc_lo, s8, v1
	s_or_b32 s0, vcc_lo, s11
	s_delay_alu instid0(SALU_CYCLE_1) | instskip(NEXT) | instid1(SALU_CYCLE_1)
	s_and_saveexec_b32 s11, s0
	s_xor_b32 s0, exec_lo, s11
	s_cbranch_execz .LBB0_250
; %bb.249:
	v_mad_u32_u24 v1, v102, 36, v56
	v_mov_b32_e32 v2, 0
                                        ; implicit-def: $vgpr103
                                        ; implicit-def: $vgpr102
	s_delay_alu instid0(VALU_DEP_2)
	v_lshl_add_u32 v1, v1, 2, 0
	ds_store_b32 v1, v2
                                        ; implicit-def: $vgpr1
.LBB0_250:
	s_or_saveexec_b32 s0, s0
	s_abs_i32 s17, s1
	s_add_i32 s7, s7, s16
	s_xor_b32 exec_lo, exec_lo, s0
	s_cbranch_execz .LBB0_252
; %bb.251:
	v_mul_lo_u32 v1, v1, s51
	v_mul_lo_u32 v2, v103, s55
	s_delay_alu instid0(VALU_DEP_1) | instskip(NEXT) | instid1(VALU_DEP_1)
	v_add3_u32 v1, v2, v56, v1
	v_ashrrev_i32_e32 v2, 31, v1
	s_delay_alu instid0(VALU_DEP_1) | instskip(NEXT) | instid1(VALU_DEP_1)
	v_lshlrev_b64 v[1:2], 3, v[1:2]
	v_add_co_u32 v1, vcc_lo, s4, v1
	s_delay_alu instid0(VALU_DEP_2) | instskip(SKIP_4) | instid1(VALU_DEP_1)
	v_add_co_ci_u32_e32 v2, vcc_lo, s5, v2, vcc_lo
	global_load_b64 v[1:2], v[1:2], off
	s_waitcnt vmcnt(0)
	v_cvt_f16_f32_e32 v1, v1
	v_cvt_f16_f32_e32 v2, v2
	v_pack_b32_f16 v1, v1, v2
	v_mad_u32_u24 v2, v102, 36, v56
	s_delay_alu instid0(VALU_DEP_2) | instskip(NEXT) | instid1(VALU_DEP_2)
	v_pk_mul_f16 v1, v101, v1
	v_lshl_add_u32 v2, v2, 2, 0
	ds_store_b32 v2, v1
.LBB0_252:
	s_or_b32 exec_lo, exec_lo, s0
	v_lshrrev_b32_e32 v2, 3, v100
	v_and_b32_e32 v1, 7, v100
	s_delay_alu instid0(VALU_DEP_2) | instskip(NEXT) | instid1(VALU_DEP_2)
	v_add_nc_u32_e32 v2, s9, v2
	v_or_b32_e32 v3, s6, v1
	s_mul_hi_u32 s6, s17, s7
	s_delay_alu instid0(VALU_DEP_2) | instskip(NEXT) | instid1(VALU_DEP_2)
	v_cmp_le_i32_e32 vcc_lo, s8, v2
	v_cmp_le_i32_e64 s0, s33, v3
	s_delay_alu instid0(VALU_DEP_1) | instskip(NEXT) | instid1(SALU_CYCLE_1)
	s_or_b32 s0, vcc_lo, s0
	s_and_saveexec_b32 s7, s0
	s_delay_alu instid0(SALU_CYCLE_1)
	s_xor_b32 s0, exec_lo, s7
	s_cbranch_execz .LBB0_254
; %bb.253:
	v_mad_u32_u24 v1, v100, 36, v56
	v_mov_b32_e32 v2, 0
                                        ; implicit-def: $vgpr101
                                        ; implicit-def: $vgpr100
	s_delay_alu instid0(VALU_DEP_2)
	v_lshl_add_u32 v1, v1, 2, 0
	ds_store_b32 v1, v2
                                        ; implicit-def: $vgpr2
                                        ; implicit-def: $vgpr1
.LBB0_254:
	s_or_saveexec_b32 s7, s0
	s_ashr_i32 s0, s1, 31
	s_xor_b32 exec_lo, exec_lo, s7
	s_cbranch_execz .LBB0_256
; %bb.255:
	v_mul_lo_u32 v2, v2, s51
	v_mul_lo_u32 v1, v1, s55
	s_delay_alu instid0(VALU_DEP_1) | instskip(NEXT) | instid1(VALU_DEP_1)
	v_add3_u32 v1, v1, v56, v2
	v_ashrrev_i32_e32 v2, 31, v1
	s_delay_alu instid0(VALU_DEP_1) | instskip(NEXT) | instid1(VALU_DEP_1)
	v_lshlrev_b64 v[1:2], 3, v[1:2]
	v_add_co_u32 v1, vcc_lo, s4, v1
	s_delay_alu instid0(VALU_DEP_2) | instskip(SKIP_4) | instid1(VALU_DEP_1)
	v_add_co_ci_u32_e32 v2, vcc_lo, s5, v2, vcc_lo
	global_load_b64 v[1:2], v[1:2], off
	s_waitcnt vmcnt(0)
	v_cvt_f16_f32_e32 v1, v1
	v_cvt_f16_f32_e32 v2, v2
	v_pack_b32_f16 v1, v1, v2
	v_mad_u32_u24 v2, v100, 36, v56
	s_delay_alu instid0(VALU_DEP_2) | instskip(NEXT) | instid1(VALU_DEP_2)
	v_pk_mul_f16 v1, v101, v1
	v_lshl_add_u32 v2, v2, 2, 0
	ds_store_b32 v2, v1
.LBB0_256:
	s_or_b32 exec_lo, exec_lo, s7
	s_mul_i32 s4, s1, s37
	s_mul_hi_u32 s5, s1, s36
	v_and_b32_e32 v1, 0xff0, v97
	v_and_b32_e32 v73, 15, v56
	s_add_i32 s4, s5, s4
	s_mul_i32 s5, s0, s36
	s_mul_i32 s7, s1, s36
	s_add_i32 s4, s4, s5
	s_add_u32 s5, s18, s7
	s_mul_i32 s7, s2, s49
	v_mul_u32_u24_e32 v2, 0x90, v1
	v_mul_u32_u24_e32 v75, 0x90, v73
	s_addc_u32 s4, s19, s4
	s_ashr_i32 s16, s7, 31
	s_mul_i32 s6, s6, s3
	s_add_u32 s11, s5, s7
	s_addc_u32 s16, s4, s16
	s_sub_i32 s4, s17, s6
	v_add3_u32 v2, 0, v2, v75
	s_sub_i32 s5, s4, s3
	s_cmp_ge_u32 s4, s3
	s_waitcnt lgkmcnt(0)
	s_cselect_b32 s4, s5, s4
	s_barrier
	buffer_gl0_inv
	ds_load_b128 v[24:27], v2
	ds_load_b128 v[28:31], v2 offset:16
	ds_load_b128 v[16:19], v2 offset:32
	;; [unrolled: 1-line block ×7, first 2 shown]
	s_sub_i32 s5, s4, s3
	s_cmp_ge_u32 s4, s3
	v_dual_mov_b32 v7, 0 :: v_dual_add_nc_u32 v78, -1, v0
	s_cselect_b32 s3, s5, s4
	s_mul_i32 s2, s2, s39
	s_xor_b32 s3, s3, s0
	s_delay_alu instid0(VALU_DEP_1)
	v_cmp_ge_i32_e32 vcc_lo, s103, v78
	s_sub_i32 s3, s3, s0
	s_mul_i32 s0, s0, s42
	s_mul_i32 s4, s3, s47
	s_mul_hi_u32 s5, s3, s46
	s_ashr_i32 s6, s3, 31
	s_add_i32 s4, s5, s4
	s_mul_i32 s6, s6, s46
	s_mul_i32 s3, s3, s46
	s_add_i32 s4, s4, s6
	s_add_u32 s17, s22, s3
	s_addc_u32 s18, s23, s4
	s_mul_i32 s3, s1, s43
	s_mul_hi_u32 s4, s1, s42
	s_mul_i32 s1, s1, s42
	s_add_i32 s3, s4, s3
	v_lshrrev_b32_e32 v77, 3, v56
	s_add_i32 s3, s3, s0
	s_add_u32 s0, s20, s1
	v_lshrrev_b32_e32 v74, 4, v56
	v_and_or_b32 v76, v56, 8, v1
	s_addc_u32 s1, s21, s3
	s_ashr_i32 s3, s2, 31
	s_add_u32 s6, s0, s2
	s_addc_u32 s7, s1, s3
	s_waitcnt lgkmcnt(0)
	s_barrier
	buffer_gl0_inv
	s_cbranch_vccnz .LBB0_263
; %bb.257:
	v_dual_mov_b32 v48, 0 :: v_dual_add_nc_u32 v1, s9, v95
	v_mul_u32_u24_e32 v0, 0x90, v95
	v_dual_mov_b32 v94, 0xfeffffff :: v_dual_lshlrev_b32 v3, 2, v56
	s_delay_alu instid0(VALU_DEP_3) | instskip(SKIP_2) | instid1(VALU_DEP_4)
	v_mul_hi_u32 v2, s12, v1
	v_xor_b32_e32 v5, 16, v99
	v_dual_mov_b32 v93, 0 :: v_dual_add_nc_u32 v6, v77, v97
	v_add3_u32 v80, 0, v0, v3
	v_lshrrev_b32_e32 v7, 3, v76
	s_delay_alu instid0(VALU_DEP_4)
	v_cmp_gt_i32_e32 vcc_lo, 32, v5
	v_and_b32_e32 v4, 48, v96
	v_add_nc_u32_e32 v2, v1, v2
	v_mul_u32_u24_e32 v10, 0x90, v6
	v_mul_u32_u24_e32 v11, 0x90, v7
	v_cndmask_b32_e32 v5, v99, v5, vcc_lo
	v_mad_u32_u24 v49, 0x90, v4, 0
	v_lshrrev_b32_e32 v0, s13, v2
	v_mul_lo_u32 v2, s10, v6
	s_lshl_b32 s2, s10, 4
	v_lshlrev_b32_e32 v9, 1, v74
	v_mad_i32_i24 v12, 0xffffff72, v4, v49
	v_mul_lo_u32 v8, v0, s8
	v_mul_lo_u32 v0, s34, v6
	v_and_b32_e32 v50, 28, v3
	s_lshl_b32 s1, s34, 4
	v_add3_u32 v84, v12, v11, v9
	v_lshlrev_b32_e32 v81, 2, v5
	v_add_nc_u32_e32 v82, v49, v75
	v_lshlrev_b32_e32 v5, 2, v50
	v_sub_nc_u32_e32 v8, v1, v8
	v_ashrrev_i32_e32 v1, 31, v0
	v_add_nc_u32_e32 v4, s1, v0
	v_lshlrev_b32_e32 v51, 2, v73
	v_mul_i32_i24_e32 v52, 0xffffff74, v73
	v_mad_i64_i32 v[6:7], null, v8, s40, 0
	v_add_nc_u32_e32 v8, s2, v2
	v_lshlrev_b64 v[57:58], 2, v[0:1]
	v_mov_b32_e32 v1, v48
	v_cmp_gt_u32_e64 s0, 2, v95
	v_xor_b32_e32 v79, 1, v74
	v_add_nc_u32_e32 v12, s2, v8
	v_lshlrev_b64 v[6:7], 1, v[6:7]
	v_ashrrev_i32_e32 v9, 31, v8
	s_lshl_b32 s4, s103, 6
	v_mov_b32_e32 v0, 0
	v_ashrrev_i32_e32 v13, 31, v12
	s_delay_alu instid0(VALU_DEP_4) | instskip(SKIP_1) | instid1(VALU_DEP_3)
	v_add_co_u32 v6, vcc_lo, s17, v6
	v_add_co_ci_u32_e32 v7, vcc_lo, s18, v7, vcc_lo
	v_lshlrev_b64 v[69:70], 2, v[12:13]
	s_delay_alu instid0(VALU_DEP_3)
	v_add_co_u32 v88, vcc_lo, v6, v3
	v_add_nc_u32_e32 v6, s2, v12
	v_ashrrev_i32_e32 v3, 31, v2
	v_mov_b32_e32 v12, v48
	v_add3_u32 v83, 0, v10, v5
	v_add_nc_u32_e32 v10, s1, v4
	v_add_co_ci_u32_e32 v89, vcc_lo, 0, v7, vcc_lo
	v_lshlrev_b64 v[65:66], 2, v[2:3]
	s_delay_alu instid0(VALU_DEP_3)
	v_dual_mov_b32 v3, v48 :: v_dual_add_nc_u32 v14, s1, v10
	v_ashrrev_i32_e32 v11, 31, v10
	v_ashrrev_i32_e32 v7, 31, v6
	v_lshlrev_b64 v[67:68], 2, v[8:9]
	v_add_nc_u32_e32 v85, 0x900, v83
	v_ashrrev_i32_e32 v15, 31, v14
	v_lshlrev_b64 v[61:62], 2, v[10:11]
	v_lshlrev_b64 v[71:72], 2, v[6:7]
	v_dual_mov_b32 v7, v48 :: v_dual_add_nc_u32 v86, 0x1200, v83
	s_delay_alu instid0(VALU_DEP_4)
	v_lshlrev_b64 v[63:64], 2, v[14:15]
	v_mov_b32_e32 v15, v48
	v_ashrrev_i32_e32 v5, 31, v4
	v_dual_mov_b32 v8, 0 :: v_dual_add_nc_u32 v87, 0x1b00, v83
	v_mov_b32_e32 v9, v48
	v_mov_b32_e32 v10, v48
	s_delay_alu instid0(VALU_DEP_4)
	v_lshlrev_b64 v[59:60], 2, v[4:5]
	v_mov_b32_e32 v11, v48
	v_dual_mov_b32 v4, v48 :: v_dual_lshlrev_b32 v91, 2, v50
	v_dual_mov_b32 v13, v48 :: v_dual_add_nc_u32 v92, v82, v52
	v_mov_b32_e32 v14, v48
	v_mov_b32_e32 v2, v48
	v_add3_u32 v90, v49, v51, 64
	v_mov_b32_e32 v5, v48
	v_mov_b32_e32 v6, v48
	s_ashr_i32 s5, s4, 31
	s_and_saveexec_b32 s1, s0
	s_cbranch_execz .LBB0_259
.LBB0_258:
	s_lshl_b64 s[2:3], s[4:5], 1
	s_delay_alu instid0(SALU_CYCLE_1)
	v_add_co_u32 v49, vcc_lo, v88, s2
	v_add_co_ci_u32_e32 v50, vcc_lo, s3, v89, vcc_lo
	global_load_b32 v49, v[49:50], off
	s_waitcnt vmcnt(0)
	ds_store_b32 v80, v49 offset:9216
.LBB0_259:                              ; =>This Inner Loop Header: Depth=1
	s_or_b32 exec_lo, exec_lo, s1
	s_mul_hi_i32 s3, s4, s34
	s_mul_i32 s2, s4, s34
	s_delay_alu instid0(SALU_CYCLE_1) | instskip(NEXT) | instid1(SALU_CYCLE_1)
	s_lshl_b64 s[2:3], s[2:3], 2
	s_add_u32 s1, s11, s2
	s_addc_u32 s2, s16, s3
	v_add_co_u32 v49, vcc_lo, s1, v57
	v_add_co_ci_u32_e32 v50, vcc_lo, s2, v58, vcc_lo
	v_add_co_u32 v51, vcc_lo, s1, v59
	v_add_co_ci_u32_e32 v52, vcc_lo, s2, v60, vcc_lo
	s_delay_alu instid0(VALU_DEP_4) | instskip(NEXT) | instid1(VALU_DEP_4)
	v_add_co_u32 v49, vcc_lo, v49, v91
	v_add_co_ci_u32_e32 v50, vcc_lo, 0, v50, vcc_lo
	s_delay_alu instid0(VALU_DEP_4) | instskip(NEXT) | instid1(VALU_DEP_4)
	v_add_co_u32 v53, vcc_lo, v51, v91
	v_add_co_ci_u32_e32 v54, vcc_lo, 0, v52, vcc_lo
	v_add_co_u32 v51, vcc_lo, s1, v61
	v_add_co_ci_u32_e32 v52, vcc_lo, s2, v62, vcc_lo
	;; [unrolled: 2-line block ×3, first 2 shown]
	s_delay_alu instid0(VALU_DEP_4) | instskip(NEXT) | instid1(VALU_DEP_4)
	v_add_co_u32 v104, vcc_lo, v51, v91
	v_add_co_ci_u32_e32 v105, vcc_lo, 0, v52, vcc_lo
	s_delay_alu instid0(VALU_DEP_4) | instskip(NEXT) | instid1(VALU_DEP_4)
	v_add_co_u32 v108, vcc_lo, v55, v91
	v_add_co_ci_u32_e32 v109, vcc_lo, 0, v100, vcc_lo
	s_clause 0x3
	global_load_b128 v[49:52], v[49:50], off
	global_load_b128 v[100:103], v[53:54], off
	;; [unrolled: 1-line block ×4, first 2 shown]
	s_mul_hi_i32 s3, s4, s10
	s_mul_i32 s2, s4, s10
	s_waitcnt vmcnt(3)
	ds_store_b128 v83, v[49:52]
	s_waitcnt vmcnt(2)
	ds_store_b128 v85, v[100:103]
	s_waitcnt vmcnt(1)
	ds_store_b128 v86, v[104:107]
	s_waitcnt vmcnt(0)
	ds_store_b128 v87, v[108:111]
	s_lshl_b64 s[2:3], s[2:3], 2
	s_waitcnt lgkmcnt(0)
	s_add_u32 s1, s6, s2
	s_addc_u32 s2, s7, s3
	v_add_co_u32 v53, vcc_lo, s1, v65
	v_add_co_ci_u32_e32 v54, vcc_lo, s2, v66, vcc_lo
	v_add_co_u32 v55, vcc_lo, s1, v67
	v_add_co_ci_u32_e32 v112, vcc_lo, s2, v68, vcc_lo
	;; [unrolled: 2-line block ×8, first 2 shown]
	s_barrier
	buffer_gl0_inv
	ds_load_b128 v[100:103], v82
	ds_load_b128 v[104:107], v82 offset:16
	ds_load_b128 v[108:111], v82 offset:32
	ds_load_b128 v[112:115], v82 offset:48
	ds_load_b128 v[116:119], v82 offset:64
	ds_load_b128 v[120:123], v82 offset:80
	ds_load_b128 v[124:127], v82 offset:96
	ds_load_b128 v[128:131], v82 offset:112
	v_mov_b32_e32 v55, v48
	s_waitcnt lgkmcnt(0)
	s_barrier
	buffer_gl0_inv
	s_clause 0x3
	global_load_b128 v[140:143], v[53:54], off
	global_load_b128 v[144:147], v[132:133], off
	;; [unrolled: 1-line block ×4, first 2 shown]
	v_mov_b32_e32 v49, v48
	v_mov_b32_e32 v50, v48
	;; [unrolled: 1-line block ×7, first 2 shown]
	ds_load_u16 v156, v84 offset:9216
	ds_load_u16 v157, v84 offset:9220
	;; [unrolled: 1-line block ×3, first 2 shown]
	v_dual_mov_b32 v136, v52 :: v_dual_mov_b32 v137, v53
	v_dual_mov_b32 v138, v54 :: v_dual_mov_b32 v135, v51
	v_dual_mov_b32 v134, v50 :: v_dual_mov_b32 v133, v49
	v_mov_b32_e32 v132, v48
	ds_load_u16 v49, v84 offset:9228
	ds_load_u16 v50, v84 offset:9232
	;; [unrolled: 1-line block ×5, first 2 shown]
	v_cmp_eq_u32_e64 s1, 0, v79
	v_cmp_eq_u32_e64 s2, 1, v74
	v_wmma_f32_16x16x16_f16 v[132:139], v[100:107], v[24:31], v[132:139]
	v_cmp_eq_u32_e64 s3, 0, v74
	s_add_i32 s103, s103, 1
	s_add_i32 s4, s4, 64
	v_add_nc_u32_e32 v106, 0x400, v92
	v_wmma_f32_16x16x16_f16 v[132:139], v[108:115], v[16:23], v[132:139]
	s_waitcnt lgkmcnt(7)
	v_cvt_f32_f16_e64 v54, v156
	s_waitcnt lgkmcnt(6)
	v_cvt_f32_f16_e64 v55, v157
	;; [unrolled: 2-line block ×3, first 2 shown]
	s_waitcnt vmcnt(3)
	ds_store_b128 v83, v[140:143]
	s_waitcnt vmcnt(2)
	ds_store_b128 v85, v[144:147]
	;; [unrolled: 2-line block ×4, first 2 shown]
	v_wmma_f32_16x16x16_f16 v[132:139], v[116:123], v[32:39], v[132:139]
	s_waitcnt lgkmcnt(8)
	v_cvt_f32_f16_e32 v49, v49
	s_waitcnt lgkmcnt(7)
	v_cvt_f32_f16_e32 v50, v50
	;; [unrolled: 2-line block ×3, first 2 shown]
	v_cvt_f32_f16_e32 v51, v51
	v_wmma_f32_16x16x16_f16 v[132:139], v[124:131], v[40:47], v[132:139]
	v_cvt_f32_f16_e32 v52, v52
	s_waitcnt lgkmcnt(0)
	s_barrier
	buffer_gl0_inv
	v_dual_add_f32 v55, v133, v55 :: v_dual_add_f32 v100, v134, v100
	v_dual_add_f32 v54, v132, v54 :: v_dual_add_f32 v101, v135, v49
	;; [unrolled: 1-line block ×3, first 2 shown]
	s_delay_alu instid0(VALU_DEP_3) | instskip(NEXT) | instid1(VALU_DEP_3)
	v_dual_add_f32 v102, 0x40051340, v55 :: v_dual_add_f32 v103, 0x40051340, v100
	v_add_f32_e32 v49, 0x40051340, v54
	s_delay_alu instid0(VALU_DEP_4) | instskip(SKIP_1) | instid1(VALU_DEP_3)
	v_dual_add_f32 v51, v137, v51 :: v_dual_add_f32 v104, 0x40051340, v101
	v_add_f32_e32 v52, v138, v52
	v_max3_f32 v49, v94, v49, v102
	s_delay_alu instid0(VALU_DEP_3) | instskip(NEXT) | instid1(VALU_DEP_2)
	v_dual_add_f32 v102, 0x40051340, v50 :: v_dual_add_f32 v105, 0x40051340, v51
	v_max3_f32 v49, v49, v103, v104
	s_delay_alu instid0(VALU_DEP_4) | instskip(NEXT) | instid1(VALU_DEP_2)
	v_dual_add_f32 v103, 0x40051340, v52 :: v_dual_add_f32 v104, 0x40051340, v53
	v_max3_f32 v49, v49, v102, v105
	s_delay_alu instid0(VALU_DEP_1) | instskip(SKIP_3) | instid1(VALU_DEP_1)
	v_max3_f32 v49, v49, v103, v104
	ds_bpermute_b32 v102, v81, v49
	s_waitcnt lgkmcnt(0)
	v_max_f32_e32 v102, v102, v102
	v_max_f32_e32 v49, v49, v102
	v_add_nc_u32_e32 v107, 0x800, v92
	s_delay_alu instid0(VALU_DEP_2) | instskip(SKIP_3) | instid1(VALU_DEP_4)
	v_dual_sub_f32 v55, v55, v49 :: v_dual_add_nc_u32 v108, 0x200, v90
	v_sub_f32_e32 v52, v52, v49
	v_sub_f32_e32 v50, v50, v49
	;; [unrolled: 1-line block ×3, first 2 shown]
	v_dual_sub_f32 v100, v100, v49 :: v_dual_mul_f32 v103, 0x3fb8aa3b, v55
	s_delay_alu instid0(VALU_DEP_4) | instskip(NEXT) | instid1(VALU_DEP_4)
	v_mul_f32_e32 v111, 0x3fb8aa3b, v52
	v_mul_f32_e32 v109, 0x3fb8aa3b, v50
	s_delay_alu instid0(VALU_DEP_4) | instskip(NEXT) | instid1(VALU_DEP_4)
	v_dual_sub_f32 v101, v101, v49 :: v_dual_mul_f32 v102, 0x3fb8aa3b, v54
	v_dual_sub_f32 v51, v51, v49 :: v_dual_mul_f32 v104, 0x3fb8aa3b, v100
	v_sub_f32_e32 v53, v53, v49
	s_delay_alu instid0(VALU_DEP_4) | instskip(SKIP_1) | instid1(VALU_DEP_4)
	v_rndne_f32_e32 v123, v109
	v_sub_f32_e32 v94, v94, v49
	v_mul_f32_e32 v110, 0x3fb8aa3b, v51
	v_rndne_f32_e32 v115, v102
	v_mul_f32_e32 v105, 0x3fb8aa3b, v101
	v_fma_f32 v122, 0x3fb8aa3b, v50, -v109
	v_dual_sub_f32 v109, v109, v123 :: v_dual_mul_f32 v112, 0x3fb8aa3b, v53
	v_mul_f32_e32 v113, 0x3fb8aa3b, v94
	v_fma_f32 v114, 0x3fb8aa3b, v54, -v102
	v_fma_f32 v116, 0x3fb8aa3b, v55, -v103
	v_sub_f32_e32 v102, v102, v115
	v_fma_f32 v120, 0x3fb8aa3b, v101, -v105
	v_rndne_f32_e32 v121, v105
	v_rndne_f32_e32 v131, v113
	v_fma_f32 v124, 0x3fb8aa3b, v51, -v110
	v_fma_f32 v130, 0x3fb8aa3b, v94, -v113
	s_delay_alu instid0(VALU_DEP_4) | instskip(NEXT) | instid1(VALU_DEP_4)
	v_dual_fmac_f32 v116, 0x32a5705f, v55 :: v_dual_sub_f32 v105, v105, v121
	v_dual_fmac_f32 v120, 0x32a5705f, v101 :: v_dual_sub_f32 v113, v113, v131
	v_fmac_f32_e32 v122, 0x32a5705f, v50
	v_rndne_f32_e32 v117, v103
	s_delay_alu instid0(VALU_DEP_3) | instskip(NEXT) | instid1(VALU_DEP_3)
	v_dual_fmac_f32 v114, 0x32a5705f, v54 :: v_dual_add_f32 v105, v105, v120
	v_dual_fmac_f32 v124, 0x32a5705f, v51 :: v_dual_add_f32 v109, v109, v122
	v_cvt_i32_f32_e32 v123, v123
	v_fma_f32 v118, 0x3fb8aa3b, v100, -v104
	v_rndne_f32_e32 v119, v104
	v_sub_f32_e32 v103, v103, v117
	v_exp_f32_e32 v109, v109
	v_rndne_f32_e32 v127, v111
	v_fmac_f32_e32 v118, 0x32a5705f, v100
	s_delay_alu instid0(VALU_DEP_3) | instskip(SKIP_2) | instid1(VALU_DEP_3)
	v_dual_sub_f32 v104, v104, v119 :: v_dual_add_f32 v103, v103, v116
	v_fma_f32 v126, 0x3fb8aa3b, v52, -v111
	v_cvt_i32_f32_e32 v115, v115
	v_dual_sub_f32 v111, v111, v127 :: v_dual_add_f32 v104, v104, v118
	s_delay_alu instid0(VALU_DEP_4) | instskip(NEXT) | instid1(TRANS32_DEP_2)
	v_exp_f32_e32 v103, v103
	v_ldexp_f32 v109, v109, v123
	v_add_f32_e32 v102, v102, v114
	v_cvt_i32_f32_e32 v117, v117
	v_exp_f32_e32 v104, v104
	v_cmp_ngt_f32_e32 vcc_lo, 0xc2ce8ed0, v54
	v_fma_f32 v128, 0x3fb8aa3b, v53, -v112
	v_exp_f32_e32 v102, v102
	v_cvt_i32_f32_e32 v119, v119
	v_exp_f32_e32 v105, v105
	v_ldexp_f32 v103, v103, v117
	v_cvt_i32_f32_e32 v121, v121
	v_rndne_f32_e32 v125, v110
	v_rndne_f32_e32 v129, v112
	v_ldexp_f32 v104, v104, v119
	v_cvt_i32_f32_e32 v127, v127
	v_cvt_i32_f32_e32 v114, v131
	v_ldexp_f32 v102, v102, v115
	s_delay_alu instid0(TRANS32_DEP_1) | instskip(NEXT) | instid1(VALU_DEP_2)
	v_ldexp_f32 v105, v105, v121
	v_cndmask_b32_e32 v102, 0, v102, vcc_lo
	v_cmp_ngt_f32_e32 vcc_lo, 0xc2ce8ed0, v55
	v_dual_fmac_f32 v128, 0x32a5705f, v53 :: v_dual_cndmask_b32 v103, 0, v103
	v_cmp_ngt_f32_e32 vcc_lo, 0xc2ce8ed0, v100
	v_cndmask_b32_e32 v104, 0, v104, vcc_lo
	v_cmp_ngt_f32_e32 vcc_lo, 0xc2ce8ed0, v101
	v_dual_fmac_f32 v130, 0x32a5705f, v94 :: v_dual_cndmask_b32 v105, 0, v105
	s_delay_alu instid0(VALU_DEP_1) | instskip(SKIP_3) | instid1(VALU_DEP_4)
	v_dual_fmac_f32 v126, 0x32a5705f, v52 :: v_dual_add_f32 v113, v113, v130
	v_sub_f32_e32 v110, v110, v125
	v_cvt_i32_f32_e32 v125, v125
	v_cmp_ngt_f32_e32 vcc_lo, 0xc2ce8ed0, v50
	v_add_f32_e32 v111, v111, v126
	v_exp_f32_e32 v113, v113
	v_dual_add_f32 v110, v110, v124 :: v_dual_cndmask_b32 v109, 0, v109
	s_delay_alu instid0(VALU_DEP_2) | instskip(SKIP_1) | instid1(VALU_DEP_2)
	v_exp_f32_e32 v111, v111
	v_cmp_ngt_f32_e32 vcc_lo, 0xc2ce8ed0, v51
	v_exp_f32_e32 v110, v110
	s_delay_alu instid0(TRANS32_DEP_3) | instskip(SKIP_3) | instid1(VALU_DEP_1)
	v_ldexp_f32 v113, v113, v114
	s_waitcnt_depctr 0xfff
	v_ldexp_f32 v111, v111, v127
	v_ldexp_f32 v110, v110, v125
	v_cndmask_b32_e32 v110, 0, v110, vcc_lo
	v_cmp_ngt_f32_e32 vcc_lo, 0xc2ce8ed0, v52
	v_sub_f32_e32 v112, v112, v129
	v_cvt_i32_f32_e32 v129, v129
	s_delay_alu instid0(VALU_DEP_2) | instskip(SKIP_1) | instid1(VALU_DEP_2)
	v_dual_cndmask_b32 v111, 0, v111 :: v_dual_add_f32 v112, v112, v128
	v_cmp_ngt_f32_e32 vcc_lo, 0xc2ce8ed0, v53
	v_exp_f32_e32 v112, v112
	s_waitcnt_depctr 0xfff
	v_ldexp_f32 v112, v112, v129
	s_delay_alu instid0(VALU_DEP_1)
	v_cndmask_b32_e32 v112, 0, v112, vcc_lo
	v_cmp_ngt_f32_e32 vcc_lo, 0xc2ce8ed0, v94
	v_cndmask_b32_e32 v113, 0, v113, vcc_lo
	v_cmp_nlt_f32_e32 vcc_lo, 0x42b17218, v54
	v_cndmask_b32_e32 v54, 0x7f800000, v102, vcc_lo
	v_cmp_nlt_f32_e32 vcc_lo, 0x42b17218, v55
	ds_bpermute_b32 v102, v81, v54
	v_cndmask_b32_e32 v55, 0x7f800000, v103, vcc_lo
	v_cmp_nlt_f32_e32 vcc_lo, 0x42b17218, v100
	v_cndmask_b32_e32 v100, 0x7f800000, v104, vcc_lo
	v_cmp_nlt_f32_e32 vcc_lo, 0x42b17218, v101
	s_delay_alu instid0(VALU_DEP_4) | instskip(SKIP_1) | instid1(VALU_DEP_2)
	v_dual_add_f32 v104, v54, v55 :: v_dual_cndmask_b32 v101, 0x7f800000, v105
	v_cmp_nlt_f32_e32 vcc_lo, 0x42b17218, v50
	v_add_f32_e32 v104, v100, v104
	ds_bpermute_b32 v105, v81, v100
	v_cndmask_b32_e32 v50, 0x7f800000, v109, vcc_lo
	v_cmp_nlt_f32_e32 vcc_lo, 0x42b17218, v51
	ds_bpermute_b32 v109, v81, v101
	v_dual_add_f32 v104, v101, v104 :: v_dual_cndmask_b32 v51, 0x7f800000, v110
	v_cmp_nlt_f32_e32 vcc_lo, 0x42b17218, v52
	ds_bpermute_b32 v110, v81, v50
	v_add_f32_e32 v104, v50, v104
	v_cndmask_b32_e32 v52, 0x7f800000, v111, vcc_lo
	v_cmp_nlt_f32_e32 vcc_lo, 0x42b17218, v94
	ds_bpermute_b32 v111, v81, v51
	v_dual_add_f32 v104, v51, v104 :: v_dual_cndmask_b32 v103, 0x7f800000, v113
	v_cmp_nlt_f32_e32 vcc_lo, 0x42b17218, v53
	v_cndmask_b32_e32 v53, 0x7f800000, v112, vcc_lo
	v_cmp_le_f32_e32 vcc_lo, 0xc1a00000, v94
	ds_bpermute_b32 v112, v81, v52
	v_cndmask_b32_e32 v94, 0, v103, vcc_lo
	ds_bpermute_b32 v103, v81, v55
	v_cmp_eq_u32_e32 vcc_lo, 1, v79
	v_cvt_f16_f32_e32 v114, v94
	s_waitcnt lgkmcnt(6)
	v_cndmask_b32_e32 v115, v54, v102, vcc_lo
	v_cndmask_b32_e64 v54, v54, v102, s1
	s_delay_alu instid0(VALU_DEP_3) | instskip(SKIP_1) | instid1(VALU_DEP_4)
	v_pk_mul_f16 v8, v114, v8 op_sel_hi:[0,1]
	v_pk_mul_f16 v9, v114, v9 op_sel_hi:[0,1]
	v_cndmask_b32_e64 v102, v115, v55, s2
	s_delay_alu instid0(VALU_DEP_4)
	v_cndmask_b32_e64 v55, v54, v55, s3
	v_pk_mul_f16 v10, v114, v10 op_sel_hi:[0,1]
	v_pk_mul_f16 v11, v114, v11 op_sel_hi:[0,1]
	;; [unrolled: 1-line block ×7, first 2 shown]
	s_waitcnt lgkmcnt(0)
	v_cndmask_b32_e32 v102, v102, v103, vcc_lo
	v_cndmask_b32_e64 v55, v55, v103, s1
	v_pk_mul_f16 v1, v114, v1 op_sel_hi:[0,1]
	v_pk_mul_f16 v2, v114, v2 op_sel_hi:[0,1]
	;; [unrolled: 1-line block ×3, first 2 shown]
	v_cndmask_b32_e64 v103, v102, v100, s2
	v_cndmask_b32_e64 v100, v55, v100, s3
	v_pk_mul_f16 v4, v114, v4 op_sel_hi:[0,1]
	v_pk_mul_f16 v5, v114, v5 op_sel_hi:[0,1]
	;; [unrolled: 1-line block ×3, first 2 shown]
	v_cndmask_b32_e32 v103, v103, v105, vcc_lo
	v_cndmask_b32_e64 v100, v100, v105, s1
	v_pk_mul_f16 v7, v114, v7 op_sel_hi:[0,1]
	v_cvt_f16_f32_e32 v54, v54
	v_cvt_f16_f32_e32 v115, v115
	v_cndmask_b32_e64 v105, v103, v101, s2
	v_cndmask_b32_e64 v101, v100, v101, s3
	v_cvt_f16_f32_e32 v103, v103
	v_cvt_f16_f32_e32 v55, v55
	s_delay_alu instid0(VALU_DEP_4) | instskip(NEXT) | instid1(VALU_DEP_4)
	v_cndmask_b32_e32 v105, v105, v109, vcc_lo
	v_cndmask_b32_e64 v109, v101, v109, s1
	v_add_f32_e32 v101, v52, v104
	s_delay_alu instid0(VALU_DEP_3) | instskip(NEXT) | instid1(VALU_DEP_3)
	v_cndmask_b32_e64 v104, v105, v50, s2
	v_cndmask_b32_e64 v114, v109, v50, s3
	s_delay_alu instid0(VALU_DEP_3)
	v_add_f32_e32 v50, v53, v101
	v_cvt_f16_f32_e32 v101, v102
	v_cvt_f16_f32_e32 v102, v100
	v_cndmask_b32_e32 v104, v104, v110, vcc_lo
	v_cndmask_b32_e64 v110, v114, v110, s1
	v_fmac_f32_e32 v50, v93, v94
	ds_bpermute_b32 v113, v81, v53
	v_pack_b32_f16 v100, v54, v115
	v_cndmask_b32_e64 v114, v104, v51, s2
	v_cndmask_b32_e64 v51, v110, v51, s3
	v_pack_b32_f16 v102, v102, v103
	v_cvt_f16_f32_e32 v103, v105
	v_pack_b32_f16 v101, v55, v101
	v_cndmask_b32_e32 v54, v114, v111, vcc_lo
	v_cndmask_b32_e64 v51, v51, v111, s1
	v_cvt_f16_f32_e32 v55, v109
	v_cvt_f16_f32_e32 v109, v110
	;; [unrolled: 1-line block ×3, first 2 shown]
	v_cndmask_b32_e64 v105, v54, v52, s2
	v_cndmask_b32_e64 v52, v51, v52, s3
	v_pack_b32_f16 v103, v55, v103
	v_cvt_f16_f32_e32 v51, v51
	v_cvt_f16_f32_e32 v54, v54
	v_cndmask_b32_e32 v110, v105, v112, vcc_lo
	v_cndmask_b32_e64 v52, v52, v112, s1
	v_pack_b32_f16 v104, v109, v104
	s_delay_alu instid0(VALU_DEP_4) | instskip(NEXT) | instid1(VALU_DEP_4)
	v_pack_b32_f16 v105, v51, v54
	v_cndmask_b32_e64 v55, v110, v53, s2
	s_delay_alu instid0(VALU_DEP_4)
	v_cndmask_b32_e64 v53, v52, v53, s3
	v_cvt_f16_f32_e32 v109, v52
	v_cvt_f16_f32_e32 v110, v110
	s_waitcnt lgkmcnt(0)
	v_cndmask_b32_e32 v55, v55, v113, vcc_lo
	v_cndmask_b32_e64 v111, v53, v113, s1
	ds_load_2addr_b32 v[51:52], v92 offset1:16
	ds_load_2addr_b32 v[53:54], v92 offset0:36 offset1:52
	ds_load_2addr_b32 v[125:126], v92 offset0:72 offset1:88
	;; [unrolled: 1-line block ×3, first 2 shown]
	v_cmp_lt_i32_e32 vcc_lo, s103, v78
	v_cvt_f16_f32_e32 v55, v55
	v_cvt_f16_f32_e32 v113, v111
	ds_load_2addr_b32 v[111:112], v92 offset0:144 offset1:180
	ds_load_2addr_b32 v[129:130], v92 offset0:196 offset1:216
	;; [unrolled: 1-line block ×10, first 2 shown]
	v_pack_b32_f16 v106, v109, v110
	s_and_b32 vcc_lo, exec_lo, vcc_lo
	v_pack_b32_f16 v107, v113, v55
	ds_load_2addr_b32 v[147:148], v108 offset0:16 offset1:160
	ds_load_b32 v55, v90 offset:1728
	ds_load_b32 v149, v92 offset:2224
	s_waitcnt lgkmcnt(0)
	s_barrier
	buffer_gl0_inv
	v_perm_b32 v108, v53, v51, 0x5040100
	v_perm_b32 v110, v112, v111, 0x5040100
	;; [unrolled: 1-line block ×32, first 2 shown]
	v_wmma_f16_16x16x16_f16 v[8:15], v[108:115], v[100:107], v[8:15]
	v_wmma_f16_16x16x16_f16 v[0:7], v[124:131], v[100:107], v[0:7]
	s_delay_alu instid0(VALU_DEP_2) | instskip(NEXT) | instid1(VALU_DEP_2)
	v_wmma_f16_16x16x16_f16 v[8:15], v[116:123], v[100:107], v[8:15] op_sel:[0,0,1]
	v_wmma_f16_16x16x16_f16 v[0:7], v[132:139], v[100:107], v[0:7] op_sel:[0,0,1]
	s_cbranch_vccz .LBB0_264
; %bb.260:                              ;   in Loop: Header=BB0_259 Depth=1
	v_dual_mov_b32 v93, v50 :: v_dual_mov_b32 v94, v49
	s_ashr_i32 s5, s4, 31
	s_and_saveexec_b32 s1, s0
	s_cbranch_execnz .LBB0_258
	s_branch .LBB0_259
.LBB0_261:
                                        ; implicit-def: $sgpr50_sgpr51
	s_load_b64 s[44:45], s[0:1], 0x74
	v_cvt_f32_u32_e32 v2, s14
	s_branch .LBB0_2
.LBB0_262:
                                        ; implicit-def: $sgpr54_sgpr55
	s_load_b64 s[12:13], s[0:1], 0x5c
	s_branch .LBB0_5
.LBB0_263:
	v_dual_mov_b32 v50, 0 :: v_dual_mov_b32 v49, 0xfeffffff
	v_dual_mov_b32 v6, 0 :: v_dual_mov_b32 v5, 0
	;; [unrolled: 1-line block ×8, first 2 shown]
	v_mov_b32_e32 v8, 0
.LBB0_264:
	s_lshl_b32 s0, s103, 6
	s_mov_b32 s2, exec_lo
	s_ashr_i32 s1, s0, 31
	v_cmpx_gt_u32_e32 2, v95
	s_cbranch_execz .LBB0_266
; %bb.265:
	v_or_b32_e32 v48, s9, v95
	s_lshl_b64 s[4:5], s[0:1], 1
	s_delay_alu instid0(SALU_CYCLE_1) | instskip(SKIP_1) | instid1(VALU_DEP_1)
	s_add_u32 s1, s17, s4
	s_addc_u32 s3, s18, s5
	v_mul_hi_u32 v51, s12, v48
	s_delay_alu instid0(VALU_DEP_1) | instskip(NEXT) | instid1(VALU_DEP_1)
	v_add_nc_u32_e32 v51, v48, v51
	v_lshrrev_b32_e32 v51, s13, v51
	s_delay_alu instid0(VALU_DEP_1) | instskip(NEXT) | instid1(VALU_DEP_1)
	v_mul_lo_u32 v51, v51, s8
	v_sub_nc_u32_e32 v48, v48, v51
	s_delay_alu instid0(VALU_DEP_1) | instskip(SKIP_1) | instid1(VALU_DEP_2)
	v_mad_i64_i32 v[51:52], null, v48, s40, 0
	v_lshlrev_b32_e32 v48, 2, v56
	v_lshlrev_b64 v[51:52], 1, v[51:52]
	s_delay_alu instid0(VALU_DEP_1) | instskip(NEXT) | instid1(VALU_DEP_2)
	v_add_co_u32 v51, vcc_lo, s1, v51
	v_add_co_ci_u32_e32 v52, vcc_lo, s3, v52, vcc_lo
	s_delay_alu instid0(VALU_DEP_2) | instskip(NEXT) | instid1(VALU_DEP_2)
	v_add_co_u32 v51, vcc_lo, v51, v48
	v_add_co_ci_u32_e32 v52, vcc_lo, 0, v52, vcc_lo
	global_load_b32 v51, v[51:52], off
	v_mul_u32_u24_e32 v52, 0x90, v95
	s_delay_alu instid0(VALU_DEP_1)
	v_add3_u32 v48, 0, v52, v48
	s_waitcnt vmcnt(0)
	ds_store_b32 v48, v51 offset:9216
.LBB0_266:
	s_or_b32 exec_lo, exec_lo, s2
	v_add_nc_u32_e32 v51, v77, v97
	s_mul_hi_i32 s3, s0, s34
	s_mul_i32 s2, s0, s34
	v_lshlrev_b32_e32 v48, 4, v56
	s_lshl_b64 s[2:3], s[2:3], 2
	v_mul_lo_u32 v52, s34, v51
	s_add_u32 s1, s11, s2
	s_addc_u32 s2, s16, s3
	s_lshl_b32 s3, s34, 4
	v_and_b32_e32 v48, 0x70, v48
	v_mul_lo_u32 v70, s10, v51
	v_mul_u32_u24_e32 v51, 0x90, v51
	v_lshrrev_b32_e32 v117, 3, v76
	v_add_nc_u32_e32 v54, s3, v52
	v_ashrrev_i32_e32 v53, 31, v52
	s_delay_alu instid0(VALU_DEP_4) | instskip(SKIP_1) | instid1(VALU_DEP_4)
	v_add3_u32 v120, 0, v51, v48
	v_ashrrev_i32_e32 v71, 31, v70
	v_ashrrev_i32_e32 v55, 31, v54
	v_add_nc_u32_e32 v57, s3, v54
	v_lshlrev_b64 v[52:53], 2, v[52:53]
	s_delay_alu instid0(VALU_DEP_3) | instskip(NEXT) | instid1(VALU_DEP_3)
	v_lshlrev_b64 v[54:55], 2, v[54:55]
	v_ashrrev_i32_e32 v58, 31, v57
	v_add_nc_u32_e32 v59, s3, v57
	s_delay_alu instid0(VALU_DEP_4) | instskip(SKIP_1) | instid1(VALU_DEP_4)
	v_add_co_u32 v61, vcc_lo, s1, v52
	v_add_co_ci_u32_e32 v62, vcc_lo, s2, v53, vcc_lo
	v_lshlrev_b64 v[52:53], 2, v[57:58]
	v_add_co_u32 v57, vcc_lo, s1, v54
	v_ashrrev_i32_e32 v60, 31, v59
	v_add_co_ci_u32_e32 v58, vcc_lo, s2, v55, vcc_lo
	v_add_co_u32 v54, vcc_lo, v61, v48
	v_add_co_ci_u32_e32 v55, vcc_lo, 0, v62, vcc_lo
	v_add_co_u32 v57, vcc_lo, v57, v48
	v_lshlrev_b64 v[59:60], 2, v[59:60]
	v_add_co_ci_u32_e32 v58, vcc_lo, 0, v58, vcc_lo
	v_add_co_u32 v52, vcc_lo, s1, v52
	v_add_co_ci_u32_e32 v53, vcc_lo, s2, v53, vcc_lo
	s_delay_alu instid0(VALU_DEP_4) | instskip(SKIP_1) | instid1(VALU_DEP_4)
	v_add_co_u32 v59, vcc_lo, s1, v59
	v_add_co_ci_u32_e32 v60, vcc_lo, s2, v60, vcc_lo
	v_add_co_u32 v62, vcc_lo, v52, v48
	s_delay_alu instid0(VALU_DEP_4) | instskip(NEXT) | instid1(VALU_DEP_4)
	v_add_co_ci_u32_e32 v63, vcc_lo, 0, v53, vcc_lo
	v_add_co_u32 v66, vcc_lo, v59, v48
	s_delay_alu instid0(VALU_DEP_4)
	v_add_co_ci_u32_e32 v67, vcc_lo, 0, v60, vcc_lo
	s_clause 0x3
	global_load_b128 v[52:55], v[54:55], off
	global_load_b128 v[58:61], v[57:58], off
	;; [unrolled: 1-line block ×4, first 2 shown]
	s_mul_hi_i32 s1, s0, s10
	s_mul_i32 s0, s0, s10
	v_mov_b32_e32 v57, 0
	s_lshl_b64 s[0:1], s[0:1], 2
	v_and_b32_e32 v116, 48, v96
	s_add_u32 s0, s6, s0
	s_addc_u32 s1, s7, s1
	s_lshl_b32 s2, s10, 4
	s_waitcnt vmcnt(3)
	ds_store_b128 v120, v[52:55]
	s_waitcnt vmcnt(2)
	ds_store_b128 v120, v[58:61] offset:2304
	s_waitcnt vmcnt(1)
	ds_store_b128 v120, v[62:65] offset:4608
	;; [unrolled: 2-line block ×3, first 2 shown]
	v_dual_mov_b32 v63, v57 :: v_dual_add_nc_u32 v76, s2, v70
	v_lshlrev_b64 v[70:71], 2, v[70:71]
	v_mad_u32_u24 v119, 0x90, v116, 0
	v_mov_b32_e32 v61, v57
	v_mov_b32_e32 v62, v57
	v_ashrrev_i32_e32 v77, 31, v76
	v_add_nc_u32_e32 v78, s2, v76
	v_add_co_u32 v51, vcc_lo, s0, v70
	v_dual_mov_b32 v60, v57 :: v_dual_add_nc_u32 v121, v119, v75
	s_delay_alu instid0(VALU_DEP_4) | instskip(SKIP_4) | instid1(VALU_DEP_4)
	v_lshlrev_b64 v[75:76], 2, v[76:77]
	v_add_co_ci_u32_e32 v72, vcc_lo, s1, v71, vcc_lo
	v_ashrrev_i32_e32 v79, 31, v78
	v_add_nc_u32_e32 v77, s2, v78
	v_add_co_u32 v91, vcc_lo, v51, v48
	v_add_co_ci_u32_e32 v92, vcc_lo, 0, v72, vcc_lo
	s_delay_alu instid0(VALU_DEP_4) | instskip(NEXT) | instid1(VALU_DEP_4)
	v_lshlrev_b64 v[70:71], 2, v[78:79]
	v_ashrrev_i32_e32 v78, 31, v77
	v_add_co_u32 v51, vcc_lo, s0, v75
	v_add_co_ci_u32_e32 v72, vcc_lo, s1, v76, vcc_lo
	s_delay_alu instid0(VALU_DEP_3) | instskip(NEXT) | instid1(VALU_DEP_3)
	v_lshlrev_b64 v[75:76], 2, v[77:78]
	v_add_co_u32 v93, vcc_lo, v51, v48
	s_delay_alu instid0(VALU_DEP_3) | instskip(SKIP_4) | instid1(VALU_DEP_4)
	v_add_co_ci_u32_e32 v94, vcc_lo, 0, v72, vcc_lo
	v_add_co_u32 v51, vcc_lo, s0, v70
	v_add_co_ci_u32_e32 v70, vcc_lo, s1, v71, vcc_lo
	v_add_co_u32 v71, vcc_lo, s0, v75
	;; [unrolled: 2-line block ×3, first 2 shown]
	s_delay_alu instid0(VALU_DEP_4) | instskip(NEXT) | instid1(VALU_DEP_4)
	v_add_co_ci_u32_e32 v109, vcc_lo, 0, v70, vcc_lo
	v_add_co_u32 v112, vcc_lo, v71, v48
	s_delay_alu instid0(VALU_DEP_4)
	v_add_co_ci_u32_e32 v113, vcc_lo, 0, v72, vcc_lo
	s_waitcnt lgkmcnt(0)
	s_barrier
	buffer_gl0_inv
	ds_load_b128 v[65:68], v121
	ds_load_b128 v[69:72], v121 offset:16
	ds_load_b128 v[75:78], v121 offset:32
	;; [unrolled: 1-line block ×7, first 2 shown]
	v_dual_mov_b32 v64, v57 :: v_dual_lshlrev_b32 v55, 1, v116
	v_mov_b32_e32 v58, v57
	v_mov_b32_e32 v59, v57
	v_mad_u32_u24 v48, 0x90, v117, 0
	s_waitcnt lgkmcnt(0)
	s_barrier
	buffer_gl0_inv
	s_clause 0x3
	global_load_b128 v[51:54], v[91:92], off
	global_load_b128 v[91:94], v[93:94], off
	global_load_b128 v[108:111], v[108:109], off
	global_load_b128 v[112:115], v[112:113], off
	v_cmp_eq_u32_e64 s1, 1, v74
	v_cmp_eq_u32_e64 s2, 0, v74
	v_wmma_f32_16x16x16_f16 v[57:64], v[65:72], v[24:31], v[57:64]
	s_delay_alu instid0(VALU_DEP_1) | instskip(SKIP_1) | instid1(VALU_DEP_2)
	v_wmma_f32_16x16x16_f16 v[57:64], v[75:82], v[16:23], v[57:64]
	v_xor_b32_e32 v16, 16, v99
	v_wmma_f32_16x16x16_f16 v[57:64], v[83:90], v[32:39], v[57:64]
	s_delay_alu instid0(VALU_DEP_2) | instskip(NEXT) | instid1(VALU_DEP_2)
	v_cmp_gt_i32_e32 vcc_lo, 32, v16
	v_wmma_f32_16x16x16_f16 v[57:64], v[100:107], v[40:47], v[57:64]
	v_lshlrev_b32_e32 v118, 1, v74
	v_cndmask_b32_e32 v16, v99, v16, vcc_lo
	s_delay_alu instid0(VALU_DEP_2)
	v_add3_u32 v48, v48, v55, v118
	ds_load_u16 v55, v48 offset:9216
	ds_load_u16 v116, v48 offset:9220
	;; [unrolled: 1-line block ×8, first 2 shown]
	s_waitcnt vmcnt(3)
	ds_store_b128 v120, v[51:54]
	s_waitcnt vmcnt(2)
	ds_store_b128 v120, v[91:94] offset:2304
	s_waitcnt vmcnt(1)
	ds_store_b128 v120, v[108:111] offset:4608
	;; [unrolled: 2-line block ×3, first 2 shown]
	s_waitcnt lgkmcnt(11)
	v_cvt_f32_f16_e32 v17, v55
	s_waitcnt lgkmcnt(10)
	v_cvt_f32_f16_e32 v18, v116
	;; [unrolled: 2-line block ×5, first 2 shown]
	v_dual_add_f32 v17, v57, v17 :: v_dual_add_f32 v18, v58, v18
	s_waitcnt lgkmcnt(6)
	v_cvt_f32_f16_e32 v22, v123
	v_dual_add_f32 v19, v59, v19 :: v_dual_add_f32 v20, v60, v20
	s_delay_alu instid0(VALU_DEP_3)
	v_dual_add_f32 v25, 0x40051340, v17 :: v_dual_add_f32 v26, 0x40051340, v18
	v_add_f32_e32 v21, v61, v21
	s_waitcnt lgkmcnt(5)
	v_cvt_f32_f16_e32 v23, v124
	s_waitcnt lgkmcnt(4)
	v_cvt_f32_f16_e32 v24, v24
	v_dual_add_f32 v22, v62, v22 :: v_dual_add_f32 v27, 0x40051340, v19
	s_delay_alu instid0(VALU_DEP_3) | instskip(SKIP_1) | instid1(VALU_DEP_3)
	v_dual_add_f32 v28, 0x40051340, v20 :: v_dual_add_f32 v23, v63, v23
	v_max3_f32 v25, v49, v25, v26
	v_dual_add_f32 v24, v64, v24 :: v_dual_add_f32 v29, 0x40051340, v22
	v_dual_add_f32 v26, 0x40051340, v21 :: v_dual_lshlrev_b32 v57, 2, v16
	s_delay_alu instid0(VALU_DEP_3) | instskip(NEXT) | instid1(VALU_DEP_3)
	v_max3_f32 v25, v25, v27, v28
	v_dual_add_f32 v27, 0x40051340, v23 :: v_dual_add_f32 v28, 0x40051340, v24
	s_waitcnt lgkmcnt(0)
	s_barrier
	s_delay_alu instid0(VALU_DEP_2)
	v_max3_f32 v25, v25, v26, v29
	v_mad_i32_i24 v29, 0xffffff74, v73, v121
	buffer_gl0_inv
	v_max3_f32 v16, v25, v27, v28
	v_lshl_add_u32 v28, v73, 2, v119
	ds_bpermute_b32 v25, v57, v16
	s_waitcnt lgkmcnt(0)
	v_max_f32_e32 v25, v25, v25
	s_delay_alu instid0(VALU_DEP_1) | instskip(SKIP_3) | instid1(VALU_DEP_4)
	v_dual_max_f32 v58, v16, v25 :: v_dual_add_nc_u32 v25, 0x200, v28
	v_add_nc_u32_e32 v30, 0x400, v29
	v_add_nc_u32_e32 v39, 0x800, v29
	v_xor_b32_e32 v16, 1, v74
	v_sub_f32_e32 v20, v20, v58
	v_sub_f32_e32 v17, v17, v58
	;; [unrolled: 1-line block ×5, first 2 shown]
	s_delay_alu instid0(VALU_DEP_4)
	v_dual_sub_f32 v22, v22, v58 :: v_dual_mul_f32 v27, 0x3fb8aa3b, v17
	v_dual_sub_f32 v24, v24, v58 :: v_dual_mul_f32 v33, 0x3fb8aa3b, v20
	v_sub_f32_e32 v26, v49, v58
	v_dual_mul_f32 v32, 0x3fb8aa3b, v19 :: v_dual_sub_f32 v23, v23, v58
	v_dual_mul_f32 v34, 0x3fb8aa3b, v21 :: v_dual_mul_f32 v31, 0x3fb8aa3b, v18
	v_fma_f32 v40, 0x3fb8aa3b, v17, -v27
	v_rndne_f32_e32 v41, v27
	s_delay_alu instid0(VALU_DEP_4) | instskip(SKIP_2) | instid1(VALU_DEP_4)
	v_dual_mul_f32 v36, 0x3fb8aa3b, v23 :: v_dual_mul_f32 v37, 0x3fb8aa3b, v24
	v_mul_f32_e32 v38, 0x3fb8aa3b, v26
	v_fma_f32 v42, 0x3fb8aa3b, v18, -v31
	v_sub_f32_e32 v27, v27, v41
	v_rndne_f32_e32 v43, v31
	v_rndne_f32_e32 v49, v34
	v_fmac_f32_e32 v40, 0x32a5705f, v17
	v_rndne_f32_e32 v47, v33
	v_fma_f32 v48, 0x3fb8aa3b, v21, -v34
	v_sub_f32_e32 v31, v31, v43
	v_fma_f32 v60, 0x3fb8aa3b, v23, -v36
	v_fmac_f32_e32 v42, 0x32a5705f, v18
	v_dual_sub_f32 v34, v34, v49 :: v_dual_add_f32 v27, v27, v40
	v_fma_f32 v46, 0x3fb8aa3b, v20, -v33
	v_sub_f32_e32 v33, v33, v47
	s_delay_alu instid0(VALU_DEP_4) | instskip(NEXT) | instid1(VALU_DEP_4)
	v_dual_fmac_f32 v60, 0x32a5705f, v23 :: v_dual_add_f32 v31, v31, v42
	v_exp_f32_e32 v27, v27
	v_fma_f32 v44, 0x3fb8aa3b, v19, -v32
	v_rndne_f32_e32 v45, v32
	v_mul_f32_e32 v35, 0x3fb8aa3b, v22
	v_cvt_i32_f32_e32 v41, v41
	v_exp_f32_e32 v31, v31
	v_fma_f32 v64, 0x3fb8aa3b, v26, -v38
	v_sub_f32_e32 v32, v32, v45
	v_fma_f32 v55, 0x3fb8aa3b, v22, -v35
	v_cvt_i32_f32_e32 v43, v43
	v_fmac_f32_e32 v44, 0x32a5705f, v19
	v_ldexp_f32 v27, v27, v41
	v_cmp_ngt_f32_e32 vcc_lo, 0xc2ce8ed0, v17
	v_fmac_f32_e32 v55, 0x32a5705f, v22
	v_rndne_f32_e32 v59, v35
	v_rndne_f32_e32 v61, v36
	v_fmac_f32_e32 v46, 0x32a5705f, v20
	v_dual_fmac_f32 v64, 0x32a5705f, v26 :: v_dual_cndmask_b32 v27, 0, v27
	v_ldexp_f32 v31, v31, v43
	v_cmp_ngt_f32_e32 vcc_lo, 0xc2ce8ed0, v18
	v_dual_add_f32 v32, v32, v44 :: v_dual_sub_f32 v35, v35, v59
	v_dual_sub_f32 v36, v36, v61 :: v_dual_add_f32 v33, v33, v46
	s_delay_alu instid0(VALU_DEP_4) | instskip(NEXT) | instid1(VALU_DEP_3)
	v_cndmask_b32_e32 v31, 0, v31, vcc_lo
	v_exp_f32_e32 v32, v32
	v_cvt_i32_f32_e32 v45, v45
	v_rndne_f32_e32 v63, v37
	v_exp_f32_e32 v33, v33
	v_cvt_i32_f32_e32 v47, v47
	v_fmac_f32_e32 v48, 0x32a5705f, v21
	v_cmp_ngt_f32_e32 vcc_lo, 0xc2ce8ed0, v19
	v_fma_f32 v62, 0x3fb8aa3b, v24, -v37
	v_sub_f32_e32 v37, v37, v63
	v_add_f32_e32 v35, v35, v55
	v_ldexp_f32 v32, v32, v45
	v_cvt_i32_f32_e32 v49, v49
	v_fmac_f32_e32 v62, 0x32a5705f, v24
	v_ldexp_f32 v33, v33, v47
	v_exp_f32_e32 v35, v35
	v_cndmask_b32_e32 v32, 0, v32, vcc_lo
	v_cmp_ngt_f32_e32 vcc_lo, 0xc2ce8ed0, v20
	v_add_f32_e32 v34, v34, v48
	v_cvt_i32_f32_e32 v59, v59
	v_rndne_f32_e32 v65, v38
	v_add_f32_e32 v37, v37, v62
	v_cndmask_b32_e32 v33, 0, v33, vcc_lo
	v_exp_f32_e32 v34, v34
	v_cmp_ngt_f32_e32 vcc_lo, 0xc2ce8ed0, v21
	v_ldexp_f32 v35, v35, v59
	v_sub_f32_e32 v38, v38, v65
	v_cvt_i32_f32_e32 v61, v61
	v_exp_f32_e32 v37, v37
	v_cvt_i32_f32_e32 v63, v63
	v_cvt_i32_f32_e32 v40, v65
	v_cmp_eq_u32_e64 s0, 0, v16
	s_delay_alu instid0(TRANS32_DEP_2) | instskip(NEXT) | instid1(VALU_DEP_1)
	v_ldexp_f32 v34, v34, v49
	v_cndmask_b32_e32 v34, 0, v34, vcc_lo
	v_cmp_ngt_f32_e32 vcc_lo, 0xc2ce8ed0, v22
	v_add_f32_e32 v36, v36, v60
	s_delay_alu instid0(TRANS32_DEP_1) | instskip(SKIP_1) | instid1(VALU_DEP_3)
	v_ldexp_f32 v37, v37, v63
	v_cndmask_b32_e32 v35, 0, v35, vcc_lo
	v_exp_f32_e32 v36, v36
	v_cmp_ngt_f32_e32 vcc_lo, 0xc2ce8ed0, v23
	s_waitcnt_depctr 0xfff
	v_ldexp_f32 v36, v36, v61
	s_delay_alu instid0(VALU_DEP_1) | instskip(SKIP_2) | instid1(VALU_DEP_1)
	v_cndmask_b32_e32 v36, 0, v36, vcc_lo
	v_cmp_ngt_f32_e32 vcc_lo, 0xc2ce8ed0, v24
	v_dual_add_f32 v38, v38, v64 :: v_dual_cndmask_b32 v37, 0, v37
	v_exp_f32_e32 v38, v38
	v_cmp_ngt_f32_e32 vcc_lo, 0xc2ce8ed0, v26
	s_waitcnt_depctr 0xfff
	v_ldexp_f32 v38, v38, v40
	s_delay_alu instid0(VALU_DEP_1)
	v_cndmask_b32_e32 v38, 0, v38, vcc_lo
	v_cmp_nlt_f32_e32 vcc_lo, 0x42b17218, v17
	v_cndmask_b32_e32 v17, 0x7f800000, v27, vcc_lo
	v_cmp_nlt_f32_e32 vcc_lo, 0x42b17218, v18
	;; [unrolled: 2-line block ×3, first 2 shown]
	s_delay_alu instid0(VALU_DEP_2) | instskip(SKIP_1) | instid1(VALU_DEP_2)
	v_dual_cndmask_b32 v19, 0x7f800000, v32 :: v_dual_add_f32 v32, v17, v18
	v_cmp_nlt_f32_e32 vcc_lo, 0x42b17218, v20
	v_add_f32_e32 v32, v19, v32
	v_cndmask_b32_e32 v20, 0x7f800000, v33, vcc_lo
	v_cmp_nlt_f32_e32 vcc_lo, 0x42b17218, v21
	ds_bpermute_b32 v27, v57, v17
	ds_bpermute_b32 v33, v57, v19
	v_dual_add_f32 v32, v20, v32 :: v_dual_cndmask_b32 v21, 0x7f800000, v34
	v_cmp_nlt_f32_e32 vcc_lo, 0x42b17218, v22
	v_cndmask_b32_e32 v22, 0x7f800000, v35, vcc_lo
	v_cmp_nlt_f32_e32 vcc_lo, 0x42b17218, v23
	ds_bpermute_b32 v35, v57, v21
	v_cndmask_b32_e32 v23, 0x7f800000, v36, vcc_lo
	v_cmp_nlt_f32_e32 vcc_lo, 0x42b17218, v26
	v_cndmask_b32_e32 v31, 0x7f800000, v38, vcc_lo
	v_cmp_nlt_f32_e32 vcc_lo, 0x42b17218, v24
	ds_bpermute_b32 v38, v57, v23
	v_cndmask_b32_e32 v24, 0x7f800000, v37, vcc_lo
	v_cmp_le_f32_e32 vcc_lo, 0xc1a00000, v26
	ds_bpermute_b32 v37, v57, v22
	v_cndmask_b32_e32 v26, 0, v31, vcc_lo
	ds_bpermute_b32 v31, v57, v18
	v_cmp_eq_u32_e32 vcc_lo, 1, v16
	s_waitcnt lgkmcnt(5)
	v_cndmask_b32_e64 v16, v17, v27, s0
	v_cvt_f16_f32_e32 v36, v26
	v_cndmask_b32_e32 v41, v17, v27, vcc_lo
	s_delay_alu instid0(VALU_DEP_2) | instskip(SKIP_1) | instid1(VALU_DEP_3)
	v_pk_mul_f16 v8, v36, v8 op_sel_hi:[0,1]
	v_pk_mul_f16 v9, v36, v9 op_sel_hi:[0,1]
	v_cndmask_b32_e64 v17, v41, v18, s1
	v_cndmask_b32_e64 v18, v16, v18, s2
	v_cvt_f16_f32_e32 v16, v16
	v_pk_mul_f16 v10, v36, v10 op_sel_hi:[0,1]
	v_pk_mul_f16 v11, v36, v11 op_sel_hi:[0,1]
	;; [unrolled: 1-line block ×6, first 2 shown]
	s_waitcnt lgkmcnt(0)
	v_cndmask_b32_e32 v17, v17, v31, vcc_lo
	v_cndmask_b32_e64 v18, v18, v31, s0
	v_add_f32_e32 v31, v21, v32
	v_pk_mul_f16 v0, v36, v0 op_sel_hi:[0,1]
	v_pk_mul_f16 v1, v36, v1 op_sel_hi:[0,1]
	v_cndmask_b32_e64 v27, v17, v19, s1
	v_cndmask_b32_e64 v19, v18, v19, s2
	v_add_f32_e32 v31, v22, v31
	ds_bpermute_b32 v34, v57, v20
	v_cvt_f16_f32_e32 v18, v18
	v_cndmask_b32_e32 v27, v27, v33, vcc_lo
	v_cndmask_b32_e64 v19, v19, v33, s0
	v_add_f32_e32 v31, v23, v31
	ds_bpermute_b32 v40, v57, v24
	v_cvt_f16_f32_e32 v17, v17
	v_cndmask_b32_e64 v32, v27, v20, s1
	v_cndmask_b32_e64 v20, v19, v20, s2
	v_add_f32_e32 v59, v24, v31
	v_cvt_f16_f32_e32 v19, v19
	v_cvt_f16_f32_e32 v27, v27
	v_pack_b32_f16 v17, v18, v17
	v_cvt_f16_f32_e32 v33, v41
	v_fmac_f32_e32 v59, v50, v26
	v_pk_mul_f16 v2, v36, v2 op_sel_hi:[0,1]
	v_pack_b32_f16 v18, v19, v27
	v_pk_mul_f16 v3, v36, v3 op_sel_hi:[0,1]
	v_pk_mul_f16 v4, v36, v4 op_sel_hi:[0,1]
	;; [unrolled: 1-line block ×3, first 2 shown]
	s_waitcnt lgkmcnt(1)
	v_cndmask_b32_e32 v32, v32, v34, vcc_lo
	v_cndmask_b32_e64 v20, v20, v34, s0
	v_pk_mul_f16 v6, v36, v6 op_sel_hi:[0,1]
	v_pk_mul_f16 v7, v36, v7 op_sel_hi:[0,1]
	v_pack_b32_f16 v16, v16, v33
	v_cndmask_b32_e64 v31, v32, v21, s1
	v_cndmask_b32_e64 v21, v20, v21, s2
	v_cvt_f16_f32_e32 v19, v20
	v_cvt_f16_f32_e32 v20, v32
	ds_bpermute_b32 v60, v57, v59
	v_cndmask_b32_e32 v26, v31, v35, vcc_lo
	v_cndmask_b32_e64 v21, v21, v35, s0
	v_pack_b32_f16 v19, v19, v20
	s_delay_alu instid0(VALU_DEP_3) | instskip(NEXT) | instid1(VALU_DEP_3)
	v_cndmask_b32_e64 v31, v26, v22, s1
	v_cndmask_b32_e64 v22, v21, v22, s2
	v_cvt_f16_f32_e32 v21, v21
	v_cvt_f16_f32_e32 v26, v26
	s_delay_alu instid0(VALU_DEP_4) | instskip(NEXT) | instid1(VALU_DEP_4)
	v_cndmask_b32_e32 v31, v31, v37, vcc_lo
	v_cndmask_b32_e64 v22, v22, v37, s0
	s_delay_alu instid0(VALU_DEP_3) | instskip(NEXT) | instid1(VALU_DEP_3)
	v_pack_b32_f16 v20, v21, v26
	v_cndmask_b32_e64 v27, v31, v23, s1
	s_delay_alu instid0(VALU_DEP_3) | instskip(SKIP_2) | instid1(VALU_DEP_4)
	v_cndmask_b32_e64 v23, v22, v23, s2
	v_cvt_f16_f32_e32 v22, v22
	v_cvt_f16_f32_e32 v31, v31
	v_cndmask_b32_e32 v27, v27, v38, vcc_lo
	s_delay_alu instid0(VALU_DEP_4) | instskip(NEXT) | instid1(VALU_DEP_3)
	v_cndmask_b32_e64 v23, v23, v38, s0
	v_pack_b32_f16 v21, v22, v31
	ds_load_2addr_b32 v[31:32], v29 offset1:16
	ds_load_2addr_b32 v[33:34], v29 offset0:36 offset1:52
	ds_load_2addr_b32 v[35:36], v29 offset0:72 offset1:88
	;; [unrolled: 1-line block ×3, first 2 shown]
	v_cndmask_b32_e64 v26, v27, v24, s1
	v_cndmask_b32_e64 v24, v23, v24, s2
	v_cvt_f16_f32_e32 v22, v23
	v_cvt_f16_f32_e32 v23, v27
	s_waitcnt lgkmcnt(5)
	v_cndmask_b32_e32 v41, v26, v40, vcc_lo
	ds_load_2addr_b32 v[26:27], v29 offset0:144 offset1:180
	ds_load_2addr_b32 v[51:52], v29 offset0:196 offset1:216
	;; [unrolled: 1-line block ×11, first 2 shown]
	ds_load_b32 v39, v28 offset:1792
	ds_load_b32 v77, v29 offset:2224
	v_cndmask_b32_e64 v24, v24, v40, s0
	v_cvt_f16_f32_e32 v40, v41
	v_pack_b32_f16 v22, v22, v23
	v_cmp_gt_u32_e64 s0, 16, v56
	s_waitcnt lgkmcnt(0)
	v_cvt_f16_f32_e32 v24, v24
	s_barrier
	buffer_gl0_inv
	v_pack_b32_f16 v23, v24, v40
	v_perm_b32 v40, v33, v31, 0x5040100
	v_perm_b32 v24, v33, v31, 0x7060302
	;; [unrolled: 1-line block ×32, first 2 shown]
	s_and_saveexec_b32 s1, s0
	s_cbranch_execz .LBB0_268
; %bb.267:
	v_or_b32_e32 v61, v96, v56
	v_add_f32_e32 v59, v59, v60
	s_delay_alu instid0(VALU_DEP_2)
	v_mad_u32_u24 v61, 0x90, v61, 0
	ds_store_2addr_b32 v61, v58, v59 offset0:32 offset1:33
.LBB0_268:
	s_or_b32 exec_lo, exec_lo, s1
	v_wmma_f16_16x16x16_f16 v[8:15], v[40:47], v[16:23], v[8:15]
	v_wmma_f16_16x16x16_f16 v[0:7], v[48:55], v[16:23], v[0:7]
	v_cmp_eq_u32_e32 vcc_lo, 0, v98
	v_cmp_ne_u32_e64 s1, 0, v98
	s_waitcnt lgkmcnt(0)
	s_barrier
	buffer_gl0_inv
	s_and_saveexec_b32 s2, s1
	s_delay_alu instid0(SALU_CYCLE_1)
	s_xor_b32 s1, exec_lo, s2
	s_cbranch_execz .LBB0_270
; %bb.269:
	s_barrier
	buffer_gl0_inv
                                        ; implicit-def: $vgpr57
                                        ; implicit-def: $vgpr97
.LBB0_270:
	s_or_saveexec_b32 s2, s1
	v_wmma_f16_16x16x16_f16 v[8:15], v[24:31], v[16:23], v[8:15] op_sel:[0,0,1]
	v_wmma_f16_16x16x16_f16 v[0:7], v[32:39], v[16:23], v[0:7] op_sel:[0,0,1]
	s_xor_b32 exec_lo, exec_lo, s2
	s_cbranch_execz .LBB0_274
; %bb.271:
	v_add_nc_u32_e32 v16, v96, v56
	s_delay_alu instid0(VALU_DEP_1) | instskip(NEXT) | instid1(VALU_DEP_1)
	v_mad_u32_u24 v16, 0x90, v16, 0
	v_add_nc_u32_e32 v21, 0x80, v16
	ds_load_2addr_stride64_b64 v[17:20], v21 offset1:9
	s_waitcnt lgkmcnt(0)
	s_barrier
	buffer_gl0_inv
	v_max_f32_e32 v16, v19, v19
	v_max_f32_e32 v22, v17, v17
	s_delay_alu instid0(VALU_DEP_1) | instskip(SKIP_3) | instid1(VALU_DEP_1)
	v_max_f32_e32 v16, v22, v16
	ds_bpermute_b32 v22, v57, v16
	s_waitcnt lgkmcnt(0)
	v_max_f32_e32 v22, v22, v22
	v_max_f32_e32 v16, v16, v22
	s_delay_alu instid0(VALU_DEP_1) | instskip(SKIP_1) | instid1(VALU_DEP_2)
	v_sub_f32_e32 v17, v17, v16
	v_sub_f32_e32 v19, v19, v16
	v_mul_f32_e32 v23, 0x3fb8aa3b, v17
	s_delay_alu instid0(VALU_DEP_2) | instskip(NEXT) | instid1(VALU_DEP_2)
	v_cmp_ngt_f32_e64 s1, 0xc2ce8ed0, v19
	v_fma_f32 v26, 0x3fb8aa3b, v17, -v23
	v_rndne_f32_e32 v27, v23
	s_delay_alu instid0(VALU_DEP_1) | instskip(NEXT) | instid1(VALU_DEP_1)
	v_dual_fmac_f32 v26, 0x32a5705f, v17 :: v_dual_sub_f32 v23, v23, v27
	v_dual_mul_f32 v22, 0x3fb8aa3b, v19 :: v_dual_add_f32 v23, v23, v26
	s_delay_alu instid0(VALU_DEP_1) | instskip(SKIP_1) | instid1(VALU_DEP_3)
	v_fma_f32 v24, 0x3fb8aa3b, v19, -v22
	v_rndne_f32_e32 v25, v22
	v_exp_f32_e32 v23, v23
	s_delay_alu instid0(VALU_DEP_2) | instskip(NEXT) | instid1(VALU_DEP_2)
	v_fmac_f32_e32 v24, 0x32a5705f, v19
	v_sub_f32_e32 v22, v22, v25
	s_delay_alu instid0(VALU_DEP_1) | instskip(SKIP_2) | instid1(VALU_DEP_3)
	v_add_f32_e32 v22, v22, v24
	v_cvt_i32_f32_e32 v24, v25
	v_cvt_i32_f32_e32 v25, v27
	v_exp_f32_e32 v22, v22
	s_delay_alu instid0(TRANS32_DEP_2) | instid1(VALU_DEP_1)
	v_ldexp_f32 v23, v23, v25
	s_waitcnt_depctr 0xfff
	v_ldexp_f32 v22, v22, v24
	s_delay_alu instid0(VALU_DEP_1) | instskip(SKIP_1) | instid1(VALU_DEP_1)
	v_cndmask_b32_e64 v22, 0, v22, s1
	v_cmp_ngt_f32_e64 s1, 0xc2ce8ed0, v17
	v_cndmask_b32_e64 v23, 0, v23, s1
	v_cmp_nlt_f32_e64 s1, 0x42b17218, v19
	s_delay_alu instid0(VALU_DEP_1) | instskip(SKIP_1) | instid1(VALU_DEP_2)
	v_cndmask_b32_e64 v19, 0x7f800000, v22, s1
	v_cmp_nlt_f32_e64 s1, 0x42b17218, v17
	v_mul_f32_e32 v20, v20, v19
	s_delay_alu instid0(VALU_DEP_2) | instskip(SKIP_1) | instid1(VALU_DEP_1)
	v_cndmask_b32_e64 v17, 0x7f800000, v23, s1
	s_mov_b32 s1, 0
	v_fmac_f32_e32 v20, v18, v17
	ds_bpermute_b32 v18, v57, v20
	s_waitcnt lgkmcnt(0)
	v_add_f32_e32 v18, v20, v18
	s_delay_alu instid0(VALU_DEP_1)
	v_mov_b32_e32 v20, v18
	ds_store_2addr_stride64_b64 v21, v[17:18], v[19:20] offset1:9
	s_and_saveexec_b32 s3, s0
	s_cbranch_execz .LBB0_273
; %bb.272:
	v_or_b32_e32 v17, v97, v56
	s_add_i32 s0, s14, s15
	s_delay_alu instid0(SALU_CYCLE_1) | instskip(NEXT) | instid1(SALU_CYCLE_1)
	s_lshl_b32 s0, s0, 4
	s_lshl_b64 s[0:1], s[0:1], 3
	s_delay_alu instid0(VALU_DEP_1)
	v_lshlrev_b32_e32 v19, 3, v17
	v_mov_b32_e32 v17, v18
	s_add_u32 s0, s30, s0
	s_addc_u32 s1, s31, s1
	global_store_b64 v19, v[16:17], s[0:1]
.LBB0_273:
	s_or_b32 exec_lo, exec_lo, s3
.LBB0_274:
	s_delay_alu instid0(SALU_CYCLE_1) | instskip(SKIP_2) | instid1(VALU_DEP_1)
	s_or_b32 exec_lo, exec_lo, s2
	v_or_b32_e32 v16, v96, v73
	s_mov_b32 s1, 0
	v_mad_u32_u24 v16, v16, 36, v74
	s_delay_alu instid0(VALU_DEP_1)
	v_lshl_add_u32 v16, v16, 2, 0
	ds_store_2addr_b32 v16, v8, v9 offset1:2
	ds_store_2addr_b32 v16, v10, v11 offset0:4 offset1:6
	ds_store_2addr_b32 v16, v12, v13 offset0:8 offset1:10
	;; [unrolled: 1-line block ×7, first 2 shown]
	s_waitcnt lgkmcnt(0)
	s_waitcnt_vscnt null, 0x0
	s_barrier
	buffer_gl0_inv
	s_and_saveexec_b32 s2, vcc_lo
	s_cbranch_execz .LBB0_276
; %bb.275:
	v_bfe_u32 v1, v95, 2, 4
	v_lshrrev_b32_e32 v0, 2, v95
	v_lshlrev_b32_e32 v6, 3, v95
	s_lshl_b32 s0, s14, 5
	s_delay_alu instid0(SALU_CYCLE_1)
	s_lshl_b64 s[4:5], s[0:1], 3
	v_and_or_b32 v2, 0x3c0, v95, v1
	v_add_nc_u32_e32 v18, 1, v0
	v_lshlrev_b32_e32 v1, 2, v56
	v_add_nc_u32_e32 v19, 2, v0
	v_add_lshl_u32 v20, v6, v56, 3
	v_mad_u32_u24 v2, 0x90, v2, 0
	v_lshlrev_b32_e32 v3, 2, v18
	v_and_b32_e32 v4, 15, v18
	v_lshlrev_b32_e32 v14, 2, v19
	v_and_b32_e32 v17, 15, v19
	v_add_nc_u32_e32 v7, 0x80, v2
	v_add_nc_u32_e32 v8, v2, v1
	v_and_or_b32 v9, 0x7c0, v3, v4
	v_add_nc_u32_e32 v22, 3, v0
	ds_load_2addr_stride64_b32 v[2:3], v7 offset1:9
	ds_load_2addr_stride64_b32 v[4:5], v8 offset1:9
	v_and_or_b32 v14, 0x7c0, v14, v17
	v_mad_u32_u24 v9, 0x90, v9, 0
	s_add_u32 s3, s30, s4
	s_addc_u32 s4, s31, s5
	s_lshl_b32 s0, s15, 9
	v_mad_u32_u24 v21, 0x90, v14, 0
	v_add_nc_u32_e32 v15, 0x80, v9
	v_add_nc_u32_e32 v16, v9, v1
	ds_load_2addr_stride64_b32 v[6:7], v7 offset0:18 offset1:27
	ds_load_2addr_stride64_b32 v[8:9], v8 offset0:18 offset1:27
	ds_load_2addr_stride64_b32 v[10:11], v15 offset1:9
	ds_load_2addr_stride64_b32 v[12:13], v16 offset1:9
	v_add_nc_u32_e32 v26, 0x80, v21
	ds_load_2addr_stride64_b32 v[14:15], v15 offset0:18 offset1:27
	ds_load_2addr_stride64_b32 v[16:17], v16 offset0:18 offset1:27
	v_add_nc_u32_e32 v21, v21, v1
	s_lshl_b64 s[0:1], s[0:1], 3
	v_add_nc_u32_e32 v23, 4, v0
	v_lshlrev_b32_e32 v25, 2, v22
	s_add_u32 s0, s3, s0
	s_addc_u32 s1, s4, s1
	s_waitcnt lgkmcnt(6)
	v_fma_mix_f32 v24, v2, v4, 0 op_sel_hi:[0,1,0]
	v_fma_mix_f32 v2, v2, v4, 0 op_sel:[0,1,0] op_sel_hi:[0,1,0]
	v_add_nc_u32_e32 v32, 6, v0
	s_delay_alu instid0(VALU_DEP_3) | instskip(NEXT) | instid1(VALU_DEP_3)
	v_fma_mix_f32 v4, v3, v5, v24 op_sel_hi:[0,1,0]
	v_fma_mix_f32 v5, v3, v5, v2 op_sel:[0,1,0] op_sel_hi:[0,1,0]
	ds_load_2addr_stride64_b32 v[2:3], v26 offset1:9
	v_and_b32_e32 v24, 15, v22
	v_lshlrev_b32_e32 v22, 5, v22
	s_waitcnt lgkmcnt(5)
	v_fma_mix_f32 v27, v6, v8, v4 op_sel_hi:[0,1,0]
	v_fma_mix_f32 v8, v6, v8, v5 op_sel:[0,1,0] op_sel_hi:[0,1,0]
	s_waitcnt lgkmcnt(3)
	v_fma_mix_f32 v28, v10, v12, 0 op_sel_hi:[0,1,0]
	v_fma_mix_f32 v10, v10, v12, 0 op_sel:[0,1,0] op_sel_hi:[0,1,0]
	ds_load_2addr_stride64_b32 v[4:5], v21 offset1:9
	v_fma_mix_f32 v6, v7, v9, v27 op_sel_hi:[0,1,0]
	v_fma_mix_f32 v7, v7, v9, v8 op_sel:[0,1,0] op_sel_hi:[0,1,0]
	v_fma_mix_f32 v8, v11, v13, v28 op_sel_hi:[0,1,0]
	v_fma_mix_f32 v9, v11, v13, v10 op_sel:[0,1,0] op_sel_hi:[0,1,0]
	v_and_or_b32 v10, 0x7c0, v25, v24
	v_lshlrev_b32_e32 v13, 2, v23
	global_store_b64 v20, v[6:7], s[0:1]
	s_waitcnt lgkmcnt(2)
	v_fma_mix_f32 v11, v14, v16, v8 op_sel_hi:[0,1,0]
	v_fma_mix_f32 v12, v14, v16, v9 op_sel:[0,1,0] op_sel_hi:[0,1,0]
	ds_load_2addr_stride64_b32 v[6:7], v26 offset0:18 offset1:27
	ds_load_2addr_stride64_b32 v[8:9], v21 offset0:18 offset1:27
	v_and_b32_e32 v14, 15, v23
	v_mad_u32_u24 v16, 0x90, v10, 0
	v_fma_mix_f32 v10, v15, v17, v11 op_sel_hi:[0,1,0]
	v_fma_mix_f32 v11, v15, v17, v12 op_sel:[0,1,0] op_sel_hi:[0,1,0]
	v_lshlrev_b32_e32 v20, 5, v18
	v_and_or_b32 v12, 0x7c0, v13, v14
	v_add_nc_u32_e32 v17, 0x80, v16
	v_add_nc_u32_e32 v18, v16, v1
	v_lshlrev_b32_e32 v21, 5, v19
	s_waitcnt lgkmcnt(2)
	v_fma_mix_f32 v16, v2, v4, 0 op_sel_hi:[0,1,0]
	v_mad_u32_u24 v19, 0x90, v12, 0
	ds_load_2addr_stride64_b32 v[12:13], v17 offset1:9
	ds_load_2addr_stride64_b32 v[14:15], v18 offset1:9
	v_fma_mix_f32 v2, v2, v4, 0 op_sel:[0,1,0] op_sel_hi:[0,1,0]
	v_add_nc_u32_e32 v26, 5, v0
	v_fma_mix_f32 v4, v3, v5, v16 op_sel_hi:[0,1,0]
	v_add_nc_u32_e32 v24, 0x80, v19
	v_add_nc_u32_e32 v25, v19, v1
	v_fma_mix_f32 v16, v3, v5, v2 op_sel:[0,1,0] op_sel_hi:[0,1,0]
	v_lshlrev_b32_e32 v28, 2, v26
	s_waitcnt lgkmcnt(2)
	v_fma_mix_f32 v27, v6, v8, v4 op_sel_hi:[0,1,0]
	ds_load_2addr_stride64_b32 v[2:3], v24 offset1:9
	ds_load_2addr_stride64_b32 v[4:5], v25 offset1:9
	v_and_b32_e32 v29, 15, v26
	v_fma_mix_f32 v8, v6, v8, v16 op_sel:[0,1,0] op_sel_hi:[0,1,0]
	ds_load_2addr_stride64_b32 v[16:17], v17 offset0:18 offset1:27
	ds_load_2addr_stride64_b32 v[18:19], v18 offset0:18 offset1:27
	v_add_lshl_u32 v30, v20, v56, 3
	v_fma_mix_f32 v6, v7, v9, v27 op_sel_hi:[0,1,0]
	v_and_or_b32 v20, 0x7c0, v28, v29
	v_fma_mix_f32 v7, v7, v9, v8 op_sel:[0,1,0] op_sel_hi:[0,1,0]
	v_add_lshl_u32 v27, v21, v56, 3
	v_add_lshl_u32 v22, v22, v56, 3
	s_delay_alu instid0(VALU_DEP_4)
	v_mad_u32_u24 v29, 0x90, v20, 0
	ds_load_2addr_stride64_b32 v[8:9], v24 offset0:18 offset1:27
	ds_load_2addr_stride64_b32 v[20:21], v25 offset0:18 offset1:27
	s_waitcnt lgkmcnt(6)
	v_fma_mix_f32 v28, v12, v14, 0 op_sel_hi:[0,1,0]
	v_fma_mix_f32 v12, v12, v14, 0 op_sel:[0,1,0] op_sel_hi:[0,1,0]
	v_add_nc_u32_e32 v24, 0x80, v29
	v_add_nc_u32_e32 v25, v29, v1
	s_delay_alu instid0(VALU_DEP_4) | instskip(NEXT) | instid1(VALU_DEP_4)
	v_fma_mix_f32 v28, v13, v15, v28 op_sel_hi:[0,1,0]
	v_fma_mix_f32 v29, v13, v15, v12 op_sel:[0,1,0] op_sel_hi:[0,1,0]
	s_waitcnt lgkmcnt(4)
	v_fma_mix_f32 v31, v2, v4, 0 op_sel_hi:[0,1,0]
	v_fma_mix_f32 v2, v2, v4, 0 op_sel:[0,1,0] op_sel_hi:[0,1,0]
	ds_load_2addr_stride64_b32 v[12:13], v24 offset1:9
	ds_load_2addr_stride64_b32 v[14:15], v25 offset1:9
	s_waitcnt lgkmcnt(4)
	v_fma_mix_f32 v28, v16, v18, v28 op_sel_hi:[0,1,0]
	v_fma_mix_f32 v4, v16, v18, v29 op_sel:[0,1,0] op_sel_hi:[0,1,0]
	v_fma_mix_f32 v16, v3, v5, v31 op_sel_hi:[0,1,0]
	v_lshlrev_b32_e32 v18, 2, v32
	v_and_b32_e32 v29, 15, v32
	v_fma_mix_f32 v5, v3, v5, v2 op_sel:[0,1,0] op_sel_hi:[0,1,0]
	v_fma_mix_f32 v3, v17, v19, v4 op_sel:[0,1,0] op_sel_hi:[0,1,0]
	v_fma_mix_f32 v2, v17, v19, v28 op_sel_hi:[0,1,0]
	s_waitcnt lgkmcnt(2)
	v_fma_mix_f32 v4, v8, v20, v16 op_sel_hi:[0,1,0]
	v_and_or_b32 v16, 0x7c0, v18, v29
	v_fma_mix_f32 v5, v8, v20, v5 op_sel:[0,1,0] op_sel_hi:[0,1,0]
	v_lshlrev_b32_e32 v8, 5, v23
	v_add_nc_u32_e32 v23, 7, v0
	v_fma_mix_f32 v4, v9, v21, v4 op_sel_hi:[0,1,0]
	v_mad_u32_u24 v16, 0x90, v16, 0
	v_fma_mix_f32 v5, v9, v21, v5 op_sel:[0,1,0] op_sel_hi:[0,1,0]
	v_add_lshl_u32 v28, v8, v56, 3
	v_lshlrev_b32_e32 v34, 2, v23
	v_and_b32_e32 v35, 15, v23
	v_add_nc_u32_e32 v31, 0x80, v16
	v_add_nc_u32_e32 v33, v16, v1
	ds_load_2addr_stride64_b32 v[8:9], v24 offset0:18 offset1:27
	ds_load_2addr_stride64_b32 v[16:17], v25 offset0:18 offset1:27
	ds_load_2addr_stride64_b32 v[18:19], v31 offset1:9
	ds_load_2addr_stride64_b32 v[20:21], v33 offset1:9
	v_and_or_b32 v24, 0x7c0, v34, v35
	s_waitcnt lgkmcnt(4)
	v_fma_mix_f32 v29, v12, v14, 0 op_sel_hi:[0,1,0]
	s_clause 0x3
	global_store_b64 v30, v[10:11], s[0:1]
	global_store_b64 v27, v[6:7], s[0:1]
	;; [unrolled: 1-line block ×4, first 2 shown]
	v_lshlrev_b32_e32 v22, 5, v26
	v_fma_mix_f32 v6, v12, v14, 0 op_sel:[0,1,0] op_sel_hi:[0,1,0]
	v_mad_u32_u24 v7, 0x90, v24, 0
	v_add_nc_u32_e32 v24, 8, v0
	v_fma_mix_f32 v10, v13, v15, v29 op_sel_hi:[0,1,0]
	ds_load_2addr_stride64_b32 v[2:3], v31 offset0:18 offset1:27
	ds_load_2addr_stride64_b32 v[4:5], v33 offset0:18 offset1:27
	v_fma_mix_f32 v13, v13, v15, v6 op_sel:[0,1,0] op_sel_hi:[0,1,0]
	v_add_nc_u32_e32 v12, 0x80, v7
	v_lshlrev_b32_e32 v25, 2, v24
	v_and_b32_e32 v26, 15, v24
	v_add_nc_u32_e32 v14, v7, v1
	v_lshlrev_b32_e32 v24, 5, v24
	v_add_lshl_u32 v22, v22, v56, 3
	v_add_nc_u32_e32 v31, 13, v0
	s_waitcnt lgkmcnt(4)
	v_fma_mix_f32 v15, v8, v16, v10 op_sel_hi:[0,1,0]
	ds_load_2addr_stride64_b32 v[6:7], v12 offset1:9
	ds_load_2addr_stride64_b32 v[10:11], v14 offset1:9
	v_and_or_b32 v25, 0x7c0, v25, v26
	s_waitcnt lgkmcnt(4)
	v_fma_mix_f32 v26, v18, v20, 0 op_sel_hi:[0,1,0]
	v_fma_mix_f32 v18, v18, v20, 0 op_sel:[0,1,0] op_sel_hi:[0,1,0]
	v_fma_mix_f32 v16, v8, v16, v13 op_sel:[0,1,0] op_sel_hi:[0,1,0]
	v_fma_mix_f32 v8, v9, v17, v15 op_sel_hi:[0,1,0]
	v_mad_u32_u24 v20, 0x90, v25, 0
	v_fma_mix_f32 v25, v19, v21, v26 op_sel_hi:[0,1,0]
	v_fma_mix_f32 v18, v19, v21, v18 op_sel:[0,1,0] op_sel_hi:[0,1,0]
	ds_load_2addr_stride64_b32 v[12:13], v12 offset0:18 offset1:27
	ds_load_2addr_stride64_b32 v[14:15], v14 offset0:18 offset1:27
	v_fma_mix_f32 v9, v9, v17, v16 op_sel:[0,1,0] op_sel_hi:[0,1,0]
	v_add_nc_u32_e32 v21, 0x80, v20
	v_add_nc_u32_e32 v20, v20, v1
	s_waitcnt lgkmcnt(4)
	v_fma_mix_f32 v25, v2, v4, v25 op_sel_hi:[0,1,0]
	v_fma_mix_f32 v4, v2, v4, v18 op_sel:[0,1,0] op_sel_hi:[0,1,0]
	ds_load_2addr_stride64_b32 v[16:17], v21 offset1:9
	ds_load_2addr_stride64_b32 v[18:19], v20 offset1:9
	v_lshlrev_b32_e32 v26, 5, v32
	v_fma_mix_f32 v2, v3, v5, v25 op_sel_hi:[0,1,0]
	v_add_nc_u32_e32 v25, 9, v0
	s_waitcnt lgkmcnt(4)
	v_fma_mix_f32 v27, v6, v10, 0 op_sel_hi:[0,1,0]
	v_fma_mix_f32 v3, v3, v5, v4 op_sel:[0,1,0] op_sel_hi:[0,1,0]
	v_fma_mix_f32 v6, v6, v10, 0 op_sel:[0,1,0] op_sel_hi:[0,1,0]
	ds_load_2addr_stride64_b32 v[4:5], v21 offset0:18 offset1:27
	ds_load_2addr_stride64_b32 v[20:21], v20 offset0:18 offset1:27
	v_and_b32_e32 v28, 15, v25
	v_fma_mix_f32 v10, v7, v11, v27 op_sel_hi:[0,1,0]
	v_lshlrev_b32_e32 v27, 2, v25
	v_fma_mix_f32 v6, v7, v11, v6 op_sel:[0,1,0] op_sel_hi:[0,1,0]
	v_add_lshl_u32 v26, v26, v56, 3
	v_add_lshl_u32 v24, v24, v56, 3
	s_waitcnt lgkmcnt(4)
	v_fma_mix_f32 v7, v12, v14, v10 op_sel_hi:[0,1,0]
	v_and_or_b32 v11, 0x7c0, v27, v28
	v_lshlrev_b32_e32 v10, 5, v23
	v_fma_mix_f32 v12, v12, v14, v6 op_sel:[0,1,0] op_sel_hi:[0,1,0]
	v_add_nc_u32_e32 v23, 10, v0
	v_fma_mix_f32 v6, v13, v15, v7 op_sel_hi:[0,1,0]
	s_waitcnt lgkmcnt(2)
	v_fma_mix_f32 v14, v16, v18, 0 op_sel_hi:[0,1,0]
	v_fma_mix_f32 v16, v16, v18, 0 op_sel:[0,1,0] op_sel_hi:[0,1,0]
	v_mad_u32_u24 v11, 0x90, v11, 0
	v_fma_mix_f32 v7, v13, v15, v12 op_sel:[0,1,0] op_sel_hi:[0,1,0]
	v_add_lshl_u32 v18, v10, v56, 3
	v_fma_mix_f32 v10, v17, v19, v14 op_sel_hi:[0,1,0]
	v_fma_mix_f32 v12, v17, v19, v16 op_sel:[0,1,0] op_sel_hi:[0,1,0]
	v_add_nc_u32_e32 v14, 0x80, v11
	v_add_nc_u32_e32 v16, v11, v1
	v_lshlrev_b32_e32 v19, 2, v23
	s_waitcnt lgkmcnt(0)
	v_fma_mix_f32 v15, v4, v20, v10 op_sel_hi:[0,1,0]
	v_fma_mix_f32 v17, v4, v20, v12 op_sel:[0,1,0] op_sel_hi:[0,1,0]
	ds_load_2addr_stride64_b32 v[10:11], v14 offset1:9
	ds_load_2addr_stride64_b32 v[12:13], v16 offset1:9
	v_and_b32_e32 v20, 15, v23
	v_add_nc_u32_e32 v27, 11, v0
	v_fma_mix_f32 v4, v5, v21, v15 op_sel_hi:[0,1,0]
	v_fma_mix_f32 v5, v5, v21, v17 op_sel:[0,1,0] op_sel_hi:[0,1,0]
	ds_load_2addr_stride64_b32 v[14:15], v14 offset0:18 offset1:27
	ds_load_2addr_stride64_b32 v[16:17], v16 offset0:18 offset1:27
	v_and_or_b32 v19, 0x7c0, v19, v20
	v_lshlrev_b32_e32 v20, 2, v27
	v_and_b32_e32 v21, 15, v27
	s_clause 0x3
	global_store_b64 v22, v[8:9], s[0:1]
	global_store_b64 v26, v[2:3], s[0:1]
	;; [unrolled: 1-line block ×4, first 2 shown]
	v_add_nc_u32_e32 v24, 12, v0
	v_mad_u32_u24 v19, 0x90, v19, 0
	v_add_nc_u32_e32 v33, 14, v0
	v_and_or_b32 v20, 0x7c0, v20, v21
	v_add_nc_u32_e32 v34, 15, v0
	v_lshlrev_b32_e32 v22, 2, v24
	v_add_nc_u32_e32 v18, 0x80, v19
	v_add_nc_u32_e32 v19, v19, v1
	v_mad_u32_u24 v6, 0x90, v20, 0
	ds_load_2addr_stride64_b32 v[2:3], v18 offset1:9
	ds_load_2addr_stride64_b32 v[4:5], v19 offset1:9
	s_waitcnt lgkmcnt(4)
	v_fma_mix_f32 v7, v10, v12, 0 op_sel_hi:[0,1,0]
	v_fma_mix_f32 v8, v10, v12, 0 op_sel:[0,1,0] op_sel_hi:[0,1,0]
	v_add_nc_u32_e32 v20, 0x80, v6
	v_add_nc_u32_e32 v21, v6, v1
	v_and_b32_e32 v26, 15, v24
	v_fma_mix_f32 v10, v11, v13, v7 op_sel_hi:[0,1,0]
	v_fma_mix_f32 v11, v11, v13, v8 op_sel:[0,1,0] op_sel_hi:[0,1,0]
	ds_load_2addr_stride64_b32 v[6:7], v20 offset1:9
	ds_load_2addr_stride64_b32 v[8:9], v21 offset1:9
	v_lshlrev_b32_e32 v38, 5, v24
	s_waitcnt lgkmcnt(4)
	v_fma_mix_f32 v28, v14, v16, v10 op_sel_hi:[0,1,0]
	v_fma_mix_f32 v16, v14, v16, v11 op_sel:[0,1,0] op_sel_hi:[0,1,0]
	ds_load_2addr_stride64_b32 v[10:11], v18 offset0:18 offset1:27
	ds_load_2addr_stride64_b32 v[12:13], v19 offset0:18 offset1:27
	v_and_or_b32 v18, 0x7c0, v22, v26
	v_lshlrev_b32_e32 v22, 5, v25
	v_fma_mix_f32 v14, v15, v17, v28 op_sel_hi:[0,1,0]
	v_fma_mix_f32 v15, v15, v17, v16 op_sel:[0,1,0] op_sel_hi:[0,1,0]
	ds_load_2addr_stride64_b32 v[16:17], v20 offset0:18 offset1:27
	v_mad_u32_u24 v20, 0x90, v18, 0
	ds_load_2addr_stride64_b32 v[18:19], v21 offset0:18 offset1:27
	s_waitcnt lgkmcnt(6)
	v_fma_mix_f32 v21, v2, v4, 0 op_sel_hi:[0,1,0]
	v_fma_mix_f32 v2, v2, v4, 0 op_sel:[0,1,0] op_sel_hi:[0,1,0]
	v_add_lshl_u32 v30, v22, v56, 3
	v_add_nc_u32_e32 v22, 0x80, v20
	v_add_nc_u32_e32 v20, v20, v1
	v_fma_mix_f32 v21, v3, v5, v21 op_sel_hi:[0,1,0]
	v_fma_mix_f32 v25, v3, v5, v2 op_sel:[0,1,0] op_sel_hi:[0,1,0]
	s_waitcnt lgkmcnt(4)
	v_fma_mix_f32 v26, v6, v8, 0 op_sel_hi:[0,1,0]
	ds_load_2addr_stride64_b32 v[2:3], v22 offset1:9
	ds_load_2addr_stride64_b32 v[4:5], v20 offset1:9
	v_fma_mix_f32 v6, v6, v8, 0 op_sel:[0,1,0] op_sel_hi:[0,1,0]
	v_lshlrev_b32_e32 v8, 5, v23
	s_waitcnt lgkmcnt(4)
	v_fma_mix_f32 v21, v10, v12, v21 op_sel_hi:[0,1,0]
	v_fma_mix_f32 v10, v10, v12, v25 op_sel:[0,1,0] op_sel_hi:[0,1,0]
	v_fma_mix_f32 v12, v7, v9, v26 op_sel_hi:[0,1,0]
	v_fma_mix_f32 v9, v7, v9, v6 op_sel:[0,1,0] op_sel_hi:[0,1,0]
	v_add_lshl_u32 v32, v8, v56, 3
	v_fma_mix_f32 v6, v11, v13, v21 op_sel_hi:[0,1,0]
	v_fma_mix_f32 v7, v11, v13, v10 op_sel:[0,1,0] op_sel_hi:[0,1,0]
	s_waitcnt lgkmcnt(2)
	v_fma_mix_f32 v10, v16, v18, v12 op_sel_hi:[0,1,0]
	v_lshlrev_b32_e32 v11, 2, v31
	v_and_b32_e32 v12, 15, v31
	v_fma_mix_f32 v9, v16, v18, v9 op_sel:[0,1,0] op_sel_hi:[0,1,0]
	v_lshlrev_b32_e32 v16, 2, v33
	v_fma_mix_f32 v8, v17, v19, v10 op_sel_hi:[0,1,0]
	v_lshlrev_b32_e32 v21, 5, v27
	v_and_or_b32 v12, 0x7c0, v11, v12
	v_fma_mix_f32 v9, v17, v19, v9 op_sel:[0,1,0] op_sel_hi:[0,1,0]
	s_waitcnt lgkmcnt(0)
	v_fma_mix_f32 v23, v2, v4, 0 op_sel_hi:[0,1,0]
	v_fma_mix_f32 v2, v2, v4, 0 op_sel:[0,1,0] op_sel_hi:[0,1,0]
	v_and_b32_e32 v17, 15, v33
	v_mad_u32_u24 v4, 0x90, v12, 0
	ds_load_2addr_stride64_b32 v[10:11], v22 offset0:18 offset1:27
	ds_load_2addr_stride64_b32 v[12:13], v20 offset0:18 offset1:27
	v_lshlrev_b32_e32 v22, 2, v34
	v_and_b32_e32 v25, 15, v34
	v_add_nc_u32_e32 v0, 0x80, v4
	v_add_nc_u32_e32 v4, v4, v1
	v_and_or_b32 v20, 0x7c0, v16, v17
	ds_load_2addr_stride64_b32 v[16:17], v0 offset1:9
	ds_load_2addr_stride64_b32 v[18:19], v4 offset1:9
	v_add_lshl_u32 v35, v21, v56, 3
	v_and_or_b32 v21, 0x7c0, v22, v25
	v_mad_u32_u24 v20, 0x90, v20, 0
	v_fma_mix_f32 v25, v3, v5, v23 op_sel_hi:[0,1,0]
	v_fma_mix_f32 v26, v3, v5, v2 op_sel:[0,1,0] op_sel_hi:[0,1,0]
	v_lshlrev_b32_e32 v31, 5, v31
	v_mad_u32_u24 v29, 0x90, v21, 0
	v_add_nc_u32_e32 v27, 0x80, v20
	v_add_nc_u32_e32 v28, v20, v1
	ds_load_2addr_stride64_b32 v[2:3], v0 offset0:18 offset1:27
	ds_load_2addr_stride64_b32 v[4:5], v4 offset0:18 offset1:27
	ds_load_2addr_stride64_b32 v[20:21], v27 offset1:9
	ds_load_2addr_stride64_b32 v[22:23], v28 offset1:9
	v_add_nc_u32_e32 v36, 0x80, v29
	v_add_nc_u32_e32 v37, v29, v1
	s_waitcnt lgkmcnt(6)
	v_fma_mix_f32 v39, v10, v12, v25 op_sel_hi:[0,1,0]
	ds_load_2addr_stride64_b32 v[0:1], v36 offset1:9
	ds_load_2addr_stride64_b32 v[24:25], v37 offset1:9
	v_fma_mix_f32 v12, v10, v12, v26 op_sel:[0,1,0] op_sel_hi:[0,1,0]
	ds_load_2addr_stride64_b32 v[26:27], v27 offset0:18 offset1:27
	ds_load_2addr_stride64_b32 v[28:29], v28 offset0:18 offset1:27
	s_waitcnt lgkmcnt(8)
	v_fma_mix_f32 v40, v16, v18, 0 op_sel_hi:[0,1,0]
	v_fma_mix_f32 v16, v16, v18, 0 op_sel:[0,1,0] op_sel_hi:[0,1,0]
	v_fma_mix_f32 v10, v11, v13, v39 op_sel_hi:[0,1,0]
	v_fma_mix_f32 v11, v11, v13, v12 op_sel:[0,1,0] op_sel_hi:[0,1,0]
	s_delay_alu instid0(VALU_DEP_4) | instskip(NEXT) | instid1(VALU_DEP_4)
	v_fma_mix_f32 v18, v17, v19, v40 op_sel_hi:[0,1,0]
	v_fma_mix_f32 v19, v17, v19, v16 op_sel:[0,1,0] op_sel_hi:[0,1,0]
	ds_load_2addr_stride64_b32 v[12:13], v36 offset0:18 offset1:27
	ds_load_2addr_stride64_b32 v[16:17], v37 offset0:18 offset1:27
	s_waitcnt lgkmcnt(8)
	v_fma_mix_f32 v18, v2, v4, v18 op_sel_hi:[0,1,0]
	v_fma_mix_f32 v4, v2, v4, v19 op_sel:[0,1,0] op_sel_hi:[0,1,0]
	s_waitcnt lgkmcnt(6)
	v_fma_mix_f32 v36, v20, v22, 0 op_sel_hi:[0,1,0]
	v_add_lshl_u32 v19, v38, v56, 3
	v_fma_mix_f32 v2, v3, v5, v18 op_sel_hi:[0,1,0]
	v_fma_mix_f32 v3, v3, v5, v4 op_sel:[0,1,0] op_sel_hi:[0,1,0]
	v_fma_mix_f32 v4, v20, v22, 0 op_sel:[0,1,0] op_sel_hi:[0,1,0]
	v_fma_mix_f32 v5, v21, v23, v36 op_sel_hi:[0,1,0]
	s_waitcnt lgkmcnt(4)
	v_fma_mix_f32 v18, v0, v24, 0 op_sel_hi:[0,1,0]
	v_fma_mix_f32 v0, v0, v24, 0 op_sel:[0,1,0] op_sel_hi:[0,1,0]
	v_add_lshl_u32 v20, v31, v56, 3
	v_fma_mix_f32 v4, v21, v23, v4 op_sel:[0,1,0] op_sel_hi:[0,1,0]
	s_waitcnt lgkmcnt(2)
	v_fma_mix_f32 v5, v26, v28, v5 op_sel_hi:[0,1,0]
	v_fma_mix_f32 v18, v1, v25, v18 op_sel_hi:[0,1,0]
	v_fma_mix_f32 v1, v1, v25, v0 op_sel:[0,1,0] op_sel_hi:[0,1,0]
	v_lshlrev_b32_e32 v21, 5, v33
	v_fma_mix_f32 v4, v26, v28, v4 op_sel:[0,1,0] op_sel_hi:[0,1,0]
	v_fma_mix_f32 v0, v27, v29, v5 op_sel_hi:[0,1,0]
	s_waitcnt lgkmcnt(0)
	v_fma_mix_f32 v5, v12, v16, v18 op_sel_hi:[0,1,0]
	v_fma_mix_f32 v12, v12, v16, v1 op_sel:[0,1,0] op_sel_hi:[0,1,0]
	v_lshlrev_b32_e32 v16, 5, v34
	v_fma_mix_f32 v1, v27, v29, v4 op_sel:[0,1,0] op_sel_hi:[0,1,0]
	v_add_lshl_u32 v18, v21, v56, 3
	v_fma_mix_f32 v4, v13, v17, v5 op_sel_hi:[0,1,0]
	v_fma_mix_f32 v5, v13, v17, v12 op_sel:[0,1,0] op_sel_hi:[0,1,0]
	v_add_lshl_u32 v12, v16, v56, 3
	s_clause 0x6
	global_store_b64 v30, v[14:15], s[0:1]
	global_store_b64 v32, v[6:7], s[0:1]
	;; [unrolled: 1-line block ×7, first 2 shown]
.LBB0_276:
	s_or_b32 exec_lo, exec_lo, s2
	s_waitcnt_vscnt null, 0x0
	s_barrier
	buffer_gl0_inv
.LBB0_277:
	s_endpgm
	.section	.rodata,"a",@progbits
	.p2align	6, 0x0
	.amdhsa_kernel _ZL18flash_attn_ext_f16ILi64ELi64ELi2ELi8ELb0ELb0EEvPKcS1_S1_S1_S1_PKiPfP15HIP_vector_typeIfLj2EEffffjfiS5_IjLj3EEiiiiiiiiiiiliiliiiiil
		.amdhsa_group_segment_fixed_size 0
		.amdhsa_private_segment_fixed_size 72
		.amdhsa_kernarg_size 464
		.amdhsa_user_sgpr_count 15
		.amdhsa_user_sgpr_dispatch_ptr 0
		.amdhsa_user_sgpr_queue_ptr 0
		.amdhsa_user_sgpr_kernarg_segment_ptr 1
		.amdhsa_user_sgpr_dispatch_id 0
		.amdhsa_user_sgpr_private_segment_size 0
		.amdhsa_wavefront_size32 1
		.amdhsa_uses_dynamic_stack 0
		.amdhsa_enable_private_segment 1
		.amdhsa_system_sgpr_workgroup_id_x 1
		.amdhsa_system_sgpr_workgroup_id_y 0
		.amdhsa_system_sgpr_workgroup_id_z 0
		.amdhsa_system_sgpr_workgroup_info 0
		.amdhsa_system_vgpr_workitem_id 1
		.amdhsa_next_free_vgpr 256
		.amdhsa_next_free_sgpr 105
		.amdhsa_reserve_vcc 1
		.amdhsa_float_round_mode_32 0
		.amdhsa_float_round_mode_16_64 0
		.amdhsa_float_denorm_mode_32 3
		.amdhsa_float_denorm_mode_16_64 3
		.amdhsa_dx10_clamp 1
		.amdhsa_ieee_mode 1
		.amdhsa_fp16_overflow 0
		.amdhsa_workgroup_processor_mode 1
		.amdhsa_memory_ordered 1
		.amdhsa_forward_progress 0
		.amdhsa_shared_vgpr_count 0
		.amdhsa_exception_fp_ieee_invalid_op 0
		.amdhsa_exception_fp_denorm_src 0
		.amdhsa_exception_fp_ieee_div_zero 0
		.amdhsa_exception_fp_ieee_overflow 0
		.amdhsa_exception_fp_ieee_underflow 0
		.amdhsa_exception_fp_ieee_inexact 0
		.amdhsa_exception_int_div_zero 0
	.end_amdhsa_kernel
	.section	.text._ZL18flash_attn_ext_f16ILi64ELi64ELi2ELi8ELb0ELb0EEvPKcS1_S1_S1_S1_PKiPfP15HIP_vector_typeIfLj2EEffffjfiS5_IjLj3EEiiiiiiiiiiiliiliiiiil,"axG",@progbits,_ZL18flash_attn_ext_f16ILi64ELi64ELi2ELi8ELb0ELb0EEvPKcS1_S1_S1_S1_PKiPfP15HIP_vector_typeIfLj2EEffffjfiS5_IjLj3EEiiiiiiiiiiiliiliiiiil,comdat
.Lfunc_end0:
	.size	_ZL18flash_attn_ext_f16ILi64ELi64ELi2ELi8ELb0ELb0EEvPKcS1_S1_S1_S1_PKiPfP15HIP_vector_typeIfLj2EEffffjfiS5_IjLj3EEiiiiiiiiiiiliiliiiiil, .Lfunc_end0-_ZL18flash_attn_ext_f16ILi64ELi64ELi2ELi8ELb0ELb0EEvPKcS1_S1_S1_S1_PKiPfP15HIP_vector_typeIfLj2EEffffjfiS5_IjLj3EEiiiiiiiiiiiliiliiiiil
                                        ; -- End function
	.section	.AMDGPU.csdata,"",@progbits
; Kernel info:
; codeLenInByte = 48088
; NumSgprs: 107
; NumVgprs: 256
; ScratchSize: 72
; MemoryBound: 0
; FloatMode: 240
; IeeeMode: 1
; LDSByteSize: 0 bytes/workgroup (compile time only)
; SGPRBlocks: 13
; VGPRBlocks: 31
; NumSGPRsForWavesPerEU: 107
; NumVGPRsForWavesPerEU: 256
; Occupancy: 5
; WaveLimiterHint : 0
; COMPUTE_PGM_RSRC2:SCRATCH_EN: 1
; COMPUTE_PGM_RSRC2:USER_SGPR: 15
; COMPUTE_PGM_RSRC2:TRAP_HANDLER: 0
; COMPUTE_PGM_RSRC2:TGID_X_EN: 1
; COMPUTE_PGM_RSRC2:TGID_Y_EN: 0
; COMPUTE_PGM_RSRC2:TGID_Z_EN: 0
; COMPUTE_PGM_RSRC2:TIDIG_COMP_CNT: 1
	.text
	.p2align	2                               ; -- Begin function __ockl_printf_append_string_n
	.type	__ockl_printf_append_string_n,@function
__ockl_printf_append_string_n:          ; @__ockl_printf_append_string_n
; %bb.0:
	s_waitcnt vmcnt(0) expcnt(0) lgkmcnt(0)
	v_dual_mov_b32 v7, v3 :: v_dual_mov_b32 v6, v2
	v_mov_b32_e32 v3, v0
	v_mbcnt_lo_u32_b32 v32, -1, 0
	s_mov_b32 s0, exec_lo
	s_delay_alu instid0(VALU_DEP_3)
	v_cmpx_ne_u64_e32 0, v[6:7]
	s_xor_b32 s10, exec_lo, s0
	s_cbranch_execz .LBB1_86
; %bb.1:
	s_load_b64 s[2:3], s[8:9], 0x50
	v_dual_mov_b32 v10, 2 :: v_dual_and_b32 v33, 2, v3
	v_dual_mov_b32 v9, 0 :: v_dual_and_b32 v0, -3, v3
	v_mov_b32_e32 v11, 1
	s_mov_b32 s12, 0
	s_mov_b32 s11, 0
	s_branch .LBB1_3
.LBB1_2:                                ;   in Loop: Header=BB1_3 Depth=1
	s_or_b32 exec_lo, exec_lo, s1
	v_sub_co_u32 v4, vcc_lo, v4, v28
	v_sub_co_ci_u32_e32 v5, vcc_lo, v5, v29, vcc_lo
	v_add_co_u32 v6, s0, v6, v28
	s_delay_alu instid0(VALU_DEP_1) | instskip(NEXT) | instid1(VALU_DEP_3)
	v_add_co_ci_u32_e64 v7, s0, v7, v29, s0
	v_cmp_eq_u64_e32 vcc_lo, 0, v[4:5]
	s_or_b32 s11, vcc_lo, s11
	s_delay_alu instid0(SALU_CYCLE_1)
	s_and_not1_b32 exec_lo, exec_lo, s11
	s_cbranch_execz .LBB1_85
.LBB1_3:                                ; =>This Loop Header: Depth=1
                                        ;     Child Loop BB1_6 Depth 2
                                        ;     Child Loop BB1_14 Depth 2
                                        ;     Child Loop BB1_22 Depth 2
                                        ;     Child Loop BB1_30 Depth 2
                                        ;     Child Loop BB1_38 Depth 2
                                        ;     Child Loop BB1_46 Depth 2
                                        ;     Child Loop BB1_54 Depth 2
                                        ;     Child Loop BB1_62 Depth 2
                                        ;     Child Loop BB1_70 Depth 2
                                        ;     Child Loop BB1_79 Depth 2
                                        ;     Child Loop BB1_84 Depth 2
	v_cmp_gt_u64_e32 vcc_lo, 56, v[4:5]
	s_mov_b32 s1, exec_lo
                                        ; implicit-def: $vgpr2_vgpr3
                                        ; implicit-def: $sgpr4
	v_dual_cndmask_b32 v29, 0, v5 :: v_dual_cndmask_b32 v28, 56, v4
	v_cmpx_gt_u64_e32 8, v[4:5]
	s_xor_b32 s1, exec_lo, s1
	s_cbranch_execz .LBB1_9
; %bb.4:                                ;   in Loop: Header=BB1_3 Depth=1
	s_waitcnt vmcnt(0)
	v_mov_b32_e32 v2, 0
	v_mov_b32_e32 v3, 0
	s_mov_b64 s[4:5], 0
	s_mov_b32 s6, exec_lo
	v_cmpx_ne_u64_e32 0, v[4:5]
	s_cbranch_execz .LBB1_8
; %bb.5:                                ;   in Loop: Header=BB1_3 Depth=1
	v_lshlrev_b64 v[12:13], 3, v[28:29]
	v_mov_b32_e32 v2, 0
	v_dual_mov_b32 v3, 0 :: v_dual_mov_b32 v14, v7
	v_mov_b32_e32 v13, v6
	s_mov_b32 s7, 0
	.p2align	6
.LBB1_6:                                ;   Parent Loop BB1_3 Depth=1
                                        ; =>  This Inner Loop Header: Depth=2
	flat_load_u8 v8, v[13:14]
	v_mov_b32_e32 v16, s12
	v_add_co_u32 v13, vcc_lo, v13, 1
	v_add_co_ci_u32_e32 v14, vcc_lo, 0, v14, vcc_lo
	s_waitcnt vmcnt(0) lgkmcnt(0)
	v_and_b32_e32 v15, 0xffff, v8
	s_delay_alu instid0(VALU_DEP_1) | instskip(SKIP_3) | instid1(VALU_DEP_2)
	v_lshlrev_b64 v[15:16], s4, v[15:16]
	s_add_u32 s4, s4, 8
	s_addc_u32 s5, s5, 0
	v_cmp_eq_u32_e64 s0, s4, v12
	v_or_b32_e32 v3, v16, v3
	s_delay_alu instid0(VALU_DEP_3) | instskip(NEXT) | instid1(VALU_DEP_3)
	v_or_b32_e32 v2, v15, v2
	s_or_b32 s7, s0, s7
	s_delay_alu instid0(SALU_CYCLE_1)
	s_and_not1_b32 exec_lo, exec_lo, s7
	s_cbranch_execnz .LBB1_6
; %bb.7:                                ;   in Loop: Header=BB1_3 Depth=1
	s_or_b32 exec_lo, exec_lo, s7
.LBB1_8:                                ;   in Loop: Header=BB1_3 Depth=1
	s_delay_alu instid0(SALU_CYCLE_1)
	s_or_b32 exec_lo, exec_lo, s6
	s_mov_b32 s4, 0
.LBB1_9:                                ;   in Loop: Header=BB1_3 Depth=1
	s_or_saveexec_b32 s0, s1
	v_dual_mov_b32 v8, s4 :: v_dual_mov_b32 v25, v7
	v_mov_b32_e32 v24, v6
	s_xor_b32 exec_lo, exec_lo, s0
	s_cbranch_execz .LBB1_11
; %bb.10:                               ;   in Loop: Header=BB1_3 Depth=1
	s_waitcnt vmcnt(0)
	flat_load_b64 v[2:3], v[6:7]
	v_add_co_u32 v24, vcc_lo, v6, 8
	v_add_co_ci_u32_e32 v25, vcc_lo, 0, v7, vcc_lo
	s_waitcnt vmcnt(0) lgkmcnt(0)
	v_and_b32_e32 v8, 0xff, v3
	v_and_b32_e32 v12, 0xff00, v3
	;; [unrolled: 1-line block ×4, first 2 shown]
	v_or3_b32 v2, v2, 0, 0
	s_delay_alu instid0(VALU_DEP_4) | instskip(SKIP_1) | instid1(VALU_DEP_2)
	v_or_b32_e32 v12, v8, v12
	v_add_nc_u32_e32 v8, -8, v28
	v_or3_b32 v3, v12, v13, v3
.LBB1_11:                               ;   in Loop: Header=BB1_3 Depth=1
	s_or_b32 exec_lo, exec_lo, s0
                                        ; implicit-def: $vgpr12_vgpr13
                                        ; implicit-def: $sgpr1
	s_delay_alu instid0(SALU_CYCLE_1) | instskip(NEXT) | instid1(VALU_DEP_2)
	s_mov_b32 s0, exec_lo
	v_cmpx_gt_u32_e32 8, v8
	s_xor_b32 s6, exec_lo, s0
	s_cbranch_execz .LBB1_17
; %bb.12:                               ;   in Loop: Header=BB1_3 Depth=1
	v_mov_b32_e32 v12, 0
	v_mov_b32_e32 v13, 0
	s_mov_b32 s7, exec_lo
	v_cmpx_ne_u32_e32 0, v8
	s_cbranch_execz .LBB1_16
; %bb.13:                               ;   in Loop: Header=BB1_3 Depth=1
	v_mov_b32_e32 v12, 0
	v_mov_b32_e32 v13, 0
	s_mov_b64 s[0:1], 0
	s_mov_b32 s13, 0
	s_mov_b64 s[4:5], 0
	.p2align	6
.LBB1_14:                               ;   Parent Loop BB1_3 Depth=1
                                        ; =>  This Inner Loop Header: Depth=2
	s_delay_alu instid0(SALU_CYCLE_1)
	v_add_co_u32 v14, vcc_lo, v24, s4
	v_add_co_ci_u32_e32 v15, vcc_lo, s5, v25, vcc_lo
	s_add_u32 s4, s4, 1
	s_addc_u32 s5, s5, 0
	v_cmp_eq_u32_e32 vcc_lo, s4, v8
	flat_load_u8 v14, v[14:15]
	s_waitcnt vmcnt(0) lgkmcnt(0)
	v_dual_mov_b32 v15, s12 :: v_dual_and_b32 v14, 0xffff, v14
	s_delay_alu instid0(VALU_DEP_1) | instskip(SKIP_3) | instid1(VALU_DEP_1)
	v_lshlrev_b64 v[14:15], s0, v[14:15]
	s_add_u32 s0, s0, 8
	s_addc_u32 s1, s1, 0
	s_or_b32 s13, vcc_lo, s13
	v_or_b32_e32 v13, v15, v13
	s_delay_alu instid0(VALU_DEP_2)
	v_or_b32_e32 v12, v14, v12
	s_and_not1_b32 exec_lo, exec_lo, s13
	s_cbranch_execnz .LBB1_14
; %bb.15:                               ;   in Loop: Header=BB1_3 Depth=1
	s_or_b32 exec_lo, exec_lo, s13
.LBB1_16:                               ;   in Loop: Header=BB1_3 Depth=1
	s_delay_alu instid0(SALU_CYCLE_1)
	s_or_b32 exec_lo, exec_lo, s7
	s_mov_b32 s1, 0
                                        ; implicit-def: $vgpr8
.LBB1_17:                               ;   in Loop: Header=BB1_3 Depth=1
	s_or_saveexec_b32 s0, s6
	v_mov_b32_e32 v16, s1
	s_xor_b32 exec_lo, exec_lo, s0
	s_cbranch_execz .LBB1_19
; %bb.18:                               ;   in Loop: Header=BB1_3 Depth=1
	flat_load_b64 v[12:13], v[24:25]
	v_add_co_u32 v24, vcc_lo, v24, 8
	v_add_nc_u32_e32 v16, -8, v8
	v_add_co_ci_u32_e32 v25, vcc_lo, 0, v25, vcc_lo
	s_waitcnt vmcnt(0) lgkmcnt(0)
	v_and_b32_e32 v14, 0xff, v13
	v_and_b32_e32 v15, 0xff00, v13
	v_and_b32_e32 v17, 0xff0000, v13
	v_and_b32_e32 v13, 0xff000000, v13
	v_or3_b32 v12, v12, 0, 0
	s_delay_alu instid0(VALU_DEP_4) | instskip(NEXT) | instid1(VALU_DEP_1)
	v_or_b32_e32 v14, v14, v15
	v_or3_b32 v13, v14, v17, v13
.LBB1_19:                               ;   in Loop: Header=BB1_3 Depth=1
	s_or_b32 exec_lo, exec_lo, s0
                                        ; implicit-def: $sgpr1
	s_delay_alu instid0(SALU_CYCLE_1)
	s_mov_b32 s0, exec_lo
	v_cmpx_gt_u32_e32 8, v16
	s_xor_b32 s6, exec_lo, s0
	s_cbranch_execz .LBB1_25
; %bb.20:                               ;   in Loop: Header=BB1_3 Depth=1
	v_mov_b32_e32 v14, 0
	v_mov_b32_e32 v15, 0
	s_mov_b32 s7, exec_lo
	v_cmpx_ne_u32_e32 0, v16
	s_cbranch_execz .LBB1_24
; %bb.21:                               ;   in Loop: Header=BB1_3 Depth=1
	v_mov_b32_e32 v14, 0
	v_mov_b32_e32 v15, 0
	s_mov_b64 s[0:1], 0
	s_mov_b32 s13, 0
	s_mov_b64 s[4:5], 0
	.p2align	6
.LBB1_22:                               ;   Parent Loop BB1_3 Depth=1
                                        ; =>  This Inner Loop Header: Depth=2
	s_delay_alu instid0(SALU_CYCLE_1)
	v_add_co_u32 v17, vcc_lo, v24, s4
	v_add_co_ci_u32_e32 v18, vcc_lo, s5, v25, vcc_lo
	s_add_u32 s4, s4, 1
	s_addc_u32 s5, s5, 0
	v_cmp_eq_u32_e32 vcc_lo, s4, v16
	flat_load_u8 v8, v[17:18]
	s_waitcnt vmcnt(0) lgkmcnt(0)
	v_dual_mov_b32 v18, s12 :: v_dual_and_b32 v17, 0xffff, v8
	s_delay_alu instid0(VALU_DEP_1) | instskip(SKIP_3) | instid1(VALU_DEP_1)
	v_lshlrev_b64 v[17:18], s0, v[17:18]
	s_add_u32 s0, s0, 8
	s_addc_u32 s1, s1, 0
	s_or_b32 s13, vcc_lo, s13
	v_or_b32_e32 v15, v18, v15
	s_delay_alu instid0(VALU_DEP_2)
	v_or_b32_e32 v14, v17, v14
	s_and_not1_b32 exec_lo, exec_lo, s13
	s_cbranch_execnz .LBB1_22
; %bb.23:                               ;   in Loop: Header=BB1_3 Depth=1
	s_or_b32 exec_lo, exec_lo, s13
.LBB1_24:                               ;   in Loop: Header=BB1_3 Depth=1
	s_delay_alu instid0(SALU_CYCLE_1)
	s_or_b32 exec_lo, exec_lo, s7
	s_mov_b32 s1, 0
                                        ; implicit-def: $vgpr16
.LBB1_25:                               ;   in Loop: Header=BB1_3 Depth=1
	s_or_saveexec_b32 s0, s6
	v_mov_b32_e32 v8, s1
	s_xor_b32 exec_lo, exec_lo, s0
	s_cbranch_execz .LBB1_27
; %bb.26:                               ;   in Loop: Header=BB1_3 Depth=1
	flat_load_b64 v[14:15], v[24:25]
	v_add_co_u32 v24, vcc_lo, v24, 8
	v_add_co_ci_u32_e32 v25, vcc_lo, 0, v25, vcc_lo
	s_waitcnt vmcnt(0) lgkmcnt(0)
	v_and_b32_e32 v8, 0xff, v15
	v_and_b32_e32 v17, 0xff00, v15
	;; [unrolled: 1-line block ×4, first 2 shown]
	v_or3_b32 v14, v14, 0, 0
	s_delay_alu instid0(VALU_DEP_4) | instskip(SKIP_1) | instid1(VALU_DEP_2)
	v_or_b32_e32 v17, v8, v17
	v_add_nc_u32_e32 v8, -8, v16
	v_or3_b32 v15, v17, v18, v15
.LBB1_27:                               ;   in Loop: Header=BB1_3 Depth=1
	s_or_b32 exec_lo, exec_lo, s0
                                        ; implicit-def: $vgpr16_vgpr17
                                        ; implicit-def: $sgpr1
	s_delay_alu instid0(SALU_CYCLE_1) | instskip(NEXT) | instid1(VALU_DEP_1)
	s_mov_b32 s0, exec_lo
	v_cmpx_gt_u32_e32 8, v8
	s_xor_b32 s6, exec_lo, s0
	s_cbranch_execz .LBB1_33
; %bb.28:                               ;   in Loop: Header=BB1_3 Depth=1
	v_mov_b32_e32 v16, 0
	v_mov_b32_e32 v17, 0
	s_mov_b32 s7, exec_lo
	v_cmpx_ne_u32_e32 0, v8
	s_cbranch_execz .LBB1_32
; %bb.29:                               ;   in Loop: Header=BB1_3 Depth=1
	v_mov_b32_e32 v16, 0
	v_mov_b32_e32 v17, 0
	s_mov_b64 s[0:1], 0
	s_mov_b32 s13, 0
	s_mov_b64 s[4:5], 0
	.p2align	6
.LBB1_30:                               ;   Parent Loop BB1_3 Depth=1
                                        ; =>  This Inner Loop Header: Depth=2
	s_delay_alu instid0(SALU_CYCLE_1)
	v_add_co_u32 v18, vcc_lo, v24, s4
	v_add_co_ci_u32_e32 v19, vcc_lo, s5, v25, vcc_lo
	s_add_u32 s4, s4, 1
	s_addc_u32 s5, s5, 0
	v_cmp_eq_u32_e32 vcc_lo, s4, v8
	flat_load_u8 v18, v[18:19]
	s_waitcnt vmcnt(0) lgkmcnt(0)
	v_dual_mov_b32 v19, s12 :: v_dual_and_b32 v18, 0xffff, v18
	s_delay_alu instid0(VALU_DEP_1) | instskip(SKIP_3) | instid1(VALU_DEP_1)
	v_lshlrev_b64 v[18:19], s0, v[18:19]
	s_add_u32 s0, s0, 8
	s_addc_u32 s1, s1, 0
	s_or_b32 s13, vcc_lo, s13
	v_or_b32_e32 v17, v19, v17
	s_delay_alu instid0(VALU_DEP_2)
	v_or_b32_e32 v16, v18, v16
	s_and_not1_b32 exec_lo, exec_lo, s13
	s_cbranch_execnz .LBB1_30
; %bb.31:                               ;   in Loop: Header=BB1_3 Depth=1
	s_or_b32 exec_lo, exec_lo, s13
.LBB1_32:                               ;   in Loop: Header=BB1_3 Depth=1
	s_delay_alu instid0(SALU_CYCLE_1)
	s_or_b32 exec_lo, exec_lo, s7
	s_mov_b32 s1, 0
                                        ; implicit-def: $vgpr8
.LBB1_33:                               ;   in Loop: Header=BB1_3 Depth=1
	s_or_saveexec_b32 s0, s6
	v_mov_b32_e32 v20, s1
	s_xor_b32 exec_lo, exec_lo, s0
	s_cbranch_execz .LBB1_35
; %bb.34:                               ;   in Loop: Header=BB1_3 Depth=1
	flat_load_b64 v[16:17], v[24:25]
	v_add_co_u32 v24, vcc_lo, v24, 8
	v_add_nc_u32_e32 v20, -8, v8
	v_add_co_ci_u32_e32 v25, vcc_lo, 0, v25, vcc_lo
	s_waitcnt vmcnt(0) lgkmcnt(0)
	v_and_b32_e32 v18, 0xff, v17
	v_and_b32_e32 v19, 0xff00, v17
	;; [unrolled: 1-line block ×4, first 2 shown]
	v_or3_b32 v16, v16, 0, 0
	s_delay_alu instid0(VALU_DEP_4) | instskip(NEXT) | instid1(VALU_DEP_1)
	v_or_b32_e32 v18, v18, v19
	v_or3_b32 v17, v18, v21, v17
.LBB1_35:                               ;   in Loop: Header=BB1_3 Depth=1
	s_or_b32 exec_lo, exec_lo, s0
                                        ; implicit-def: $sgpr1
	s_delay_alu instid0(SALU_CYCLE_1)
	s_mov_b32 s0, exec_lo
	v_cmpx_gt_u32_e32 8, v20
	s_xor_b32 s6, exec_lo, s0
	s_cbranch_execz .LBB1_41
; %bb.36:                               ;   in Loop: Header=BB1_3 Depth=1
	v_mov_b32_e32 v18, 0
	v_mov_b32_e32 v19, 0
	s_mov_b32 s7, exec_lo
	v_cmpx_ne_u32_e32 0, v20
	s_cbranch_execz .LBB1_40
; %bb.37:                               ;   in Loop: Header=BB1_3 Depth=1
	v_mov_b32_e32 v18, 0
	v_mov_b32_e32 v19, 0
	s_mov_b64 s[0:1], 0
	s_mov_b32 s13, 0
	s_mov_b64 s[4:5], 0
	.p2align	6
.LBB1_38:                               ;   Parent Loop BB1_3 Depth=1
                                        ; =>  This Inner Loop Header: Depth=2
	s_delay_alu instid0(SALU_CYCLE_1)
	v_add_co_u32 v21, vcc_lo, v24, s4
	v_add_co_ci_u32_e32 v22, vcc_lo, s5, v25, vcc_lo
	s_add_u32 s4, s4, 1
	s_addc_u32 s5, s5, 0
	v_cmp_eq_u32_e32 vcc_lo, s4, v20
	flat_load_u8 v8, v[21:22]
	s_waitcnt vmcnt(0) lgkmcnt(0)
	v_dual_mov_b32 v22, s12 :: v_dual_and_b32 v21, 0xffff, v8
	s_delay_alu instid0(VALU_DEP_1) | instskip(SKIP_3) | instid1(VALU_DEP_1)
	v_lshlrev_b64 v[21:22], s0, v[21:22]
	s_add_u32 s0, s0, 8
	s_addc_u32 s1, s1, 0
	s_or_b32 s13, vcc_lo, s13
	v_or_b32_e32 v19, v22, v19
	s_delay_alu instid0(VALU_DEP_2)
	v_or_b32_e32 v18, v21, v18
	s_and_not1_b32 exec_lo, exec_lo, s13
	s_cbranch_execnz .LBB1_38
; %bb.39:                               ;   in Loop: Header=BB1_3 Depth=1
	s_or_b32 exec_lo, exec_lo, s13
.LBB1_40:                               ;   in Loop: Header=BB1_3 Depth=1
	s_delay_alu instid0(SALU_CYCLE_1)
	s_or_b32 exec_lo, exec_lo, s7
	s_mov_b32 s1, 0
                                        ; implicit-def: $vgpr20
.LBB1_41:                               ;   in Loop: Header=BB1_3 Depth=1
	s_or_saveexec_b32 s0, s6
	v_mov_b32_e32 v8, s1
	s_xor_b32 exec_lo, exec_lo, s0
	s_cbranch_execz .LBB1_43
; %bb.42:                               ;   in Loop: Header=BB1_3 Depth=1
	flat_load_b64 v[18:19], v[24:25]
	v_add_co_u32 v24, vcc_lo, v24, 8
	v_add_co_ci_u32_e32 v25, vcc_lo, 0, v25, vcc_lo
	s_waitcnt vmcnt(0) lgkmcnt(0)
	v_and_b32_e32 v8, 0xff, v19
	v_and_b32_e32 v21, 0xff00, v19
	;; [unrolled: 1-line block ×4, first 2 shown]
	v_or3_b32 v18, v18, 0, 0
	s_delay_alu instid0(VALU_DEP_4) | instskip(SKIP_1) | instid1(VALU_DEP_2)
	v_or_b32_e32 v21, v8, v21
	v_add_nc_u32_e32 v8, -8, v20
	v_or3_b32 v19, v21, v22, v19
.LBB1_43:                               ;   in Loop: Header=BB1_3 Depth=1
	s_or_b32 exec_lo, exec_lo, s0
                                        ; implicit-def: $vgpr20_vgpr21
                                        ; implicit-def: $sgpr1
	s_delay_alu instid0(SALU_CYCLE_1) | instskip(NEXT) | instid1(VALU_DEP_1)
	s_mov_b32 s0, exec_lo
	v_cmpx_gt_u32_e32 8, v8
	s_xor_b32 s6, exec_lo, s0
	s_cbranch_execz .LBB1_49
; %bb.44:                               ;   in Loop: Header=BB1_3 Depth=1
	v_mov_b32_e32 v20, 0
	v_mov_b32_e32 v21, 0
	s_mov_b32 s7, exec_lo
	v_cmpx_ne_u32_e32 0, v8
	s_cbranch_execz .LBB1_48
; %bb.45:                               ;   in Loop: Header=BB1_3 Depth=1
	v_mov_b32_e32 v20, 0
	v_mov_b32_e32 v21, 0
	s_mov_b64 s[0:1], 0
	s_mov_b32 s13, 0
	s_mov_b64 s[4:5], 0
	.p2align	6
.LBB1_46:                               ;   Parent Loop BB1_3 Depth=1
                                        ; =>  This Inner Loop Header: Depth=2
	s_delay_alu instid0(SALU_CYCLE_1)
	v_add_co_u32 v22, vcc_lo, v24, s4
	v_add_co_ci_u32_e32 v23, vcc_lo, s5, v25, vcc_lo
	s_add_u32 s4, s4, 1
	s_addc_u32 s5, s5, 0
	v_cmp_eq_u32_e32 vcc_lo, s4, v8
	flat_load_u8 v22, v[22:23]
	s_waitcnt vmcnt(0) lgkmcnt(0)
	v_dual_mov_b32 v23, s12 :: v_dual_and_b32 v22, 0xffff, v22
	s_delay_alu instid0(VALU_DEP_1) | instskip(SKIP_3) | instid1(VALU_DEP_1)
	v_lshlrev_b64 v[22:23], s0, v[22:23]
	s_add_u32 s0, s0, 8
	s_addc_u32 s1, s1, 0
	s_or_b32 s13, vcc_lo, s13
	v_or_b32_e32 v21, v23, v21
	s_delay_alu instid0(VALU_DEP_2)
	v_or_b32_e32 v20, v22, v20
	s_and_not1_b32 exec_lo, exec_lo, s13
	s_cbranch_execnz .LBB1_46
; %bb.47:                               ;   in Loop: Header=BB1_3 Depth=1
	s_or_b32 exec_lo, exec_lo, s13
.LBB1_48:                               ;   in Loop: Header=BB1_3 Depth=1
	s_delay_alu instid0(SALU_CYCLE_1)
	s_or_b32 exec_lo, exec_lo, s7
	s_mov_b32 s1, 0
                                        ; implicit-def: $vgpr8
.LBB1_49:                               ;   in Loop: Header=BB1_3 Depth=1
	s_or_saveexec_b32 s0, s6
	v_mov_b32_e32 v26, s1
	s_xor_b32 exec_lo, exec_lo, s0
	s_cbranch_execz .LBB1_51
; %bb.50:                               ;   in Loop: Header=BB1_3 Depth=1
	flat_load_b64 v[20:21], v[24:25]
	v_add_co_u32 v24, vcc_lo, v24, 8
	v_add_nc_u32_e32 v26, -8, v8
	v_add_co_ci_u32_e32 v25, vcc_lo, 0, v25, vcc_lo
	s_waitcnt vmcnt(0) lgkmcnt(0)
	v_and_b32_e32 v22, 0xff, v21
	v_and_b32_e32 v23, 0xff00, v21
	;; [unrolled: 1-line block ×4, first 2 shown]
	v_or3_b32 v20, v20, 0, 0
	s_delay_alu instid0(VALU_DEP_4) | instskip(NEXT) | instid1(VALU_DEP_1)
	v_or_b32_e32 v22, v22, v23
	v_or3_b32 v21, v22, v27, v21
.LBB1_51:                               ;   in Loop: Header=BB1_3 Depth=1
	s_or_b32 exec_lo, exec_lo, s0
	s_delay_alu instid0(SALU_CYCLE_1)
	s_mov_b32 s0, exec_lo
	v_cmpx_gt_u32_e32 8, v26
	s_xor_b32 s4, exec_lo, s0
	s_cbranch_execz .LBB1_57
; %bb.52:                               ;   in Loop: Header=BB1_3 Depth=1
	v_mov_b32_e32 v22, 0
	v_mov_b32_e32 v23, 0
	s_mov_b32 s5, exec_lo
	v_cmpx_ne_u32_e32 0, v26
	s_cbranch_execz .LBB1_56
; %bb.53:                               ;   in Loop: Header=BB1_3 Depth=1
	v_mov_b32_e32 v22, 0
	v_mov_b32_e32 v23, 0
	s_mov_b64 s[0:1], 0
	s_mov_b32 s6, 0
	.p2align	6
.LBB1_54:                               ;   Parent Loop BB1_3 Depth=1
                                        ; =>  This Inner Loop Header: Depth=2
	flat_load_u8 v8, v[24:25]
	v_dual_mov_b32 v31, s12 :: v_dual_add_nc_u32 v26, -1, v26
	v_add_co_u32 v24, vcc_lo, v24, 1
	v_add_co_ci_u32_e32 v25, vcc_lo, 0, v25, vcc_lo
	s_delay_alu instid0(VALU_DEP_3) | instskip(SKIP_2) | instid1(VALU_DEP_1)
	v_cmp_eq_u32_e32 vcc_lo, 0, v26
	s_waitcnt vmcnt(0) lgkmcnt(0)
	v_and_b32_e32 v30, 0xffff, v8
	v_lshlrev_b64 v[30:31], s0, v[30:31]
	s_add_u32 s0, s0, 8
	s_addc_u32 s1, s1, 0
	s_or_b32 s6, vcc_lo, s6
	s_delay_alu instid0(VALU_DEP_1) | instskip(NEXT) | instid1(VALU_DEP_2)
	v_or_b32_e32 v23, v31, v23
	v_or_b32_e32 v22, v30, v22
	s_and_not1_b32 exec_lo, exec_lo, s6
	s_cbranch_execnz .LBB1_54
; %bb.55:                               ;   in Loop: Header=BB1_3 Depth=1
	s_or_b32 exec_lo, exec_lo, s6
.LBB1_56:                               ;   in Loop: Header=BB1_3 Depth=1
	s_delay_alu instid0(SALU_CYCLE_1)
	s_or_b32 exec_lo, exec_lo, s5
                                        ; implicit-def: $vgpr24_vgpr25
.LBB1_57:                               ;   in Loop: Header=BB1_3 Depth=1
	s_and_not1_saveexec_b32 s0, s4
	s_cbranch_execz .LBB1_59
; %bb.58:                               ;   in Loop: Header=BB1_3 Depth=1
	flat_load_b64 v[22:23], v[24:25]
	s_waitcnt vmcnt(0) lgkmcnt(0)
	v_and_b32_e32 v8, 0xff, v23
	v_and_b32_e32 v24, 0xff00, v23
	;; [unrolled: 1-line block ×4, first 2 shown]
	v_or3_b32 v22, v22, 0, 0
	s_delay_alu instid0(VALU_DEP_4) | instskip(NEXT) | instid1(VALU_DEP_1)
	v_or_b32_e32 v8, v8, v24
	v_or3_b32 v23, v8, v25, v23
.LBB1_59:                               ;   in Loop: Header=BB1_3 Depth=1
	s_or_b32 exec_lo, exec_lo, s0
	v_readfirstlane_b32 s0, v32
	v_mov_b32_e32 v30, 0
	v_mov_b32_e32 v31, 0
	s_delay_alu instid0(VALU_DEP_3) | instskip(NEXT) | instid1(VALU_DEP_1)
	v_cmp_eq_u32_e64 s0, s0, v32
	s_and_saveexec_b32 s1, s0
	s_cbranch_execz .LBB1_65
; %bb.60:                               ;   in Loop: Header=BB1_3 Depth=1
	s_waitcnt lgkmcnt(0)
	global_load_b64 v[26:27], v9, s[2:3] offset:24 glc
	s_waitcnt vmcnt(0)
	buffer_gl1_inv
	buffer_gl0_inv
	s_clause 0x1
	global_load_b64 v[24:25], v9, s[2:3] offset:40
	global_load_b64 v[30:31], v9, s[2:3]
	s_mov_b32 s4, exec_lo
	s_waitcnt vmcnt(1)
	v_and_b32_e32 v8, v25, v27
	v_and_b32_e32 v24, v24, v26
	s_delay_alu instid0(VALU_DEP_2) | instskip(NEXT) | instid1(VALU_DEP_2)
	v_mul_lo_u32 v8, v8, 24
	v_mul_hi_u32 v25, v24, 24
	v_mul_lo_u32 v24, v24, 24
	s_delay_alu instid0(VALU_DEP_2) | instskip(SKIP_1) | instid1(VALU_DEP_2)
	v_add_nc_u32_e32 v8, v25, v8
	s_waitcnt vmcnt(0)
	v_add_co_u32 v24, vcc_lo, v30, v24
	s_delay_alu instid0(VALU_DEP_2)
	v_add_co_ci_u32_e32 v25, vcc_lo, v31, v8, vcc_lo
	global_load_b64 v[24:25], v[24:25], off glc
	s_waitcnt vmcnt(0)
	global_atomic_cmpswap_b64 v[30:31], v9, v[24:27], s[2:3] offset:24 glc
	s_waitcnt vmcnt(0)
	buffer_gl1_inv
	buffer_gl0_inv
	v_cmpx_ne_u64_e64 v[30:31], v[26:27]
	s_cbranch_execz .LBB1_64
; %bb.61:                               ;   in Loop: Header=BB1_3 Depth=1
	s_mov_b32 s5, 0
	.p2align	6
.LBB1_62:                               ;   Parent Loop BB1_3 Depth=1
                                        ; =>  This Inner Loop Header: Depth=2
	s_sleep 1
	s_clause 0x1
	global_load_b64 v[24:25], v9, s[2:3] offset:40
	global_load_b64 v[34:35], v9, s[2:3]
	v_dual_mov_b32 v26, v30 :: v_dual_mov_b32 v27, v31
	s_waitcnt vmcnt(1)
	s_delay_alu instid0(VALU_DEP_1) | instskip(SKIP_1) | instid1(VALU_DEP_1)
	v_and_b32_e32 v8, v24, v26
	s_waitcnt vmcnt(0)
	v_mad_u64_u32 v[30:31], null, v8, 24, v[34:35]
	v_and_b32_e32 v34, v25, v27
	s_delay_alu instid0(VALU_DEP_2) | instskip(NEXT) | instid1(VALU_DEP_1)
	v_mov_b32_e32 v8, v31
	v_mad_u64_u32 v[24:25], null, v34, 24, v[8:9]
	s_delay_alu instid0(VALU_DEP_1)
	v_mov_b32_e32 v31, v24
	global_load_b64 v[24:25], v[30:31], off glc
	s_waitcnt vmcnt(0)
	global_atomic_cmpswap_b64 v[30:31], v9, v[24:27], s[2:3] offset:24 glc
	s_waitcnt vmcnt(0)
	buffer_gl1_inv
	buffer_gl0_inv
	v_cmp_eq_u64_e32 vcc_lo, v[30:31], v[26:27]
	s_or_b32 s5, vcc_lo, s5
	s_delay_alu instid0(SALU_CYCLE_1)
	s_and_not1_b32 exec_lo, exec_lo, s5
	s_cbranch_execnz .LBB1_62
; %bb.63:                               ;   in Loop: Header=BB1_3 Depth=1
	s_or_b32 exec_lo, exec_lo, s5
.LBB1_64:                               ;   in Loop: Header=BB1_3 Depth=1
	s_delay_alu instid0(SALU_CYCLE_1)
	s_or_b32 exec_lo, exec_lo, s4
.LBB1_65:                               ;   in Loop: Header=BB1_3 Depth=1
	s_delay_alu instid0(SALU_CYCLE_1)
	s_or_b32 exec_lo, exec_lo, s1
	s_waitcnt lgkmcnt(0)
	s_clause 0x1
	global_load_b64 v[34:35], v9, s[2:3] offset:40
	global_load_b128 v[24:27], v9, s[2:3]
	v_readfirstlane_b32 s4, v30
	v_readfirstlane_b32 s5, v31
	s_mov_b32 s1, exec_lo
	s_waitcnt vmcnt(1)
	v_readfirstlane_b32 s6, v34
	v_readfirstlane_b32 s7, v35
	s_delay_alu instid0(VALU_DEP_1) | instskip(NEXT) | instid1(SALU_CYCLE_1)
	s_and_b64 s[6:7], s[4:5], s[6:7]
	s_mul_i32 s13, s7, 24
	s_mul_hi_u32 s14, s6, 24
	s_mul_i32 s15, s6, 24
	s_add_i32 s14, s14, s13
	s_waitcnt vmcnt(0)
	v_add_co_u32 v30, vcc_lo, v24, s15
	v_add_co_ci_u32_e32 v31, vcc_lo, s14, v25, vcc_lo
	s_and_saveexec_b32 s13, s0
	s_cbranch_execz .LBB1_67
; %bb.66:                               ;   in Loop: Header=BB1_3 Depth=1
	v_mov_b32_e32 v8, s1
	global_store_b128 v[30:31], v[8:11], off offset:8
.LBB1_67:                               ;   in Loop: Header=BB1_3 Depth=1
	s_or_b32 exec_lo, exec_lo, s13
	v_cmp_lt_u64_e32 vcc_lo, 56, v[4:5]
	v_or_b32_e32 v8, 0, v1
	v_or_b32_e32 v34, v0, v33
	v_lshl_add_u32 v35, v28, 2, 28
	s_lshl_b64 s[6:7], s[6:7], 12
	s_delay_alu instid0(SALU_CYCLE_1) | instskip(NEXT) | instid1(VALU_DEP_1)
	v_add_co_u32 v26, s1, v26, s6
	v_add_co_ci_u32_e64 v27, s1, s7, v27, s1
	v_dual_cndmask_b32 v1, v8, v1 :: v_dual_cndmask_b32 v0, v34, v0
	v_and_b32_e32 v8, 0x1e0, v35
	v_lshlrev_b32_e32 v34, 6, v32
	v_readfirstlane_b32 s6, v26
	v_readfirstlane_b32 s7, v27
	s_delay_alu instid0(VALU_DEP_4)
	v_and_or_b32 v0, 0xffffff1f, v0, v8
	s_clause 0x3
	global_store_b128 v34, v[0:3], s[6:7]
	global_store_b128 v34, v[12:15], s[6:7] offset:16
	global_store_b128 v34, v[16:19], s[6:7] offset:32
	;; [unrolled: 1-line block ×3, first 2 shown]
	s_and_saveexec_b32 s1, s0
	s_cbranch_execz .LBB1_75
; %bb.68:                               ;   in Loop: Header=BB1_3 Depth=1
	s_clause 0x1
	global_load_b64 v[16:17], v9, s[2:3] offset:32 glc
	global_load_b64 v[0:1], v9, s[2:3] offset:40
	v_dual_mov_b32 v14, s4 :: v_dual_mov_b32 v15, s5
	s_waitcnt vmcnt(0)
	v_readfirstlane_b32 s6, v0
	v_readfirstlane_b32 s7, v1
	s_delay_alu instid0(VALU_DEP_1) | instskip(NEXT) | instid1(SALU_CYCLE_1)
	s_and_b64 s[6:7], s[6:7], s[4:5]
	s_mul_i32 s7, s7, 24
	s_mul_hi_u32 s13, s6, 24
	s_mul_i32 s6, s6, 24
	s_add_i32 s13, s13, s7
	v_add_co_u32 v12, vcc_lo, v24, s6
	v_add_co_ci_u32_e32 v13, vcc_lo, s13, v25, vcc_lo
	s_mov_b32 s6, exec_lo
	global_store_b64 v[12:13], v[16:17], off
	s_waitcnt_vscnt null, 0x0
	global_atomic_cmpswap_b64 v[2:3], v9, v[14:17], s[2:3] offset:32 glc
	s_waitcnt vmcnt(0)
	v_cmpx_ne_u64_e64 v[2:3], v[16:17]
	s_cbranch_execz .LBB1_71
; %bb.69:                               ;   in Loop: Header=BB1_3 Depth=1
	s_mov_b32 s7, 0
.LBB1_70:                               ;   Parent Loop BB1_3 Depth=1
                                        ; =>  This Inner Loop Header: Depth=2
	v_dual_mov_b32 v0, s4 :: v_dual_mov_b32 v1, s5
	s_sleep 1
	global_store_b64 v[12:13], v[2:3], off
	s_waitcnt_vscnt null, 0x0
	global_atomic_cmpswap_b64 v[0:1], v9, v[0:3], s[2:3] offset:32 glc
	s_waitcnt vmcnt(0)
	v_cmp_eq_u64_e32 vcc_lo, v[0:1], v[2:3]
	v_dual_mov_b32 v3, v1 :: v_dual_mov_b32 v2, v0
	s_or_b32 s7, vcc_lo, s7
	s_delay_alu instid0(SALU_CYCLE_1)
	s_and_not1_b32 exec_lo, exec_lo, s7
	s_cbranch_execnz .LBB1_70
.LBB1_71:                               ;   in Loop: Header=BB1_3 Depth=1
	s_or_b32 exec_lo, exec_lo, s6
	global_load_b64 v[0:1], v9, s[2:3] offset:16
	s_mov_b32 s7, exec_lo
	s_mov_b32 s6, exec_lo
	v_mbcnt_lo_u32_b32 v2, s7, 0
	s_delay_alu instid0(VALU_DEP_1)
	v_cmpx_eq_u32_e32 0, v2
	s_cbranch_execz .LBB1_73
; %bb.72:                               ;   in Loop: Header=BB1_3 Depth=1
	s_bcnt1_i32_b32 s7, s7
	s_delay_alu instid0(SALU_CYCLE_1)
	v_mov_b32_e32 v8, s7
	s_waitcnt vmcnt(0)
	global_atomic_add_u64 v[0:1], v[8:9], off offset:8
.LBB1_73:                               ;   in Loop: Header=BB1_3 Depth=1
	s_or_b32 exec_lo, exec_lo, s6
	s_waitcnt vmcnt(0)
	global_load_b64 v[2:3], v[0:1], off offset:16
	s_waitcnt vmcnt(0)
	v_cmp_eq_u64_e32 vcc_lo, 0, v[2:3]
	s_cbranch_vccnz .LBB1_75
; %bb.74:                               ;   in Loop: Header=BB1_3 Depth=1
	global_load_b32 v8, v[0:1], off offset:24
	s_waitcnt vmcnt(0)
	v_and_b32_e32 v0, 0xffffff, v8
	s_waitcnt_vscnt null, 0x0
	global_store_b64 v[2:3], v[8:9], off
	v_readfirstlane_b32 m0, v0
	s_sendmsg sendmsg(MSG_INTERRUPT)
.LBB1_75:                               ;   in Loop: Header=BB1_3 Depth=1
	s_or_b32 exec_lo, exec_lo, s1
	v_add_co_u32 v0, vcc_lo, v26, v34
	v_add_co_ci_u32_e32 v1, vcc_lo, 0, v27, vcc_lo
	s_branch .LBB1_79
	.p2align	6
.LBB1_76:                               ;   in Loop: Header=BB1_79 Depth=2
	s_or_b32 exec_lo, exec_lo, s1
	s_delay_alu instid0(VALU_DEP_1) | instskip(NEXT) | instid1(VALU_DEP_1)
	v_readfirstlane_b32 s1, v2
	s_cmp_eq_u32 s1, 0
	s_cbranch_scc1 .LBB1_78
; %bb.77:                               ;   in Loop: Header=BB1_79 Depth=2
	s_sleep 1
	s_cbranch_execnz .LBB1_79
	s_branch .LBB1_81
	.p2align	6
.LBB1_78:                               ;   in Loop: Header=BB1_3 Depth=1
	s_branch .LBB1_81
.LBB1_79:                               ;   Parent Loop BB1_3 Depth=1
                                        ; =>  This Inner Loop Header: Depth=2
	v_mov_b32_e32 v2, 1
	s_and_saveexec_b32 s1, s0
	s_cbranch_execz .LBB1_76
; %bb.80:                               ;   in Loop: Header=BB1_79 Depth=2
	global_load_b32 v2, v[30:31], off offset:20 glc
	s_waitcnt vmcnt(0)
	buffer_gl1_inv
	buffer_gl0_inv
	v_and_b32_e32 v2, 1, v2
	s_branch .LBB1_76
.LBB1_81:                               ;   in Loop: Header=BB1_3 Depth=1
	global_load_b128 v[0:3], v[0:1], off
	s_and_saveexec_b32 s1, s0
	s_cbranch_execz .LBB1_2
; %bb.82:                               ;   in Loop: Header=BB1_3 Depth=1
	s_clause 0x2
	global_load_b64 v[2:3], v9, s[2:3] offset:40
	global_load_b64 v[16:17], v9, s[2:3] offset:24 glc
	global_load_b64 v[14:15], v9, s[2:3]
	s_waitcnt vmcnt(2)
	v_add_co_u32 v8, vcc_lo, v2, 1
	v_add_co_ci_u32_e32 v18, vcc_lo, 0, v3, vcc_lo
	s_delay_alu instid0(VALU_DEP_2) | instskip(NEXT) | instid1(VALU_DEP_2)
	v_add_co_u32 v12, vcc_lo, v8, s4
	v_add_co_ci_u32_e32 v13, vcc_lo, s5, v18, vcc_lo
	s_delay_alu instid0(VALU_DEP_1) | instskip(SKIP_1) | instid1(VALU_DEP_1)
	v_cmp_eq_u64_e32 vcc_lo, 0, v[12:13]
	v_dual_cndmask_b32 v13, v13, v18 :: v_dual_cndmask_b32 v12, v12, v8
	v_and_b32_e32 v3, v13, v3
	s_delay_alu instid0(VALU_DEP_2) | instskip(NEXT) | instid1(VALU_DEP_1)
	v_and_b32_e32 v2, v12, v2
	v_mul_hi_u32 v8, v2, 24
	v_mul_lo_u32 v2, v2, 24
	s_waitcnt vmcnt(0)
	s_delay_alu instid0(VALU_DEP_1) | instskip(SKIP_2) | instid1(VALU_DEP_1)
	v_add_co_u32 v2, vcc_lo, v14, v2
	v_mov_b32_e32 v14, v16
	v_mul_lo_u32 v3, v3, 24
	v_add_nc_u32_e32 v3, v8, v3
	s_delay_alu instid0(VALU_DEP_1)
	v_add_co_ci_u32_e32 v3, vcc_lo, v15, v3, vcc_lo
	v_mov_b32_e32 v15, v17
	global_store_b64 v[2:3], v[16:17], off
	s_waitcnt_vscnt null, 0x0
	global_atomic_cmpswap_b64 v[14:15], v9, v[12:15], s[2:3] offset:24 glc
	s_waitcnt vmcnt(0)
	v_cmp_ne_u64_e32 vcc_lo, v[14:15], v[16:17]
	s_and_b32 exec_lo, exec_lo, vcc_lo
	s_cbranch_execz .LBB1_2
; %bb.83:                               ;   in Loop: Header=BB1_3 Depth=1
	s_mov_b32 s0, 0
.LBB1_84:                               ;   Parent Loop BB1_3 Depth=1
                                        ; =>  This Inner Loop Header: Depth=2
	s_sleep 1
	global_store_b64 v[2:3], v[14:15], off
	s_waitcnt_vscnt null, 0x0
	global_atomic_cmpswap_b64 v[16:17], v9, v[12:15], s[2:3] offset:24 glc
	s_waitcnt vmcnt(0)
	v_cmp_eq_u64_e32 vcc_lo, v[16:17], v[14:15]
	v_dual_mov_b32 v14, v16 :: v_dual_mov_b32 v15, v17
	s_or_b32 s0, vcc_lo, s0
	s_delay_alu instid0(SALU_CYCLE_1)
	s_and_not1_b32 exec_lo, exec_lo, s0
	s_cbranch_execnz .LBB1_84
	s_branch .LBB1_2
.LBB1_85:
	s_or_b32 exec_lo, exec_lo, s11
                                        ; implicit-def: $vgpr3
                                        ; implicit-def: $vgpr32
.LBB1_86:
	s_and_not1_saveexec_b32 s1, s10
	s_cbranch_execz .LBB1_108
; %bb.87:
	s_load_b64 s[2:3], s[8:9], 0x50
	v_readfirstlane_b32 s0, v32
	v_mov_b32_e32 v8, 0
	v_mov_b32_e32 v9, 0
	s_delay_alu instid0(VALU_DEP_3) | instskip(NEXT) | instid1(VALU_DEP_1)
	v_cmp_eq_u32_e64 s0, s0, v32
	s_and_saveexec_b32 s4, s0
	s_cbranch_execz .LBB1_93
; %bb.88:
	s_waitcnt vmcnt(0)
	v_mov_b32_e32 v0, 0
	s_mov_b32 s5, exec_lo
	s_waitcnt lgkmcnt(0)
	global_load_b64 v[6:7], v0, s[2:3] offset:24 glc
	s_waitcnt vmcnt(0)
	buffer_gl1_inv
	buffer_gl0_inv
	s_clause 0x1
	global_load_b64 v[4:5], v0, s[2:3] offset:40
	global_load_b64 v[8:9], v0, s[2:3]
	s_waitcnt vmcnt(1)
	v_and_b32_e32 v2, v5, v7
	v_and_b32_e32 v4, v4, v6
	s_delay_alu instid0(VALU_DEP_2) | instskip(NEXT) | instid1(VALU_DEP_2)
	v_mul_lo_u32 v2, v2, 24
	v_mul_hi_u32 v5, v4, 24
	v_mul_lo_u32 v4, v4, 24
	s_delay_alu instid0(VALU_DEP_2) | instskip(SKIP_1) | instid1(VALU_DEP_2)
	v_add_nc_u32_e32 v2, v5, v2
	s_waitcnt vmcnt(0)
	v_add_co_u32 v4, vcc_lo, v8, v4
	s_delay_alu instid0(VALU_DEP_2)
	v_add_co_ci_u32_e32 v5, vcc_lo, v9, v2, vcc_lo
	global_load_b64 v[4:5], v[4:5], off glc
	s_waitcnt vmcnt(0)
	global_atomic_cmpswap_b64 v[8:9], v0, v[4:7], s[2:3] offset:24 glc
	s_waitcnt vmcnt(0)
	buffer_gl1_inv
	buffer_gl0_inv
	v_cmpx_ne_u64_e64 v[8:9], v[6:7]
	s_cbranch_execz .LBB1_92
; %bb.89:
	s_mov_b32 s6, 0
	.p2align	6
.LBB1_90:                               ; =>This Inner Loop Header: Depth=1
	s_sleep 1
	s_clause 0x1
	global_load_b64 v[4:5], v0, s[2:3] offset:40
	global_load_b64 v[10:11], v0, s[2:3]
	v_dual_mov_b32 v6, v8 :: v_dual_mov_b32 v7, v9
	s_waitcnt vmcnt(1)
	s_delay_alu instid0(VALU_DEP_1) | instskip(SKIP_1) | instid1(VALU_DEP_1)
	v_and_b32_e32 v2, v4, v6
	s_waitcnt vmcnt(0)
	v_mad_u64_u32 v[8:9], null, v2, 24, v[10:11]
	v_and_b32_e32 v10, v5, v7
	s_delay_alu instid0(VALU_DEP_2) | instskip(NEXT) | instid1(VALU_DEP_1)
	v_mov_b32_e32 v2, v9
	v_mad_u64_u32 v[4:5], null, v10, 24, v[2:3]
	s_delay_alu instid0(VALU_DEP_1)
	v_mov_b32_e32 v9, v4
	global_load_b64 v[4:5], v[8:9], off glc
	s_waitcnt vmcnt(0)
	global_atomic_cmpswap_b64 v[8:9], v0, v[4:7], s[2:3] offset:24 glc
	s_waitcnt vmcnt(0)
	buffer_gl1_inv
	buffer_gl0_inv
	v_cmp_eq_u64_e32 vcc_lo, v[8:9], v[6:7]
	s_or_b32 s6, vcc_lo, s6
	s_delay_alu instid0(SALU_CYCLE_1)
	s_and_not1_b32 exec_lo, exec_lo, s6
	s_cbranch_execnz .LBB1_90
; %bb.91:
	s_or_b32 exec_lo, exec_lo, s6
.LBB1_92:
	s_delay_alu instid0(SALU_CYCLE_1)
	s_or_b32 exec_lo, exec_lo, s5
.LBB1_93:
	s_delay_alu instid0(SALU_CYCLE_1)
	s_or_b32 exec_lo, exec_lo, s4
	s_waitcnt vmcnt(0)
	v_mov_b32_e32 v2, 0
	v_readfirstlane_b32 s4, v8
	v_readfirstlane_b32 s5, v9
	s_mov_b32 s8, exec_lo
	s_waitcnt lgkmcnt(0)
	s_clause 0x1
	global_load_b64 v[10:11], v2, s[2:3] offset:40
	global_load_b128 v[4:7], v2, s[2:3]
	s_waitcnt vmcnt(1)
	v_readfirstlane_b32 s6, v10
	v_readfirstlane_b32 s7, v11
	s_delay_alu instid0(VALU_DEP_1) | instskip(NEXT) | instid1(SALU_CYCLE_1)
	s_and_b64 s[6:7], s[4:5], s[6:7]
	s_mul_i32 s9, s7, 24
	s_mul_hi_u32 s10, s6, 24
	s_mul_i32 s11, s6, 24
	s_add_i32 s10, s10, s9
	s_waitcnt vmcnt(0)
	v_add_co_u32 v8, vcc_lo, v4, s11
	v_add_co_ci_u32_e32 v9, vcc_lo, s10, v5, vcc_lo
	s_and_saveexec_b32 s9, s0
	s_cbranch_execz .LBB1_95
; %bb.94:
	v_dual_mov_b32 v10, s8 :: v_dual_mov_b32 v11, v2
	v_dual_mov_b32 v12, 2 :: v_dual_mov_b32 v13, 1
	global_store_b128 v[8:9], v[10:13], off offset:8
.LBB1_95:
	s_or_b32 exec_lo, exec_lo, s9
	s_lshl_b64 s[6:7], s[6:7], 12
	v_lshlrev_b32_e32 v14, 6, v32
	v_add_co_u32 v6, vcc_lo, v6, s6
	v_add_co_ci_u32_e32 v7, vcc_lo, s7, v7, vcc_lo
	s_mov_b32 s8, 0
	v_and_or_b32 v0, 0xffffff1f, v3, 32
	v_mov_b32_e32 v3, v2
	v_readfirstlane_b32 s6, v6
	s_mov_b32 s11, s8
	v_add_co_u32 v6, vcc_lo, v6, v14
	s_mov_b32 s9, s8
	s_mov_b32 s10, s8
	v_readfirstlane_b32 s7, v7
	v_dual_mov_b32 v13, s11 :: v_dual_mov_b32 v12, s10
	v_add_co_ci_u32_e32 v7, vcc_lo, 0, v7, vcc_lo
	v_dual_mov_b32 v11, s9 :: v_dual_mov_b32 v10, s8
	s_clause 0x3
	global_store_b128 v14, v[0:3], s[6:7]
	global_store_b128 v14, v[10:13], s[6:7] offset:16
	global_store_b128 v14, v[10:13], s[6:7] offset:32
	;; [unrolled: 1-line block ×3, first 2 shown]
	s_and_saveexec_b32 s6, s0
	s_cbranch_execz .LBB1_102
; %bb.96:
	v_mov_b32_e32 v10, 0
	s_mov_b32 s7, exec_lo
	s_clause 0x1
	global_load_b64 v[13:14], v10, s[2:3] offset:32 glc
	global_load_b64 v[0:1], v10, s[2:3] offset:40
	v_dual_mov_b32 v11, s4 :: v_dual_mov_b32 v12, s5
	s_waitcnt vmcnt(0)
	v_and_b32_e32 v1, s5, v1
	v_and_b32_e32 v0, s4, v0
	s_delay_alu instid0(VALU_DEP_2) | instskip(NEXT) | instid1(VALU_DEP_2)
	v_mul_lo_u32 v1, v1, 24
	v_mul_hi_u32 v2, v0, 24
	v_mul_lo_u32 v0, v0, 24
	s_delay_alu instid0(VALU_DEP_2) | instskip(NEXT) | instid1(VALU_DEP_2)
	v_add_nc_u32_e32 v1, v2, v1
	v_add_co_u32 v4, vcc_lo, v4, v0
	s_delay_alu instid0(VALU_DEP_2)
	v_add_co_ci_u32_e32 v5, vcc_lo, v5, v1, vcc_lo
	global_store_b64 v[4:5], v[13:14], off
	s_waitcnt_vscnt null, 0x0
	global_atomic_cmpswap_b64 v[2:3], v10, v[11:14], s[2:3] offset:32 glc
	s_waitcnt vmcnt(0)
	v_cmpx_ne_u64_e64 v[2:3], v[13:14]
	s_cbranch_execz .LBB1_98
.LBB1_97:                               ; =>This Inner Loop Header: Depth=1
	v_dual_mov_b32 v0, s4 :: v_dual_mov_b32 v1, s5
	s_sleep 1
	global_store_b64 v[4:5], v[2:3], off
	s_waitcnt_vscnt null, 0x0
	global_atomic_cmpswap_b64 v[0:1], v10, v[0:3], s[2:3] offset:32 glc
	s_waitcnt vmcnt(0)
	v_cmp_eq_u64_e32 vcc_lo, v[0:1], v[2:3]
	v_dual_mov_b32 v3, v1 :: v_dual_mov_b32 v2, v0
	s_or_b32 s8, vcc_lo, s8
	s_delay_alu instid0(SALU_CYCLE_1)
	s_and_not1_b32 exec_lo, exec_lo, s8
	s_cbranch_execnz .LBB1_97
.LBB1_98:
	s_or_b32 exec_lo, exec_lo, s7
	v_mov_b32_e32 v3, 0
	s_mov_b32 s8, exec_lo
	s_mov_b32 s7, exec_lo
	v_mbcnt_lo_u32_b32 v2, s8, 0
	global_load_b64 v[0:1], v3, s[2:3] offset:16
	v_cmpx_eq_u32_e32 0, v2
	s_cbranch_execz .LBB1_100
; %bb.99:
	s_bcnt1_i32_b32 s8, s8
	s_delay_alu instid0(SALU_CYCLE_1)
	v_mov_b32_e32 v2, s8
	s_waitcnt vmcnt(0)
	global_atomic_add_u64 v[0:1], v[2:3], off offset:8
.LBB1_100:
	s_or_b32 exec_lo, exec_lo, s7
	s_waitcnt vmcnt(0)
	global_load_b64 v[2:3], v[0:1], off offset:16
	s_waitcnt vmcnt(0)
	v_cmp_eq_u64_e32 vcc_lo, 0, v[2:3]
	s_cbranch_vccnz .LBB1_102
; %bb.101:
	global_load_b32 v0, v[0:1], off offset:24
	s_waitcnt vmcnt(0)
	v_dual_mov_b32 v1, 0 :: v_dual_and_b32 v4, 0xffffff, v0
	s_waitcnt_vscnt null, 0x0
	global_store_b64 v[2:3], v[0:1], off
	v_readfirstlane_b32 m0, v4
	s_sendmsg sendmsg(MSG_INTERRUPT)
.LBB1_102:
	s_or_b32 exec_lo, exec_lo, s6
	s_branch .LBB1_106
	.p2align	6
.LBB1_103:                              ;   in Loop: Header=BB1_106 Depth=1
	s_or_b32 exec_lo, exec_lo, s6
	s_delay_alu instid0(VALU_DEP_1) | instskip(NEXT) | instid1(VALU_DEP_1)
	v_readfirstlane_b32 s6, v0
	s_cmp_eq_u32 s6, 0
	s_cbranch_scc1 .LBB1_105
; %bb.104:                              ;   in Loop: Header=BB1_106 Depth=1
	s_sleep 1
	s_cbranch_execnz .LBB1_106
	s_branch .LBB1_109
	.p2align	6
.LBB1_105:
	s_branch .LBB1_109
.LBB1_106:                              ; =>This Inner Loop Header: Depth=1
	v_mov_b32_e32 v0, 1
	s_and_saveexec_b32 s6, s0
	s_cbranch_execz .LBB1_103
; %bb.107:                              ;   in Loop: Header=BB1_106 Depth=1
	global_load_b32 v0, v[8:9], off offset:20 glc
	s_waitcnt vmcnt(0)
	buffer_gl1_inv
	buffer_gl0_inv
	v_and_b32_e32 v0, 1, v0
	s_branch .LBB1_103
.LBB1_108:
	s_or_b32 exec_lo, exec_lo, s1
	s_waitcnt vmcnt(0) lgkmcnt(0)
	s_setpc_b64 s[30:31]
.LBB1_109:
	global_load_b64 v[0:1], v[6:7], off
	s_and_saveexec_b32 s6, s0
	s_cbranch_execz .LBB1_113
; %bb.110:
	v_mov_b32_e32 v8, 0
	s_clause 0x2
	global_load_b64 v[4:5], v8, s[2:3] offset:40
	global_load_b64 v[9:10], v8, s[2:3] offset:24 glc
	global_load_b64 v[6:7], v8, s[2:3]
	s_waitcnt vmcnt(2)
	v_add_co_u32 v11, vcc_lo, v4, 1
	v_add_co_ci_u32_e32 v12, vcc_lo, 0, v5, vcc_lo
	s_delay_alu instid0(VALU_DEP_2) | instskip(NEXT) | instid1(VALU_DEP_2)
	v_add_co_u32 v2, vcc_lo, v11, s4
	v_add_co_ci_u32_e32 v3, vcc_lo, s5, v12, vcc_lo
	s_delay_alu instid0(VALU_DEP_1) | instskip(SKIP_1) | instid1(VALU_DEP_1)
	v_cmp_eq_u64_e32 vcc_lo, 0, v[2:3]
	v_dual_cndmask_b32 v3, v3, v12 :: v_dual_cndmask_b32 v2, v2, v11
	v_and_b32_e32 v5, v3, v5
	s_delay_alu instid0(VALU_DEP_2) | instskip(NEXT) | instid1(VALU_DEP_2)
	v_and_b32_e32 v4, v2, v4
	v_mul_lo_u32 v5, v5, 24
	s_delay_alu instid0(VALU_DEP_2) | instskip(SKIP_1) | instid1(VALU_DEP_2)
	v_mul_hi_u32 v11, v4, 24
	v_mul_lo_u32 v4, v4, 24
	v_add_nc_u32_e32 v5, v11, v5
	s_waitcnt vmcnt(0)
	s_delay_alu instid0(VALU_DEP_2) | instskip(SKIP_1) | instid1(VALU_DEP_3)
	v_add_co_u32 v6, vcc_lo, v6, v4
	v_mov_b32_e32 v4, v9
	v_add_co_ci_u32_e32 v7, vcc_lo, v7, v5, vcc_lo
	v_mov_b32_e32 v5, v10
	global_store_b64 v[6:7], v[9:10], off
	s_waitcnt_vscnt null, 0x0
	global_atomic_cmpswap_b64 v[4:5], v8, v[2:5], s[2:3] offset:24 glc
	s_waitcnt vmcnt(0)
	v_cmp_ne_u64_e32 vcc_lo, v[4:5], v[9:10]
	s_and_b32 exec_lo, exec_lo, vcc_lo
	s_cbranch_execz .LBB1_113
; %bb.111:
	s_mov_b32 s0, 0
.LBB1_112:                              ; =>This Inner Loop Header: Depth=1
	s_sleep 1
	global_store_b64 v[6:7], v[4:5], off
	s_waitcnt_vscnt null, 0x0
	global_atomic_cmpswap_b64 v[9:10], v8, v[2:5], s[2:3] offset:24 glc
	s_waitcnt vmcnt(0)
	v_cmp_eq_u64_e32 vcc_lo, v[9:10], v[4:5]
	v_dual_mov_b32 v4, v9 :: v_dual_mov_b32 v5, v10
	s_or_b32 s0, vcc_lo, s0
	s_delay_alu instid0(SALU_CYCLE_1)
	s_and_not1_b32 exec_lo, exec_lo, s0
	s_cbranch_execnz .LBB1_112
.LBB1_113:
	s_or_b32 exec_lo, exec_lo, s6
	s_delay_alu instid0(SALU_CYCLE_1)
	s_or_b32 exec_lo, exec_lo, s1
	s_waitcnt vmcnt(0) lgkmcnt(0)
	s_setpc_b64 s[30:31]
.Lfunc_end1:
	.size	__ockl_printf_append_string_n, .Lfunc_end1-__ockl_printf_append_string_n
                                        ; -- End function
	.section	.AMDGPU.csdata,"",@progbits
; Function info:
; codeLenInByte = 4760
; NumSgprs: 34
; NumVgprs: 36
; ScratchSize: 0
; MemoryBound: 0
	.text
	.p2align	2                               ; -- Begin function __ockl_printf_append_args
	.type	__ockl_printf_append_args,@function
__ockl_printf_append_args:              ; @__ockl_printf_append_args
; %bb.0:
	s_waitcnt vmcnt(0) expcnt(0) lgkmcnt(0)
	s_load_b64 s[2:3], s[8:9], 0x50
	v_mbcnt_lo_u32_b32 v15, -1, 0
	v_mov_b32_e32 v11, 0
	v_mov_b32_e32 v12, 0
	s_delay_alu instid0(VALU_DEP_3) | instskip(NEXT) | instid1(VALU_DEP_1)
	v_readfirstlane_b32 s0, v15
	v_cmp_eq_u32_e64 s0, s0, v15
	s_delay_alu instid0(VALU_DEP_1)
	s_and_saveexec_b32 s1, s0
	s_cbranch_execz .LBB2_6
; %bb.1:
	v_mov_b32_e32 v5, 0
	s_mov_b32 s4, exec_lo
	s_waitcnt lgkmcnt(0)
	global_load_b64 v[8:9], v5, s[2:3] offset:24 glc
	s_waitcnt vmcnt(0)
	buffer_gl1_inv
	buffer_gl0_inv
	s_clause 0x1
	global_load_b64 v[6:7], v5, s[2:3] offset:40
	global_load_b64 v[10:11], v5, s[2:3]
	s_waitcnt vmcnt(1)
	v_and_b32_e32 v6, v6, v8
	v_and_b32_e32 v7, v7, v9
	s_delay_alu instid0(VALU_DEP_2) | instskip(NEXT) | instid1(VALU_DEP_2)
	v_mul_hi_u32 v12, v6, 24
	v_mul_lo_u32 v7, v7, 24
	v_mul_lo_u32 v6, v6, 24
	s_delay_alu instid0(VALU_DEP_2) | instskip(SKIP_1) | instid1(VALU_DEP_2)
	v_add_nc_u32_e32 v7, v12, v7
	s_waitcnt vmcnt(0)
	v_add_co_u32 v6, vcc_lo, v10, v6
	s_delay_alu instid0(VALU_DEP_2)
	v_add_co_ci_u32_e32 v7, vcc_lo, v11, v7, vcc_lo
	global_load_b64 v[6:7], v[6:7], off glc
	s_waitcnt vmcnt(0)
	global_atomic_cmpswap_b64 v[11:12], v5, v[6:9], s[2:3] offset:24 glc
	s_waitcnt vmcnt(0)
	buffer_gl1_inv
	buffer_gl0_inv
	v_cmpx_ne_u64_e64 v[11:12], v[8:9]
	s_cbranch_execz .LBB2_5
; %bb.2:
	s_mov_b32 s5, 0
	.p2align	6
.LBB2_3:                                ; =>This Inner Loop Header: Depth=1
	s_sleep 1
	s_clause 0x1
	global_load_b64 v[6:7], v5, s[2:3] offset:40
	global_load_b64 v[13:14], v5, s[2:3]
	v_dual_mov_b32 v8, v11 :: v_dual_mov_b32 v9, v12
	s_waitcnt vmcnt(1)
	s_delay_alu instid0(VALU_DEP_1) | instskip(NEXT) | instid1(VALU_DEP_2)
	v_and_b32_e32 v6, v6, v8
	v_and_b32_e32 v7, v7, v9
	s_waitcnt vmcnt(0)
	s_delay_alu instid0(VALU_DEP_2) | instskip(NEXT) | instid1(VALU_DEP_1)
	v_mad_u64_u32 v[10:11], null, v6, 24, v[13:14]
	v_mov_b32_e32 v6, v11
	s_delay_alu instid0(VALU_DEP_1)
	v_mad_u64_u32 v[11:12], null, v7, 24, v[6:7]
	global_load_b64 v[6:7], v[10:11], off glc
	s_waitcnt vmcnt(0)
	global_atomic_cmpswap_b64 v[11:12], v5, v[6:9], s[2:3] offset:24 glc
	s_waitcnt vmcnt(0)
	buffer_gl1_inv
	buffer_gl0_inv
	v_cmp_eq_u64_e32 vcc_lo, v[11:12], v[8:9]
	s_or_b32 s5, vcc_lo, s5
	s_delay_alu instid0(SALU_CYCLE_1)
	s_and_not1_b32 exec_lo, exec_lo, s5
	s_cbranch_execnz .LBB2_3
; %bb.4:
	s_or_b32 exec_lo, exec_lo, s5
.LBB2_5:
	s_delay_alu instid0(SALU_CYCLE_1)
	s_or_b32 exec_lo, exec_lo, s4
.LBB2_6:
	s_delay_alu instid0(SALU_CYCLE_1)
	s_or_b32 exec_lo, exec_lo, s1
	v_mov_b32_e32 v10, 0
	v_readfirstlane_b32 s4, v11
	v_readfirstlane_b32 s5, v12
	s_mov_b32 s1, exec_lo
	s_waitcnt lgkmcnt(0)
	s_clause 0x1
	global_load_b64 v[13:14], v10, s[2:3] offset:40
	global_load_b128 v[5:8], v10, s[2:3]
	s_waitcnt vmcnt(1)
	v_readfirstlane_b32 s6, v13
	v_readfirstlane_b32 s7, v14
	s_delay_alu instid0(VALU_DEP_1) | instskip(NEXT) | instid1(SALU_CYCLE_1)
	s_and_b64 s[6:7], s[4:5], s[6:7]
	s_mul_i32 s8, s7, 24
	s_mul_hi_u32 s9, s6, 24
	s_mul_i32 s10, s6, 24
	s_add_i32 s9, s9, s8
	s_waitcnt vmcnt(0)
	v_add_co_u32 v13, vcc_lo, v5, s10
	v_add_co_ci_u32_e32 v14, vcc_lo, s9, v6, vcc_lo
	s_and_saveexec_b32 s8, s0
	s_cbranch_execz .LBB2_8
; %bb.7:
	v_dual_mov_b32 v9, s1 :: v_dual_mov_b32 v12, 1
	v_mov_b32_e32 v11, 2
	global_store_b128 v[13:14], v[9:12], off offset:8
.LBB2_8:
	s_or_b32 exec_lo, exec_lo, s8
	v_or_b32_e32 v9, 2, v0
	v_cmp_eq_u32_e32 vcc_lo, 0, v4
	s_lshl_b64 s[6:7], s[6:7], 12
	s_mov_b32 s8, 0
	v_lshlrev_b32_e32 v11, 6, v15
	s_mov_b32 s9, s8
	v_cndmask_b32_e32 v0, v9, v0, vcc_lo
	v_add_co_u32 v4, vcc_lo, v7, s6
	v_add_co_ci_u32_e32 v7, vcc_lo, s7, v8, vcc_lo
	s_mov_b32 s10, s8
	s_mov_b32 s11, s8
	v_and_or_b32 v0, 0xffffff1f, v0, 32
	v_readfirstlane_b32 s6, v4
	v_readfirstlane_b32 s7, v7
	v_dual_mov_b32 v7, s8 :: v_dual_mov_b32 v8, s9
	v_dual_mov_b32 v9, s10 :: v_dual_mov_b32 v10, s11
	s_clause 0x3
	global_store_b128 v11, v[0:3], s[6:7]
	global_store_b128 v11, v[7:10], s[6:7] offset:16
	global_store_b128 v11, v[7:10], s[6:7] offset:32
	;; [unrolled: 1-line block ×3, first 2 shown]
	s_and_saveexec_b32 s1, s0
	s_cbranch_execz .LBB2_16
; %bb.9:
	v_mov_b32_e32 v7, 0
	v_mov_b32_e32 v9, s5
	s_mov_b32 s6, exec_lo
	s_clause 0x1
	global_load_b64 v[10:11], v7, s[2:3] offset:32 glc
	global_load_b64 v[0:1], v7, s[2:3] offset:40
	v_mov_b32_e32 v8, s4
	s_waitcnt vmcnt(0)
	v_and_b32_e32 v0, s4, v0
	v_and_b32_e32 v1, s5, v1
	s_delay_alu instid0(VALU_DEP_2) | instskip(NEXT) | instid1(VALU_DEP_2)
	v_mul_hi_u32 v2, v0, 24
	v_mul_lo_u32 v1, v1, 24
	v_mul_lo_u32 v0, v0, 24
	s_delay_alu instid0(VALU_DEP_2) | instskip(NEXT) | instid1(VALU_DEP_2)
	v_add_nc_u32_e32 v1, v2, v1
	v_add_co_u32 v4, vcc_lo, v5, v0
	s_delay_alu instid0(VALU_DEP_2)
	v_add_co_ci_u32_e32 v5, vcc_lo, v6, v1, vcc_lo
	global_store_b64 v[4:5], v[10:11], off
	s_waitcnt_vscnt null, 0x0
	global_atomic_cmpswap_b64 v[2:3], v7, v[8:11], s[2:3] offset:32 glc
	s_waitcnt vmcnt(0)
	v_cmpx_ne_u64_e64 v[2:3], v[10:11]
	s_cbranch_execz .LBB2_12
; %bb.10:
	s_mov_b32 s7, 0
.LBB2_11:                               ; =>This Inner Loop Header: Depth=1
	v_dual_mov_b32 v0, s4 :: v_dual_mov_b32 v1, s5
	s_sleep 1
	global_store_b64 v[4:5], v[2:3], off
	s_waitcnt_vscnt null, 0x0
	global_atomic_cmpswap_b64 v[0:1], v7, v[0:3], s[2:3] offset:32 glc
	s_waitcnt vmcnt(0)
	v_cmp_eq_u64_e32 vcc_lo, v[0:1], v[2:3]
	v_dual_mov_b32 v3, v1 :: v_dual_mov_b32 v2, v0
	s_or_b32 s7, vcc_lo, s7
	s_delay_alu instid0(SALU_CYCLE_1)
	s_and_not1_b32 exec_lo, exec_lo, s7
	s_cbranch_execnz .LBB2_11
.LBB2_12:
	s_or_b32 exec_lo, exec_lo, s6
	v_mov_b32_e32 v3, 0
	s_mov_b32 s7, exec_lo
	s_mov_b32 s6, exec_lo
	v_mbcnt_lo_u32_b32 v2, s7, 0
	global_load_b64 v[0:1], v3, s[2:3] offset:16
	v_cmpx_eq_u32_e32 0, v2
	s_cbranch_execz .LBB2_14
; %bb.13:
	s_bcnt1_i32_b32 s7, s7
	s_delay_alu instid0(SALU_CYCLE_1)
	v_mov_b32_e32 v2, s7
	s_waitcnt vmcnt(0)
	global_atomic_add_u64 v[0:1], v[2:3], off offset:8
.LBB2_14:
	s_or_b32 exec_lo, exec_lo, s6
	s_waitcnt vmcnt(0)
	global_load_b64 v[2:3], v[0:1], off offset:16
	s_waitcnt vmcnt(0)
	v_cmp_eq_u64_e32 vcc_lo, 0, v[2:3]
	s_cbranch_vccnz .LBB2_16
; %bb.15:
	global_load_b32 v0, v[0:1], off offset:24
	s_waitcnt vmcnt(0)
	v_dual_mov_b32 v1, 0 :: v_dual_and_b32 v4, 0xffffff, v0
	s_waitcnt_vscnt null, 0x0
	global_store_b64 v[2:3], v[0:1], off
	v_readfirstlane_b32 m0, v4
	s_sendmsg sendmsg(MSG_INTERRUPT)
.LBB2_16:
	s_or_b32 exec_lo, exec_lo, s1
	s_branch .LBB2_20
	.p2align	6
.LBB2_17:                               ;   in Loop: Header=BB2_20 Depth=1
	s_or_b32 exec_lo, exec_lo, s1
	s_delay_alu instid0(VALU_DEP_1) | instskip(NEXT) | instid1(VALU_DEP_1)
	v_readfirstlane_b32 s1, v0
	s_cmp_eq_u32 s1, 0
	s_cbranch_scc1 .LBB2_19
; %bb.18:                               ;   in Loop: Header=BB2_20 Depth=1
	s_sleep 1
	s_cbranch_execnz .LBB2_20
	s_branch .LBB2_22
	.p2align	6
.LBB2_19:
	s_branch .LBB2_22
.LBB2_20:                               ; =>This Inner Loop Header: Depth=1
	v_mov_b32_e32 v0, 1
	s_and_saveexec_b32 s1, s0
	s_cbranch_execz .LBB2_17
; %bb.21:                               ;   in Loop: Header=BB2_20 Depth=1
	global_load_b32 v0, v[13:14], off offset:20 glc
	s_waitcnt vmcnt(0)
	buffer_gl1_inv
	buffer_gl0_inv
	v_and_b32_e32 v0, 1, v0
	s_branch .LBB2_17
.LBB2_22:
	s_and_saveexec_b32 s1, s0
	s_cbranch_execz .LBB2_26
; %bb.23:
	v_mov_b32_e32 v6, 0
	s_clause 0x2
	global_load_b64 v[2:3], v6, s[2:3] offset:40
	global_load_b64 v[7:8], v6, s[2:3] offset:24 glc
	global_load_b64 v[4:5], v6, s[2:3]
	s_waitcnt vmcnt(2)
	v_add_co_u32 v9, vcc_lo, v2, 1
	v_add_co_ci_u32_e32 v10, vcc_lo, 0, v3, vcc_lo
	s_delay_alu instid0(VALU_DEP_2) | instskip(NEXT) | instid1(VALU_DEP_2)
	v_add_co_u32 v0, vcc_lo, v9, s4
	v_add_co_ci_u32_e32 v1, vcc_lo, s5, v10, vcc_lo
	s_delay_alu instid0(VALU_DEP_1) | instskip(SKIP_1) | instid1(VALU_DEP_1)
	v_cmp_eq_u64_e32 vcc_lo, 0, v[0:1]
	v_dual_cndmask_b32 v1, v1, v10 :: v_dual_cndmask_b32 v0, v0, v9
	v_and_b32_e32 v3, v1, v3
	s_delay_alu instid0(VALU_DEP_2) | instskip(NEXT) | instid1(VALU_DEP_2)
	v_and_b32_e32 v2, v0, v2
	v_mul_lo_u32 v3, v3, 24
	s_delay_alu instid0(VALU_DEP_2) | instskip(SKIP_1) | instid1(VALU_DEP_2)
	v_mul_hi_u32 v9, v2, 24
	v_mul_lo_u32 v2, v2, 24
	v_add_nc_u32_e32 v3, v9, v3
	s_waitcnt vmcnt(0)
	s_delay_alu instid0(VALU_DEP_2) | instskip(SKIP_1) | instid1(VALU_DEP_3)
	v_add_co_u32 v4, vcc_lo, v4, v2
	v_mov_b32_e32 v2, v7
	v_add_co_ci_u32_e32 v5, vcc_lo, v5, v3, vcc_lo
	v_mov_b32_e32 v3, v8
	global_store_b64 v[4:5], v[7:8], off
	s_waitcnt_vscnt null, 0x0
	global_atomic_cmpswap_b64 v[2:3], v6, v[0:3], s[2:3] offset:24 glc
	s_waitcnt vmcnt(0)
	v_cmp_ne_u64_e32 vcc_lo, v[2:3], v[7:8]
	s_and_b32 exec_lo, exec_lo, vcc_lo
	s_cbranch_execz .LBB2_26
; %bb.24:
	s_mov_b32 s0, 0
.LBB2_25:                               ; =>This Inner Loop Header: Depth=1
	s_sleep 1
	global_store_b64 v[4:5], v[2:3], off
	s_waitcnt_vscnt null, 0x0
	global_atomic_cmpswap_b64 v[7:8], v6, v[0:3], s[2:3] offset:24 glc
	s_waitcnt vmcnt(0)
	v_cmp_eq_u64_e32 vcc_lo, v[7:8], v[2:3]
	v_dual_mov_b32 v2, v7 :: v_dual_mov_b32 v3, v8
	s_or_b32 s0, vcc_lo, s0
	s_delay_alu instid0(SALU_CYCLE_1)
	s_and_not1_b32 exec_lo, exec_lo, s0
	s_cbranch_execnz .LBB2_25
.LBB2_26:
	s_or_b32 exec_lo, exec_lo, s1
	s_waitcnt lgkmcnt(0)
	s_setpc_b64 s[30:31]
.Lfunc_end2:
	.size	__ockl_printf_append_args, .Lfunc_end2-__ockl_printf_append_args
                                        ; -- End function
	.section	.AMDGPU.csdata,"",@progbits
; Function info:
; codeLenInByte = 1352
; NumSgprs: 34
; NumVgprs: 16
; ScratchSize: 0
; MemoryBound: 0
	.text
	.p2align	2                               ; -- Begin function _ZL14no_device_codePKciS0_iS0_
	.type	_ZL14no_device_codePKciS0_iS0_,@function
_ZL14no_device_codePKciS0_iS0_:         ; @_ZL14no_device_codePKciS0_iS0_
; %bb.0:
	s_waitcnt vmcnt(0) expcnt(0) lgkmcnt(0)
	s_mov_b32 s20, s33
	s_mov_b32 s33, s32
	s_xor_saveexec_b32 s0, -1
	scratch_store_b32 off, v36, s33         ; 4-byte Folded Spill
	s_mov_b32 exec_lo, s0
	v_writelane_b32 v36, s30, 0
	s_add_i32 s32, s32, 16
	v_writelane_b32 v36, s31, 1
	s_load_b64 s[2:3], s[8:9], 0x50
	v_mbcnt_lo_u32_b32 v33, -1, 0
	v_mov_b32_e32 v7, 0
	v_mov_b32_e32 v8, 0
	s_delay_alu instid0(VALU_DEP_3) | instskip(NEXT) | instid1(VALU_DEP_1)
	v_readfirstlane_b32 s0, v33
	v_cmp_eq_u32_e64 s0, s0, v33
	s_delay_alu instid0(VALU_DEP_1)
	s_and_saveexec_b32 s1, s0
	s_cbranch_execz .LBB3_6
; %bb.1:
	v_mov_b32_e32 v1, 0
	s_mov_b32 s4, exec_lo
	s_waitcnt lgkmcnt(0)
	global_load_b64 v[4:5], v1, s[2:3] offset:24 glc
	s_waitcnt vmcnt(0)
	buffer_gl1_inv
	buffer_gl0_inv
	s_clause 0x1
	global_load_b64 v[2:3], v1, s[2:3] offset:40
	global_load_b64 v[6:7], v1, s[2:3]
	s_waitcnt vmcnt(1)
	v_and_b32_e32 v2, v2, v4
	v_and_b32_e32 v3, v3, v5
	s_delay_alu instid0(VALU_DEP_2) | instskip(NEXT) | instid1(VALU_DEP_2)
	v_mul_hi_u32 v8, v2, 24
	v_mul_lo_u32 v3, v3, 24
	v_mul_lo_u32 v2, v2, 24
	s_delay_alu instid0(VALU_DEP_2) | instskip(SKIP_1) | instid1(VALU_DEP_2)
	v_add_nc_u32_e32 v3, v8, v3
	s_waitcnt vmcnt(0)
	v_add_co_u32 v2, vcc_lo, v6, v2
	s_delay_alu instid0(VALU_DEP_2)
	v_add_co_ci_u32_e32 v3, vcc_lo, v7, v3, vcc_lo
	global_load_b64 v[2:3], v[2:3], off glc
	s_waitcnt vmcnt(0)
	global_atomic_cmpswap_b64 v[7:8], v1, v[2:5], s[2:3] offset:24 glc
	s_waitcnt vmcnt(0)
	buffer_gl1_inv
	buffer_gl0_inv
	v_cmpx_ne_u64_e64 v[7:8], v[4:5]
	s_cbranch_execz .LBB3_5
; %bb.2:
	s_mov_b32 s5, 0
	.p2align	6
.LBB3_3:                                ; =>This Inner Loop Header: Depth=1
	s_sleep 1
	s_clause 0x1
	global_load_b64 v[2:3], v1, s[2:3] offset:40
	global_load_b64 v[9:10], v1, s[2:3]
	v_dual_mov_b32 v4, v7 :: v_dual_mov_b32 v5, v8
	s_waitcnt vmcnt(1)
	s_delay_alu instid0(VALU_DEP_1) | instskip(NEXT) | instid1(VALU_DEP_2)
	v_and_b32_e32 v2, v2, v4
	v_and_b32_e32 v3, v3, v5
	s_waitcnt vmcnt(0)
	s_delay_alu instid0(VALU_DEP_2) | instskip(NEXT) | instid1(VALU_DEP_1)
	v_mad_u64_u32 v[6:7], null, v2, 24, v[9:10]
	v_mov_b32_e32 v2, v7
	s_delay_alu instid0(VALU_DEP_1)
	v_mad_u64_u32 v[7:8], null, v3, 24, v[2:3]
	global_load_b64 v[2:3], v[6:7], off glc
	s_waitcnt vmcnt(0)
	global_atomic_cmpswap_b64 v[7:8], v1, v[2:5], s[2:3] offset:24 glc
	s_waitcnt vmcnt(0)
	buffer_gl1_inv
	buffer_gl0_inv
	v_cmp_eq_u64_e32 vcc_lo, v[7:8], v[4:5]
	s_or_b32 s5, vcc_lo, s5
	s_delay_alu instid0(SALU_CYCLE_1)
	s_and_not1_b32 exec_lo, exec_lo, s5
	s_cbranch_execnz .LBB3_3
; %bb.4:
	s_or_b32 exec_lo, exec_lo, s5
.LBB3_5:
	s_delay_alu instid0(SALU_CYCLE_1)
	s_or_b32 exec_lo, exec_lo, s4
.LBB3_6:
	s_delay_alu instid0(SALU_CYCLE_1)
	s_or_b32 exec_lo, exec_lo, s1
	v_mov_b32_e32 v6, 0
	v_readfirstlane_b32 s4, v7
	v_readfirstlane_b32 s5, v8
	s_mov_b32 s1, exec_lo
	s_waitcnt lgkmcnt(0)
	s_clause 0x1
	global_load_b64 v[9:10], v6, s[2:3] offset:40
	global_load_b128 v[1:4], v6, s[2:3]
	s_waitcnt vmcnt(1)
	v_readfirstlane_b32 s6, v9
	v_readfirstlane_b32 s7, v10
	s_delay_alu instid0(VALU_DEP_1) | instskip(NEXT) | instid1(SALU_CYCLE_1)
	s_and_b64 s[6:7], s[4:5], s[6:7]
	s_mul_i32 s10, s7, 24
	s_mul_hi_u32 s11, s6, 24
	s_mul_i32 s12, s6, 24
	s_add_i32 s11, s11, s10
	s_waitcnt vmcnt(0)
	v_add_co_u32 v9, vcc_lo, v1, s12
	v_add_co_ci_u32_e32 v10, vcc_lo, s11, v2, vcc_lo
	s_and_saveexec_b32 s10, s0
	s_cbranch_execz .LBB3_8
; %bb.7:
	v_dual_mov_b32 v5, s1 :: v_dual_mov_b32 v8, 1
	v_mov_b32_e32 v7, 2
	global_store_b128 v[9:10], v[5:8], off offset:8
.LBB3_8:
	s_or_b32 exec_lo, exec_lo, s10
	s_lshl_b64 s[6:7], s[6:7], 12
	v_dual_mov_b32 v5, 33 :: v_dual_lshlrev_b32 v32, 6, v33
	v_add_co_u32 v3, vcc_lo, v3, s6
	v_add_co_ci_u32_e32 v4, vcc_lo, s7, v4, vcc_lo
	s_mov_b32 s12, 0
	s_delay_alu instid0(VALU_DEP_2)
	v_add_co_u32 v11, vcc_lo, v3, v32
	s_mov_b32 s15, s12
	s_mov_b32 s13, s12
	;; [unrolled: 1-line block ×3, first 2 shown]
	v_dual_mov_b32 v7, v6 :: v_dual_mov_b32 v16, s15
	v_dual_mov_b32 v8, v6 :: v_dual_mov_b32 v15, s14
	v_readfirstlane_b32 s6, v3
	v_readfirstlane_b32 s7, v4
	v_add_co_ci_u32_e32 v12, vcc_lo, 0, v4, vcc_lo
	v_dual_mov_b32 v14, s13 :: v_dual_mov_b32 v13, s12
	s_clause 0x3
	global_store_b128 v32, v[5:8], s[6:7]
	global_store_b128 v32, v[13:16], s[6:7] offset:16
	global_store_b128 v32, v[13:16], s[6:7] offset:32
	global_store_b128 v32, v[13:16], s[6:7] offset:48
	s_and_saveexec_b32 s1, s0
	s_cbranch_execz .LBB3_16
; %bb.9:
	v_mov_b32_e32 v7, 0
	s_mov_b32 s6, exec_lo
	s_clause 0x1
	global_load_b64 v[15:16], v7, s[2:3] offset:32 glc
	global_load_b64 v[3:4], v7, s[2:3] offset:40
	v_dual_mov_b32 v14, s5 :: v_dual_mov_b32 v13, s4
	s_waitcnt vmcnt(0)
	v_and_b32_e32 v4, s5, v4
	v_and_b32_e32 v3, s4, v3
	s_delay_alu instid0(VALU_DEP_2) | instskip(NEXT) | instid1(VALU_DEP_2)
	v_mul_lo_u32 v4, v4, 24
	v_mul_hi_u32 v5, v3, 24
	v_mul_lo_u32 v3, v3, 24
	s_delay_alu instid0(VALU_DEP_2) | instskip(NEXT) | instid1(VALU_DEP_2)
	v_add_nc_u32_e32 v4, v5, v4
	v_add_co_u32 v5, vcc_lo, v1, v3
	s_delay_alu instid0(VALU_DEP_2)
	v_add_co_ci_u32_e32 v6, vcc_lo, v2, v4, vcc_lo
	global_store_b64 v[5:6], v[15:16], off
	s_waitcnt_vscnt null, 0x0
	global_atomic_cmpswap_b64 v[3:4], v7, v[13:16], s[2:3] offset:32 glc
	s_waitcnt vmcnt(0)
	v_cmpx_ne_u64_e64 v[3:4], v[15:16]
	s_cbranch_execz .LBB3_12
; %bb.10:
	s_mov_b32 s7, 0
.LBB3_11:                               ; =>This Inner Loop Header: Depth=1
	v_dual_mov_b32 v1, s4 :: v_dual_mov_b32 v2, s5
	s_sleep 1
	global_store_b64 v[5:6], v[3:4], off
	s_waitcnt_vscnt null, 0x0
	global_atomic_cmpswap_b64 v[1:2], v7, v[1:4], s[2:3] offset:32 glc
	s_waitcnt vmcnt(0)
	v_cmp_eq_u64_e32 vcc_lo, v[1:2], v[3:4]
	v_dual_mov_b32 v4, v2 :: v_dual_mov_b32 v3, v1
	s_or_b32 s7, vcc_lo, s7
	s_delay_alu instid0(SALU_CYCLE_1)
	s_and_not1_b32 exec_lo, exec_lo, s7
	s_cbranch_execnz .LBB3_11
.LBB3_12:
	s_or_b32 exec_lo, exec_lo, s6
	v_mov_b32_e32 v4, 0
	s_mov_b32 s7, exec_lo
	s_mov_b32 s6, exec_lo
	v_mbcnt_lo_u32_b32 v3, s7, 0
	global_load_b64 v[1:2], v4, s[2:3] offset:16
	v_cmpx_eq_u32_e32 0, v3
	s_cbranch_execz .LBB3_14
; %bb.13:
	s_bcnt1_i32_b32 s7, s7
	s_delay_alu instid0(SALU_CYCLE_1)
	v_mov_b32_e32 v3, s7
	s_waitcnt vmcnt(0)
	global_atomic_add_u64 v[1:2], v[3:4], off offset:8
.LBB3_14:
	s_or_b32 exec_lo, exec_lo, s6
	s_waitcnt vmcnt(0)
	global_load_b64 v[3:4], v[1:2], off offset:16
	s_waitcnt vmcnt(0)
	v_cmp_eq_u64_e32 vcc_lo, 0, v[3:4]
	s_cbranch_vccnz .LBB3_16
; %bb.15:
	global_load_b32 v1, v[1:2], off offset:24
	s_waitcnt vmcnt(0)
	v_dual_mov_b32 v2, 0 :: v_dual_and_b32 v5, 0xffffff, v1
	s_waitcnt_vscnt null, 0x0
	global_store_b64 v[3:4], v[1:2], off
	v_readfirstlane_b32 m0, v5
	s_sendmsg sendmsg(MSG_INTERRUPT)
.LBB3_16:
	s_or_b32 exec_lo, exec_lo, s1
	s_branch .LBB3_20
	.p2align	6
.LBB3_17:                               ;   in Loop: Header=BB3_20 Depth=1
	s_or_b32 exec_lo, exec_lo, s1
	s_delay_alu instid0(VALU_DEP_1) | instskip(NEXT) | instid1(VALU_DEP_1)
	v_readfirstlane_b32 s1, v1
	s_cmp_eq_u32 s1, 0
	s_cbranch_scc1 .LBB3_19
; %bb.18:                               ;   in Loop: Header=BB3_20 Depth=1
	s_sleep 1
	s_cbranch_execnz .LBB3_20
	s_branch .LBB3_22
	.p2align	6
.LBB3_19:
	s_branch .LBB3_22
.LBB3_20:                               ; =>This Inner Loop Header: Depth=1
	v_mov_b32_e32 v1, 1
	s_and_saveexec_b32 s1, s0
	s_cbranch_execz .LBB3_17
; %bb.21:                               ;   in Loop: Header=BB3_20 Depth=1
	global_load_b32 v1, v[9:10], off offset:20 glc
	s_waitcnt vmcnt(0)
	buffer_gl1_inv
	buffer_gl0_inv
	v_and_b32_e32 v1, 1, v1
	s_branch .LBB3_17
.LBB3_22:
	global_load_b64 v[5:6], v[11:12], off
	s_and_saveexec_b32 s1, s0
	s_cbranch_execz .LBB3_26
; %bb.23:
	v_mov_b32_e32 v9, 0
	s_clause 0x2
	global_load_b64 v[3:4], v9, s[2:3] offset:40
	global_load_b64 v[10:11], v9, s[2:3] offset:24 glc
	global_load_b64 v[7:8], v9, s[2:3]
	s_waitcnt vmcnt(2)
	v_add_co_u32 v12, vcc_lo, v3, 1
	v_add_co_ci_u32_e32 v13, vcc_lo, 0, v4, vcc_lo
	s_delay_alu instid0(VALU_DEP_2) | instskip(NEXT) | instid1(VALU_DEP_2)
	v_add_co_u32 v1, vcc_lo, v12, s4
	v_add_co_ci_u32_e32 v2, vcc_lo, s5, v13, vcc_lo
	s_delay_alu instid0(VALU_DEP_1) | instskip(SKIP_1) | instid1(VALU_DEP_1)
	v_cmp_eq_u64_e32 vcc_lo, 0, v[1:2]
	v_dual_cndmask_b32 v2, v2, v13 :: v_dual_cndmask_b32 v1, v1, v12
	v_and_b32_e32 v4, v2, v4
	s_delay_alu instid0(VALU_DEP_2) | instskip(NEXT) | instid1(VALU_DEP_2)
	v_and_b32_e32 v3, v1, v3
	v_mul_lo_u32 v4, v4, 24
	s_delay_alu instid0(VALU_DEP_2) | instskip(SKIP_1) | instid1(VALU_DEP_2)
	v_mul_hi_u32 v12, v3, 24
	v_mul_lo_u32 v3, v3, 24
	v_add_nc_u32_e32 v4, v12, v4
	s_waitcnt vmcnt(0)
	s_delay_alu instid0(VALU_DEP_2) | instskip(SKIP_1) | instid1(VALU_DEP_3)
	v_add_co_u32 v7, vcc_lo, v7, v3
	v_mov_b32_e32 v3, v10
	v_add_co_ci_u32_e32 v8, vcc_lo, v8, v4, vcc_lo
	v_mov_b32_e32 v4, v11
	global_store_b64 v[7:8], v[10:11], off
	s_waitcnt_vscnt null, 0x0
	global_atomic_cmpswap_b64 v[3:4], v9, v[1:4], s[2:3] offset:24 glc
	s_waitcnt vmcnt(0)
	v_cmp_ne_u64_e32 vcc_lo, v[3:4], v[10:11]
	s_and_b32 exec_lo, exec_lo, vcc_lo
	s_cbranch_execz .LBB3_26
; %bb.24:
	s_mov_b32 s0, 0
.LBB3_25:                               ; =>This Inner Loop Header: Depth=1
	s_sleep 1
	global_store_b64 v[7:8], v[3:4], off
	s_waitcnt_vscnt null, 0x0
	global_atomic_cmpswap_b64 v[10:11], v9, v[1:4], s[2:3] offset:24 glc
	s_waitcnt vmcnt(0)
	v_cmp_eq_u64_e32 vcc_lo, v[10:11], v[3:4]
	v_dual_mov_b32 v3, v10 :: v_dual_mov_b32 v4, v11
	s_or_b32 s0, vcc_lo, s0
	s_delay_alu instid0(SALU_CYCLE_1)
	s_and_not1_b32 exec_lo, exec_lo, s0
	s_cbranch_execnz .LBB3_25
.LBB3_26:
	s_or_b32 exec_lo, exec_lo, s1
	s_getpc_b64 s[4:5]
	s_add_u32 s4, s4, .str.3@rel32@lo+4
	s_addc_u32 s5, s5, .str.3@rel32@hi+12
	s_delay_alu instid0(SALU_CYCLE_1)
	s_cmp_lg_u64 s[4:5], 0
	s_cbranch_scc0 .LBB3_104
; %bb.27:
	s_waitcnt vmcnt(0)
	v_dual_mov_b32 v8, 0 :: v_dual_and_b32 v29, 2, v5
	v_dual_mov_b32 v2, v6 :: v_dual_and_b32 v1, -3, v5
	v_dual_mov_b32 v9, 2 :: v_dual_mov_b32 v10, 1
	s_mov_b64 s[6:7], 0x4d
	s_branch .LBB3_29
.LBB3_28:                               ;   in Loop: Header=BB3_29 Depth=1
	s_or_b32 exec_lo, exec_lo, s1
	s_sub_u32 s6, s6, s10
	s_subb_u32 s7, s7, s11
	s_add_u32 s4, s4, s10
	s_addc_u32 s5, s5, s11
	s_cmp_lg_u64 s[6:7], 0
	s_cbranch_scc0 .LBB3_105
.LBB3_29:                               ; =>This Loop Header: Depth=1
                                        ;     Child Loop BB3_38 Depth 2
                                        ;     Child Loop BB3_34 Depth 2
	;; [unrolled: 1-line block ×11, first 2 shown]
	v_cmp_lt_u64_e64 s0, s[6:7], 56
	v_cmp_gt_u64_e64 s1, s[6:7], 7
                                        ; implicit-def: $vgpr3_vgpr4
                                        ; implicit-def: $sgpr16
	s_delay_alu instid0(VALU_DEP_2) | instskip(SKIP_2) | instid1(VALU_DEP_1)
	s_and_b32 s0, s0, exec_lo
	s_cselect_b32 s11, s7, 0
	s_cselect_b32 s10, s6, 56
	s_and_b32 vcc_lo, exec_lo, s1
	s_mov_b32 s0, -1
	s_cbranch_vccz .LBB3_36
; %bb.30:                               ;   in Loop: Header=BB3_29 Depth=1
	s_and_not1_b32 vcc_lo, exec_lo, s0
	s_mov_b64 s[0:1], s[4:5]
	s_cbranch_vccz .LBB3_40
.LBB3_31:                               ;   in Loop: Header=BB3_29 Depth=1
	s_cmp_gt_u32 s16, 7
	s_cbranch_scc1 .LBB3_41
.LBB3_32:                               ;   in Loop: Header=BB3_29 Depth=1
	v_mov_b32_e32 v11, 0
	v_mov_b32_e32 v12, 0
	s_cmp_eq_u32 s16, 0
	s_cbranch_scc1 .LBB3_35
; %bb.33:                               ;   in Loop: Header=BB3_29 Depth=1
	s_mov_b64 s[12:13], 0
	s_mov_b64 s[14:15], 0
.LBB3_34:                               ;   Parent Loop BB3_29 Depth=1
                                        ; =>  This Inner Loop Header: Depth=2
	s_delay_alu instid0(SALU_CYCLE_1)
	s_add_u32 s18, s0, s14
	s_addc_u32 s19, s1, s15
	s_add_u32 s14, s14, 1
	global_load_u8 v7, v8, s[18:19]
	s_addc_u32 s15, s15, 0
	s_waitcnt vmcnt(0)
	v_and_b32_e32 v7, 0xffff, v7
	s_delay_alu instid0(VALU_DEP_1) | instskip(SKIP_3) | instid1(VALU_DEP_1)
	v_lshlrev_b64 v[13:14], s12, v[7:8]
	s_add_u32 s12, s12, 8
	s_addc_u32 s13, s13, 0
	s_cmp_lg_u32 s16, s14
	v_or_b32_e32 v11, v13, v11
	s_delay_alu instid0(VALU_DEP_2)
	v_or_b32_e32 v12, v14, v12
	s_cbranch_scc1 .LBB3_34
.LBB3_35:                               ;   in Loop: Header=BB3_29 Depth=1
	s_mov_b32 s17, 0
	s_cbranch_execz .LBB3_42
	s_branch .LBB3_43
.LBB3_36:                               ;   in Loop: Header=BB3_29 Depth=1
	s_waitcnt vmcnt(0)
	v_mov_b32_e32 v3, 0
	v_mov_b32_e32 v4, 0
	s_cmp_eq_u64 s[6:7], 0
	s_mov_b64 s[0:1], 0
	s_cbranch_scc1 .LBB3_39
; %bb.37:                               ;   in Loop: Header=BB3_29 Depth=1
	v_mov_b32_e32 v3, 0
	v_mov_b32_e32 v4, 0
	s_lshl_b64 s[12:13], s[10:11], 3
	s_mov_b64 s[14:15], s[4:5]
.LBB3_38:                               ;   Parent Loop BB3_29 Depth=1
                                        ; =>  This Inner Loop Header: Depth=2
	global_load_u8 v7, v8, s[14:15]
	s_waitcnt vmcnt(0)
	v_and_b32_e32 v7, 0xffff, v7
	s_delay_alu instid0(VALU_DEP_1)
	v_lshlrev_b64 v[11:12], s0, v[7:8]
	s_add_u32 s0, s0, 8
	s_addc_u32 s1, s1, 0
	s_add_u32 s14, s14, 1
	s_addc_u32 s15, s15, 0
	s_cmp_lg_u32 s12, s0
	v_or_b32_e32 v3, v11, v3
	v_or_b32_e32 v4, v12, v4
	s_cbranch_scc1 .LBB3_38
.LBB3_39:                               ;   in Loop: Header=BB3_29 Depth=1
	s_mov_b32 s16, 0
	s_mov_b64 s[0:1], s[4:5]
	s_cbranch_execnz .LBB3_31
.LBB3_40:                               ;   in Loop: Header=BB3_29 Depth=1
	global_load_b64 v[3:4], v8, s[4:5]
	s_add_i32 s16, s10, -8
	s_add_u32 s0, s4, 8
	s_addc_u32 s1, s5, 0
	s_cmp_gt_u32 s16, 7
	s_cbranch_scc0 .LBB3_32
.LBB3_41:                               ;   in Loop: Header=BB3_29 Depth=1
                                        ; implicit-def: $vgpr11_vgpr12
                                        ; implicit-def: $sgpr17
.LBB3_42:                               ;   in Loop: Header=BB3_29 Depth=1
	global_load_b64 v[11:12], v8, s[0:1]
	s_add_i32 s17, s16, -8
	s_add_u32 s0, s0, 8
	s_addc_u32 s1, s1, 0
.LBB3_43:                               ;   in Loop: Header=BB3_29 Depth=1
	s_cmp_gt_u32 s17, 7
	s_cbranch_scc1 .LBB3_48
; %bb.44:                               ;   in Loop: Header=BB3_29 Depth=1
	v_mov_b32_e32 v13, 0
	v_mov_b32_e32 v14, 0
	s_cmp_eq_u32 s17, 0
	s_cbranch_scc1 .LBB3_47
; %bb.45:                               ;   in Loop: Header=BB3_29 Depth=1
	s_mov_b64 s[12:13], 0
	s_mov_b64 s[14:15], 0
.LBB3_46:                               ;   Parent Loop BB3_29 Depth=1
                                        ; =>  This Inner Loop Header: Depth=2
	s_delay_alu instid0(SALU_CYCLE_1)
	s_add_u32 s18, s0, s14
	s_addc_u32 s19, s1, s15
	s_add_u32 s14, s14, 1
	global_load_u8 v7, v8, s[18:19]
	s_addc_u32 s15, s15, 0
	s_waitcnt vmcnt(0)
	v_and_b32_e32 v7, 0xffff, v7
	s_delay_alu instid0(VALU_DEP_1) | instskip(SKIP_3) | instid1(VALU_DEP_1)
	v_lshlrev_b64 v[15:16], s12, v[7:8]
	s_add_u32 s12, s12, 8
	s_addc_u32 s13, s13, 0
	s_cmp_lg_u32 s17, s14
	v_or_b32_e32 v13, v15, v13
	s_delay_alu instid0(VALU_DEP_2)
	v_or_b32_e32 v14, v16, v14
	s_cbranch_scc1 .LBB3_46
.LBB3_47:                               ;   in Loop: Header=BB3_29 Depth=1
	s_mov_b32 s16, 0
	s_cbranch_execz .LBB3_49
	s_branch .LBB3_50
.LBB3_48:                               ;   in Loop: Header=BB3_29 Depth=1
                                        ; implicit-def: $sgpr16
.LBB3_49:                               ;   in Loop: Header=BB3_29 Depth=1
	global_load_b64 v[13:14], v8, s[0:1]
	s_add_i32 s16, s17, -8
	s_add_u32 s0, s0, 8
	s_addc_u32 s1, s1, 0
.LBB3_50:                               ;   in Loop: Header=BB3_29 Depth=1
	s_cmp_gt_u32 s16, 7
	s_cbranch_scc1 .LBB3_55
; %bb.51:                               ;   in Loop: Header=BB3_29 Depth=1
	v_mov_b32_e32 v15, 0
	v_mov_b32_e32 v16, 0
	s_cmp_eq_u32 s16, 0
	s_cbranch_scc1 .LBB3_54
; %bb.52:                               ;   in Loop: Header=BB3_29 Depth=1
	s_mov_b64 s[12:13], 0
	s_mov_b64 s[14:15], 0
.LBB3_53:                               ;   Parent Loop BB3_29 Depth=1
                                        ; =>  This Inner Loop Header: Depth=2
	s_delay_alu instid0(SALU_CYCLE_1)
	s_add_u32 s18, s0, s14
	s_addc_u32 s19, s1, s15
	s_add_u32 s14, s14, 1
	global_load_u8 v7, v8, s[18:19]
	s_addc_u32 s15, s15, 0
	s_waitcnt vmcnt(0)
	v_and_b32_e32 v7, 0xffff, v7
	s_delay_alu instid0(VALU_DEP_1) | instskip(SKIP_3) | instid1(VALU_DEP_1)
	v_lshlrev_b64 v[17:18], s12, v[7:8]
	s_add_u32 s12, s12, 8
	s_addc_u32 s13, s13, 0
	s_cmp_lg_u32 s16, s14
	v_or_b32_e32 v15, v17, v15
	s_delay_alu instid0(VALU_DEP_2)
	v_or_b32_e32 v16, v18, v16
	s_cbranch_scc1 .LBB3_53
.LBB3_54:                               ;   in Loop: Header=BB3_29 Depth=1
	s_mov_b32 s17, 0
	s_cbranch_execz .LBB3_56
	s_branch .LBB3_57
.LBB3_55:                               ;   in Loop: Header=BB3_29 Depth=1
                                        ; implicit-def: $vgpr15_vgpr16
                                        ; implicit-def: $sgpr17
.LBB3_56:                               ;   in Loop: Header=BB3_29 Depth=1
	global_load_b64 v[15:16], v8, s[0:1]
	s_add_i32 s17, s16, -8
	s_add_u32 s0, s0, 8
	s_addc_u32 s1, s1, 0
.LBB3_57:                               ;   in Loop: Header=BB3_29 Depth=1
	s_cmp_gt_u32 s17, 7
	s_cbranch_scc1 .LBB3_62
; %bb.58:                               ;   in Loop: Header=BB3_29 Depth=1
	v_mov_b32_e32 v17, 0
	v_mov_b32_e32 v18, 0
	s_cmp_eq_u32 s17, 0
	s_cbranch_scc1 .LBB3_61
; %bb.59:                               ;   in Loop: Header=BB3_29 Depth=1
	s_mov_b64 s[12:13], 0
	s_mov_b64 s[14:15], 0
.LBB3_60:                               ;   Parent Loop BB3_29 Depth=1
                                        ; =>  This Inner Loop Header: Depth=2
	s_delay_alu instid0(SALU_CYCLE_1)
	s_add_u32 s18, s0, s14
	s_addc_u32 s19, s1, s15
	s_add_u32 s14, s14, 1
	global_load_u8 v7, v8, s[18:19]
	s_addc_u32 s15, s15, 0
	s_waitcnt vmcnt(0)
	v_and_b32_e32 v7, 0xffff, v7
	s_delay_alu instid0(VALU_DEP_1) | instskip(SKIP_3) | instid1(VALU_DEP_1)
	v_lshlrev_b64 v[19:20], s12, v[7:8]
	s_add_u32 s12, s12, 8
	s_addc_u32 s13, s13, 0
	s_cmp_lg_u32 s17, s14
	v_or_b32_e32 v17, v19, v17
	s_delay_alu instid0(VALU_DEP_2)
	v_or_b32_e32 v18, v20, v18
	s_cbranch_scc1 .LBB3_60
.LBB3_61:                               ;   in Loop: Header=BB3_29 Depth=1
	s_mov_b32 s16, 0
	s_cbranch_execz .LBB3_63
	s_branch .LBB3_64
.LBB3_62:                               ;   in Loop: Header=BB3_29 Depth=1
                                        ; implicit-def: $sgpr16
.LBB3_63:                               ;   in Loop: Header=BB3_29 Depth=1
	global_load_b64 v[17:18], v8, s[0:1]
	s_add_i32 s16, s17, -8
	s_add_u32 s0, s0, 8
	s_addc_u32 s1, s1, 0
.LBB3_64:                               ;   in Loop: Header=BB3_29 Depth=1
	s_cmp_gt_u32 s16, 7
	s_cbranch_scc1 .LBB3_69
; %bb.65:                               ;   in Loop: Header=BB3_29 Depth=1
	v_mov_b32_e32 v19, 0
	v_mov_b32_e32 v20, 0
	s_cmp_eq_u32 s16, 0
	s_cbranch_scc1 .LBB3_68
; %bb.66:                               ;   in Loop: Header=BB3_29 Depth=1
	s_mov_b64 s[12:13], 0
	s_mov_b64 s[14:15], 0
.LBB3_67:                               ;   Parent Loop BB3_29 Depth=1
                                        ; =>  This Inner Loop Header: Depth=2
	s_delay_alu instid0(SALU_CYCLE_1)
	s_add_u32 s18, s0, s14
	s_addc_u32 s19, s1, s15
	s_add_u32 s14, s14, 1
	global_load_u8 v7, v8, s[18:19]
	s_addc_u32 s15, s15, 0
	s_waitcnt vmcnt(0)
	v_and_b32_e32 v7, 0xffff, v7
	s_delay_alu instid0(VALU_DEP_1) | instskip(SKIP_3) | instid1(VALU_DEP_1)
	v_lshlrev_b64 v[21:22], s12, v[7:8]
	s_add_u32 s12, s12, 8
	s_addc_u32 s13, s13, 0
	s_cmp_lg_u32 s16, s14
	v_or_b32_e32 v19, v21, v19
	s_delay_alu instid0(VALU_DEP_2)
	v_or_b32_e32 v20, v22, v20
	s_cbranch_scc1 .LBB3_67
.LBB3_68:                               ;   in Loop: Header=BB3_29 Depth=1
	s_mov_b32 s17, 0
	s_cbranch_execz .LBB3_70
	s_branch .LBB3_71
.LBB3_69:                               ;   in Loop: Header=BB3_29 Depth=1
                                        ; implicit-def: $vgpr19_vgpr20
                                        ; implicit-def: $sgpr17
.LBB3_70:                               ;   in Loop: Header=BB3_29 Depth=1
	global_load_b64 v[19:20], v8, s[0:1]
	s_add_i32 s17, s16, -8
	s_add_u32 s0, s0, 8
	s_addc_u32 s1, s1, 0
.LBB3_71:                               ;   in Loop: Header=BB3_29 Depth=1
	s_cmp_gt_u32 s17, 7
	s_cbranch_scc1 .LBB3_76
; %bb.72:                               ;   in Loop: Header=BB3_29 Depth=1
	v_mov_b32_e32 v21, 0
	v_mov_b32_e32 v22, 0
	s_cmp_eq_u32 s17, 0
	s_cbranch_scc1 .LBB3_75
; %bb.73:                               ;   in Loop: Header=BB3_29 Depth=1
	s_mov_b64 s[12:13], 0
	s_mov_b64 s[14:15], s[0:1]
.LBB3_74:                               ;   Parent Loop BB3_29 Depth=1
                                        ; =>  This Inner Loop Header: Depth=2
	global_load_u8 v7, v8, s[14:15]
	s_add_i32 s17, s17, -1
	s_waitcnt vmcnt(0)
	v_and_b32_e32 v7, 0xffff, v7
	s_delay_alu instid0(VALU_DEP_1)
	v_lshlrev_b64 v[23:24], s12, v[7:8]
	s_add_u32 s12, s12, 8
	s_addc_u32 s13, s13, 0
	s_add_u32 s14, s14, 1
	s_addc_u32 s15, s15, 0
	s_cmp_lg_u32 s17, 0
	v_or_b32_e32 v21, v23, v21
	v_or_b32_e32 v22, v24, v22
	s_cbranch_scc1 .LBB3_74
.LBB3_75:                               ;   in Loop: Header=BB3_29 Depth=1
	s_cbranch_execz .LBB3_77
	s_branch .LBB3_78
.LBB3_76:                               ;   in Loop: Header=BB3_29 Depth=1
.LBB3_77:                               ;   in Loop: Header=BB3_29 Depth=1
	global_load_b64 v[21:22], v8, s[0:1]
.LBB3_78:                               ;   in Loop: Header=BB3_29 Depth=1
	v_readfirstlane_b32 s0, v33
	v_mov_b32_e32 v27, 0
	v_mov_b32_e32 v28, 0
	s_delay_alu instid0(VALU_DEP_3) | instskip(NEXT) | instid1(VALU_DEP_1)
	v_cmp_eq_u32_e64 s0, s0, v33
	s_and_saveexec_b32 s1, s0
	s_cbranch_execz .LBB3_84
; %bb.79:                               ;   in Loop: Header=BB3_29 Depth=1
	global_load_b64 v[25:26], v8, s[2:3] offset:24 glc
	s_waitcnt vmcnt(0)
	buffer_gl1_inv
	buffer_gl0_inv
	s_clause 0x1
	global_load_b64 v[23:24], v8, s[2:3] offset:40
	global_load_b64 v[27:28], v8, s[2:3]
	s_mov_b32 s12, exec_lo
	s_waitcnt vmcnt(1)
	v_and_b32_e32 v7, v24, v26
	v_and_b32_e32 v23, v23, v25
	s_delay_alu instid0(VALU_DEP_2) | instskip(NEXT) | instid1(VALU_DEP_2)
	v_mul_lo_u32 v7, v7, 24
	v_mul_hi_u32 v24, v23, 24
	v_mul_lo_u32 v23, v23, 24
	s_delay_alu instid0(VALU_DEP_2) | instskip(SKIP_1) | instid1(VALU_DEP_2)
	v_add_nc_u32_e32 v7, v24, v7
	s_waitcnt vmcnt(0)
	v_add_co_u32 v23, vcc_lo, v27, v23
	s_delay_alu instid0(VALU_DEP_2)
	v_add_co_ci_u32_e32 v24, vcc_lo, v28, v7, vcc_lo
	global_load_b64 v[23:24], v[23:24], off glc
	s_waitcnt vmcnt(0)
	global_atomic_cmpswap_b64 v[27:28], v8, v[23:26], s[2:3] offset:24 glc
	s_waitcnt vmcnt(0)
	buffer_gl1_inv
	buffer_gl0_inv
	v_cmpx_ne_u64_e64 v[27:28], v[25:26]
	s_cbranch_execz .LBB3_83
; %bb.80:                               ;   in Loop: Header=BB3_29 Depth=1
	s_mov_b32 s13, 0
	.p2align	6
.LBB3_81:                               ;   Parent Loop BB3_29 Depth=1
                                        ; =>  This Inner Loop Header: Depth=2
	s_sleep 1
	s_clause 0x1
	global_load_b64 v[23:24], v8, s[2:3] offset:40
	global_load_b64 v[30:31], v8, s[2:3]
	v_dual_mov_b32 v25, v27 :: v_dual_mov_b32 v26, v28
	s_waitcnt vmcnt(1)
	s_delay_alu instid0(VALU_DEP_1) | instskip(SKIP_1) | instid1(VALU_DEP_1)
	v_and_b32_e32 v7, v23, v25
	s_waitcnt vmcnt(0)
	v_mad_u64_u32 v[27:28], null, v7, 24, v[30:31]
	v_and_b32_e32 v30, v24, v26
	s_delay_alu instid0(VALU_DEP_2) | instskip(NEXT) | instid1(VALU_DEP_1)
	v_mov_b32_e32 v7, v28
	v_mad_u64_u32 v[23:24], null, v30, 24, v[7:8]
	s_delay_alu instid0(VALU_DEP_1)
	v_mov_b32_e32 v28, v23
	global_load_b64 v[23:24], v[27:28], off glc
	s_waitcnt vmcnt(0)
	global_atomic_cmpswap_b64 v[27:28], v8, v[23:26], s[2:3] offset:24 glc
	s_waitcnt vmcnt(0)
	buffer_gl1_inv
	buffer_gl0_inv
	v_cmp_eq_u64_e32 vcc_lo, v[27:28], v[25:26]
	s_or_b32 s13, vcc_lo, s13
	s_delay_alu instid0(SALU_CYCLE_1)
	s_and_not1_b32 exec_lo, exec_lo, s13
	s_cbranch_execnz .LBB3_81
; %bb.82:                               ;   in Loop: Header=BB3_29 Depth=1
	s_or_b32 exec_lo, exec_lo, s13
.LBB3_83:                               ;   in Loop: Header=BB3_29 Depth=1
	s_delay_alu instid0(SALU_CYCLE_1)
	s_or_b32 exec_lo, exec_lo, s12
.LBB3_84:                               ;   in Loop: Header=BB3_29 Depth=1
	s_delay_alu instid0(SALU_CYCLE_1)
	s_or_b32 exec_lo, exec_lo, s1
	s_clause 0x1
	global_load_b64 v[30:31], v8, s[2:3] offset:40
	global_load_b128 v[23:26], v8, s[2:3]
	v_readfirstlane_b32 s12, v27
	v_readfirstlane_b32 s13, v28
	s_mov_b32 s1, exec_lo
	s_waitcnt vmcnt(1)
	v_readfirstlane_b32 s14, v30
	v_readfirstlane_b32 s15, v31
	s_delay_alu instid0(VALU_DEP_1) | instskip(NEXT) | instid1(SALU_CYCLE_1)
	s_and_b64 s[14:15], s[12:13], s[14:15]
	s_mul_i32 s16, s15, 24
	s_mul_hi_u32 s17, s14, 24
	s_mul_i32 s18, s14, 24
	s_add_i32 s17, s17, s16
	s_waitcnt vmcnt(0)
	v_add_co_u32 v27, vcc_lo, v23, s18
	v_add_co_ci_u32_e32 v28, vcc_lo, s17, v24, vcc_lo
	s_and_saveexec_b32 s16, s0
	s_cbranch_execz .LBB3_86
; %bb.85:                               ;   in Loop: Header=BB3_29 Depth=1
	v_mov_b32_e32 v7, s1
	global_store_b128 v[27:28], v[7:10], off offset:8
.LBB3_86:                               ;   in Loop: Header=BB3_29 Depth=1
	s_or_b32 exec_lo, exec_lo, s16
	s_lshl_b64 s[14:15], s[14:15], 12
	v_cmp_gt_u64_e64 vcc_lo, s[6:7], 56
	v_or_b32_e32 v7, 0, v2
	v_or_b32_e32 v30, v1, v29
	v_add_co_u32 v25, s1, v25, s14
	s_delay_alu instid0(VALU_DEP_1) | instskip(SKIP_1) | instid1(VALU_DEP_3)
	v_add_co_ci_u32_e64 v26, s1, s15, v26, s1
	s_lshl_b32 s1, s10, 2
	v_dual_cndmask_b32 v2, v7, v2 :: v_dual_cndmask_b32 v1, v30, v1
	s_add_i32 s1, s1, 28
	v_readfirstlane_b32 s14, v25
	s_and_b32 s1, s1, 0x1e0
	v_readfirstlane_b32 s15, v26
	v_and_or_b32 v1, 0xffffff1f, v1, s1
	s_clause 0x3
	global_store_b128 v32, v[1:4], s[14:15]
	global_store_b128 v32, v[11:14], s[14:15] offset:16
	global_store_b128 v32, v[15:18], s[14:15] offset:32
	;; [unrolled: 1-line block ×3, first 2 shown]
	s_and_saveexec_b32 s1, s0
	s_cbranch_execz .LBB3_94
; %bb.87:                               ;   in Loop: Header=BB3_29 Depth=1
	s_clause 0x1
	global_load_b64 v[15:16], v8, s[2:3] offset:32 glc
	global_load_b64 v[1:2], v8, s[2:3] offset:40
	v_dual_mov_b32 v13, s12 :: v_dual_mov_b32 v14, s13
	s_waitcnt vmcnt(0)
	v_readfirstlane_b32 s14, v1
	v_readfirstlane_b32 s15, v2
	s_delay_alu instid0(VALU_DEP_1) | instskip(NEXT) | instid1(SALU_CYCLE_1)
	s_and_b64 s[14:15], s[14:15], s[12:13]
	s_mul_i32 s15, s15, 24
	s_mul_hi_u32 s16, s14, 24
	s_mul_i32 s14, s14, 24
	s_add_i32 s16, s16, s15
	v_add_co_u32 v11, vcc_lo, v23, s14
	v_add_co_ci_u32_e32 v12, vcc_lo, s16, v24, vcc_lo
	s_mov_b32 s14, exec_lo
	global_store_b64 v[11:12], v[15:16], off
	s_waitcnt_vscnt null, 0x0
	global_atomic_cmpswap_b64 v[3:4], v8, v[13:16], s[2:3] offset:32 glc
	s_waitcnt vmcnt(0)
	v_cmpx_ne_u64_e64 v[3:4], v[15:16]
	s_cbranch_execz .LBB3_90
; %bb.88:                               ;   in Loop: Header=BB3_29 Depth=1
	s_mov_b32 s15, 0
.LBB3_89:                               ;   Parent Loop BB3_29 Depth=1
                                        ; =>  This Inner Loop Header: Depth=2
	v_dual_mov_b32 v1, s12 :: v_dual_mov_b32 v2, s13
	s_sleep 1
	global_store_b64 v[11:12], v[3:4], off
	s_waitcnt_vscnt null, 0x0
	global_atomic_cmpswap_b64 v[1:2], v8, v[1:4], s[2:3] offset:32 glc
	s_waitcnt vmcnt(0)
	v_cmp_eq_u64_e32 vcc_lo, v[1:2], v[3:4]
	v_dual_mov_b32 v4, v2 :: v_dual_mov_b32 v3, v1
	s_or_b32 s15, vcc_lo, s15
	s_delay_alu instid0(SALU_CYCLE_1)
	s_and_not1_b32 exec_lo, exec_lo, s15
	s_cbranch_execnz .LBB3_89
.LBB3_90:                               ;   in Loop: Header=BB3_29 Depth=1
	s_or_b32 exec_lo, exec_lo, s14
	global_load_b64 v[1:2], v8, s[2:3] offset:16
	s_mov_b32 s15, exec_lo
	s_mov_b32 s14, exec_lo
	v_mbcnt_lo_u32_b32 v3, s15, 0
	s_delay_alu instid0(VALU_DEP_1)
	v_cmpx_eq_u32_e32 0, v3
	s_cbranch_execz .LBB3_92
; %bb.91:                               ;   in Loop: Header=BB3_29 Depth=1
	s_bcnt1_i32_b32 s15, s15
	s_delay_alu instid0(SALU_CYCLE_1)
	v_mov_b32_e32 v7, s15
	s_waitcnt vmcnt(0)
	global_atomic_add_u64 v[1:2], v[7:8], off offset:8
.LBB3_92:                               ;   in Loop: Header=BB3_29 Depth=1
	s_or_b32 exec_lo, exec_lo, s14
	s_waitcnt vmcnt(0)
	global_load_b64 v[3:4], v[1:2], off offset:16
	s_waitcnt vmcnt(0)
	v_cmp_eq_u64_e32 vcc_lo, 0, v[3:4]
	s_cbranch_vccnz .LBB3_94
; %bb.93:                               ;   in Loop: Header=BB3_29 Depth=1
	global_load_b32 v7, v[1:2], off offset:24
	s_waitcnt vmcnt(0)
	v_and_b32_e32 v1, 0xffffff, v7
	s_waitcnt_vscnt null, 0x0
	global_store_b64 v[3:4], v[7:8], off
	v_readfirstlane_b32 m0, v1
	s_sendmsg sendmsg(MSG_INTERRUPT)
.LBB3_94:                               ;   in Loop: Header=BB3_29 Depth=1
	s_or_b32 exec_lo, exec_lo, s1
	v_add_co_u32 v1, vcc_lo, v25, v32
	v_add_co_ci_u32_e32 v2, vcc_lo, 0, v26, vcc_lo
	s_branch .LBB3_98
	.p2align	6
.LBB3_95:                               ;   in Loop: Header=BB3_98 Depth=2
	s_or_b32 exec_lo, exec_lo, s1
	s_delay_alu instid0(VALU_DEP_1) | instskip(NEXT) | instid1(VALU_DEP_1)
	v_readfirstlane_b32 s1, v3
	s_cmp_eq_u32 s1, 0
	s_cbranch_scc1 .LBB3_97
; %bb.96:                               ;   in Loop: Header=BB3_98 Depth=2
	s_sleep 1
	s_cbranch_execnz .LBB3_98
	s_branch .LBB3_100
	.p2align	6
.LBB3_97:                               ;   in Loop: Header=BB3_29 Depth=1
	s_branch .LBB3_100
.LBB3_98:                               ;   Parent Loop BB3_29 Depth=1
                                        ; =>  This Inner Loop Header: Depth=2
	v_mov_b32_e32 v3, 1
	s_and_saveexec_b32 s1, s0
	s_cbranch_execz .LBB3_95
; %bb.99:                               ;   in Loop: Header=BB3_98 Depth=2
	global_load_b32 v3, v[27:28], off offset:20 glc
	s_waitcnt vmcnt(0)
	buffer_gl1_inv
	buffer_gl0_inv
	v_and_b32_e32 v3, 1, v3
	s_branch .LBB3_95
.LBB3_100:                              ;   in Loop: Header=BB3_29 Depth=1
	global_load_b128 v[1:4], v[1:2], off
	s_and_saveexec_b32 s1, s0
	s_cbranch_execz .LBB3_28
; %bb.101:                              ;   in Loop: Header=BB3_29 Depth=1
	s_clause 0x2
	global_load_b64 v[3:4], v8, s[2:3] offset:40
	global_load_b64 v[15:16], v8, s[2:3] offset:24 glc
	global_load_b64 v[13:14], v8, s[2:3]
	s_waitcnt vmcnt(2)
	v_add_co_u32 v7, vcc_lo, v3, 1
	v_add_co_ci_u32_e32 v17, vcc_lo, 0, v4, vcc_lo
	s_delay_alu instid0(VALU_DEP_2) | instskip(NEXT) | instid1(VALU_DEP_2)
	v_add_co_u32 v11, vcc_lo, v7, s12
	v_add_co_ci_u32_e32 v12, vcc_lo, s13, v17, vcc_lo
	s_delay_alu instid0(VALU_DEP_1) | instskip(SKIP_1) | instid1(VALU_DEP_1)
	v_cmp_eq_u64_e32 vcc_lo, 0, v[11:12]
	v_dual_cndmask_b32 v12, v12, v17 :: v_dual_cndmask_b32 v11, v11, v7
	v_and_b32_e32 v4, v12, v4
	s_delay_alu instid0(VALU_DEP_2) | instskip(NEXT) | instid1(VALU_DEP_1)
	v_and_b32_e32 v3, v11, v3
	v_mul_hi_u32 v7, v3, 24
	v_mul_lo_u32 v3, v3, 24
	s_waitcnt vmcnt(0)
	s_delay_alu instid0(VALU_DEP_1) | instskip(SKIP_2) | instid1(VALU_DEP_1)
	v_add_co_u32 v3, vcc_lo, v13, v3
	v_mov_b32_e32 v13, v15
	v_mul_lo_u32 v4, v4, 24
	v_add_nc_u32_e32 v4, v7, v4
	s_delay_alu instid0(VALU_DEP_1)
	v_add_co_ci_u32_e32 v4, vcc_lo, v14, v4, vcc_lo
	v_mov_b32_e32 v14, v16
	global_store_b64 v[3:4], v[15:16], off
	s_waitcnt_vscnt null, 0x0
	global_atomic_cmpswap_b64 v[13:14], v8, v[11:14], s[2:3] offset:24 glc
	s_waitcnt vmcnt(0)
	v_cmp_ne_u64_e32 vcc_lo, v[13:14], v[15:16]
	s_and_b32 exec_lo, exec_lo, vcc_lo
	s_cbranch_execz .LBB3_28
; %bb.102:                              ;   in Loop: Header=BB3_29 Depth=1
	s_mov_b32 s0, 0
.LBB3_103:                              ;   Parent Loop BB3_29 Depth=1
                                        ; =>  This Inner Loop Header: Depth=2
	s_sleep 1
	global_store_b64 v[3:4], v[13:14], off
	s_waitcnt_vscnt null, 0x0
	global_atomic_cmpswap_b64 v[15:16], v8, v[11:14], s[2:3] offset:24 glc
	s_waitcnt vmcnt(0)
	v_cmp_eq_u64_e32 vcc_lo, v[15:16], v[13:14]
	v_dual_mov_b32 v13, v15 :: v_dual_mov_b32 v14, v16
	s_or_b32 s0, vcc_lo, s0
	s_delay_alu instid0(SALU_CYCLE_1)
	s_and_not1_b32 exec_lo, exec_lo, s0
	s_cbranch_execnz .LBB3_103
	s_branch .LBB3_28
.LBB3_104:
                                        ; implicit-def: $vgpr1_vgpr2
	s_cbranch_execnz .LBB3_106
	s_branch .LBB3_133
.LBB3_105:
	s_branch .LBB3_133
.LBB3_106:
	v_readfirstlane_b32 s0, v33
	v_mov_b32_e32 v8, 0
	v_mov_b32_e32 v9, 0
	s_delay_alu instid0(VALU_DEP_3) | instskip(NEXT) | instid1(VALU_DEP_1)
	v_cmp_eq_u32_e64 s0, s0, v33
	s_and_saveexec_b32 s1, s0
	s_cbranch_execz .LBB3_112
; %bb.107:
	s_waitcnt vmcnt(0)
	v_mov_b32_e32 v1, 0
	s_mov_b32 s4, exec_lo
	global_load_b64 v[10:11], v1, s[2:3] offset:24 glc
	s_waitcnt vmcnt(0)
	buffer_gl1_inv
	buffer_gl0_inv
	s_clause 0x1
	global_load_b64 v[2:3], v1, s[2:3] offset:40
	global_load_b64 v[7:8], v1, s[2:3]
	s_waitcnt vmcnt(1)
	v_and_b32_e32 v2, v2, v10
	v_and_b32_e32 v3, v3, v11
	s_delay_alu instid0(VALU_DEP_2) | instskip(NEXT) | instid1(VALU_DEP_2)
	v_mul_hi_u32 v4, v2, 24
	v_mul_lo_u32 v3, v3, 24
	v_mul_lo_u32 v2, v2, 24
	s_delay_alu instid0(VALU_DEP_2) | instskip(SKIP_1) | instid1(VALU_DEP_2)
	v_add_nc_u32_e32 v3, v4, v3
	s_waitcnt vmcnt(0)
	v_add_co_u32 v2, vcc_lo, v7, v2
	s_delay_alu instid0(VALU_DEP_2)
	v_add_co_ci_u32_e32 v3, vcc_lo, v8, v3, vcc_lo
	global_load_b64 v[8:9], v[2:3], off glc
	s_waitcnt vmcnt(0)
	global_atomic_cmpswap_b64 v[8:9], v1, v[8:11], s[2:3] offset:24 glc
	s_waitcnt vmcnt(0)
	buffer_gl1_inv
	buffer_gl0_inv
	v_cmpx_ne_u64_e64 v[8:9], v[10:11]
	s_cbranch_execz .LBB3_111
; %bb.108:
	s_mov_b32 s5, 0
	.p2align	6
.LBB3_109:                              ; =>This Inner Loop Header: Depth=1
	s_sleep 1
	s_clause 0x1
	global_load_b64 v[2:3], v1, s[2:3] offset:40
	global_load_b64 v[12:13], v1, s[2:3]
	v_dual_mov_b32 v11, v9 :: v_dual_mov_b32 v10, v8
	s_waitcnt vmcnt(1)
	s_delay_alu instid0(VALU_DEP_1) | instskip(SKIP_1) | instid1(VALU_DEP_1)
	v_and_b32_e32 v2, v2, v10
	s_waitcnt vmcnt(0)
	v_mad_u64_u32 v[7:8], null, v2, 24, v[12:13]
	s_delay_alu instid0(VALU_DEP_1) | instskip(NEXT) | instid1(VALU_DEP_1)
	v_dual_mov_b32 v2, v8 :: v_dual_and_b32 v9, v3, v11
	v_mad_u64_u32 v[3:4], null, v9, 24, v[2:3]
	s_delay_alu instid0(VALU_DEP_1)
	v_mov_b32_e32 v8, v3
	global_load_b64 v[8:9], v[7:8], off glc
	s_waitcnt vmcnt(0)
	global_atomic_cmpswap_b64 v[8:9], v1, v[8:11], s[2:3] offset:24 glc
	s_waitcnt vmcnt(0)
	buffer_gl1_inv
	buffer_gl0_inv
	v_cmp_eq_u64_e32 vcc_lo, v[8:9], v[10:11]
	s_or_b32 s5, vcc_lo, s5
	s_delay_alu instid0(SALU_CYCLE_1)
	s_and_not1_b32 exec_lo, exec_lo, s5
	s_cbranch_execnz .LBB3_109
; %bb.110:
	s_or_b32 exec_lo, exec_lo, s5
.LBB3_111:
	s_delay_alu instid0(SALU_CYCLE_1)
	s_or_b32 exec_lo, exec_lo, s4
.LBB3_112:
	s_delay_alu instid0(SALU_CYCLE_1)
	s_or_b32 exec_lo, exec_lo, s1
	v_mov_b32_e32 v7, 0
	v_readfirstlane_b32 s4, v8
	v_readfirstlane_b32 s5, v9
	s_mov_b32 s1, exec_lo
	s_clause 0x1
	global_load_b64 v[10:11], v7, s[2:3] offset:40
	global_load_b128 v[1:4], v7, s[2:3]
	s_waitcnt vmcnt(1)
	v_readfirstlane_b32 s6, v10
	v_readfirstlane_b32 s7, v11
	s_delay_alu instid0(VALU_DEP_1) | instskip(NEXT) | instid1(SALU_CYCLE_1)
	s_and_b64 s[6:7], s[4:5], s[6:7]
	s_mul_i32 s10, s7, 24
	s_mul_hi_u32 s11, s6, 24
	s_mul_i32 s12, s6, 24
	s_add_i32 s11, s11, s10
	s_waitcnt vmcnt(0)
	v_add_co_u32 v9, vcc_lo, v1, s12
	v_add_co_ci_u32_e32 v10, vcc_lo, s11, v2, vcc_lo
	s_and_saveexec_b32 s10, s0
	s_cbranch_execz .LBB3_114
; %bb.113:
	v_dual_mov_b32 v11, s1 :: v_dual_mov_b32 v12, v7
	v_dual_mov_b32 v13, 2 :: v_dual_mov_b32 v14, 1
	global_store_b128 v[9:10], v[11:14], off offset:8
.LBB3_114:
	s_or_b32 exec_lo, exec_lo, s10
	s_lshl_b64 s[6:7], s[6:7], 12
	s_mov_b32 s12, 0
	v_add_co_u32 v3, vcc_lo, v3, s6
	v_add_co_ci_u32_e32 v4, vcc_lo, s7, v4, vcc_lo
	s_mov_b32 s15, s12
	s_delay_alu instid0(VALU_DEP_2)
	v_add_co_u32 v11, vcc_lo, v3, v32
	s_mov_b32 s13, s12
	s_mov_b32 s14, s12
	v_and_or_b32 v5, 0xffffff1f, v5, 32
	v_mov_b32_e32 v8, v7
	v_readfirstlane_b32 s6, v3
	v_readfirstlane_b32 s7, v4
	v_dual_mov_b32 v16, s15 :: v_dual_mov_b32 v13, s12
	v_add_co_ci_u32_e32 v12, vcc_lo, 0, v4, vcc_lo
	v_dual_mov_b32 v15, s14 :: v_dual_mov_b32 v14, s13
	s_clause 0x3
	global_store_b128 v32, v[5:8], s[6:7]
	global_store_b128 v32, v[13:16], s[6:7] offset:16
	global_store_b128 v32, v[13:16], s[6:7] offset:32
	global_store_b128 v32, v[13:16], s[6:7] offset:48
	s_and_saveexec_b32 s1, s0
	s_cbranch_execz .LBB3_122
; %bb.115:
	v_dual_mov_b32 v7, 0 :: v_dual_mov_b32 v14, s5
	v_mov_b32_e32 v13, s4
	s_clause 0x1
	global_load_b64 v[15:16], v7, s[2:3] offset:32 glc
	global_load_b64 v[3:4], v7, s[2:3] offset:40
	s_waitcnt vmcnt(0)
	v_readfirstlane_b32 s6, v3
	v_readfirstlane_b32 s7, v4
	s_delay_alu instid0(VALU_DEP_1) | instskip(NEXT) | instid1(SALU_CYCLE_1)
	s_and_b64 s[6:7], s[6:7], s[4:5]
	s_mul_i32 s7, s7, 24
	s_mul_hi_u32 s10, s6, 24
	s_mul_i32 s6, s6, 24
	s_add_i32 s10, s10, s7
	v_add_co_u32 v5, vcc_lo, v1, s6
	v_add_co_ci_u32_e32 v6, vcc_lo, s10, v2, vcc_lo
	s_mov_b32 s6, exec_lo
	global_store_b64 v[5:6], v[15:16], off
	s_waitcnt_vscnt null, 0x0
	global_atomic_cmpswap_b64 v[3:4], v7, v[13:16], s[2:3] offset:32 glc
	s_waitcnt vmcnt(0)
	v_cmpx_ne_u64_e64 v[3:4], v[15:16]
	s_cbranch_execz .LBB3_118
; %bb.116:
	s_mov_b32 s7, 0
.LBB3_117:                              ; =>This Inner Loop Header: Depth=1
	v_dual_mov_b32 v1, s4 :: v_dual_mov_b32 v2, s5
	s_sleep 1
	global_store_b64 v[5:6], v[3:4], off
	s_waitcnt_vscnt null, 0x0
	global_atomic_cmpswap_b64 v[1:2], v7, v[1:4], s[2:3] offset:32 glc
	s_waitcnt vmcnt(0)
	v_cmp_eq_u64_e32 vcc_lo, v[1:2], v[3:4]
	v_dual_mov_b32 v4, v2 :: v_dual_mov_b32 v3, v1
	s_or_b32 s7, vcc_lo, s7
	s_delay_alu instid0(SALU_CYCLE_1)
	s_and_not1_b32 exec_lo, exec_lo, s7
	s_cbranch_execnz .LBB3_117
.LBB3_118:
	s_or_b32 exec_lo, exec_lo, s6
	v_mov_b32_e32 v4, 0
	s_mov_b32 s7, exec_lo
	s_mov_b32 s6, exec_lo
	v_mbcnt_lo_u32_b32 v3, s7, 0
	global_load_b64 v[1:2], v4, s[2:3] offset:16
	v_cmpx_eq_u32_e32 0, v3
	s_cbranch_execz .LBB3_120
; %bb.119:
	s_bcnt1_i32_b32 s7, s7
	s_delay_alu instid0(SALU_CYCLE_1)
	v_mov_b32_e32 v3, s7
	s_waitcnt vmcnt(0)
	global_atomic_add_u64 v[1:2], v[3:4], off offset:8
.LBB3_120:
	s_or_b32 exec_lo, exec_lo, s6
	s_waitcnt vmcnt(0)
	global_load_b64 v[3:4], v[1:2], off offset:16
	s_waitcnt vmcnt(0)
	v_cmp_eq_u64_e32 vcc_lo, 0, v[3:4]
	s_cbranch_vccnz .LBB3_122
; %bb.121:
	global_load_b32 v1, v[1:2], off offset:24
	s_waitcnt vmcnt(0)
	v_dual_mov_b32 v2, 0 :: v_dual_and_b32 v5, 0xffffff, v1
	s_waitcnt_vscnt null, 0x0
	global_store_b64 v[3:4], v[1:2], off
	v_readfirstlane_b32 m0, v5
	s_sendmsg sendmsg(MSG_INTERRUPT)
.LBB3_122:
	s_or_b32 exec_lo, exec_lo, s1
	s_branch .LBB3_126
	.p2align	6
.LBB3_123:                              ;   in Loop: Header=BB3_126 Depth=1
	s_or_b32 exec_lo, exec_lo, s1
	s_delay_alu instid0(VALU_DEP_1) | instskip(NEXT) | instid1(VALU_DEP_1)
	v_readfirstlane_b32 s1, v1
	s_cmp_eq_u32 s1, 0
	s_cbranch_scc1 .LBB3_125
; %bb.124:                              ;   in Loop: Header=BB3_126 Depth=1
	s_sleep 1
	s_cbranch_execnz .LBB3_126
	s_branch .LBB3_128
	.p2align	6
.LBB3_125:
	s_branch .LBB3_128
.LBB3_126:                              ; =>This Inner Loop Header: Depth=1
	v_mov_b32_e32 v1, 1
	s_and_saveexec_b32 s1, s0
	s_cbranch_execz .LBB3_123
; %bb.127:                              ;   in Loop: Header=BB3_126 Depth=1
	global_load_b32 v1, v[9:10], off offset:20 glc
	s_waitcnt vmcnt(0)
	buffer_gl1_inv
	buffer_gl0_inv
	v_and_b32_e32 v1, 1, v1
	s_branch .LBB3_123
.LBB3_128:
	global_load_b64 v[1:2], v[11:12], off
	s_and_saveexec_b32 s1, s0
	s_cbranch_execz .LBB3_132
; %bb.129:
	v_mov_b32_e32 v9, 0
	s_clause 0x2
	global_load_b64 v[5:6], v9, s[2:3] offset:40
	global_load_b64 v[10:11], v9, s[2:3] offset:24 glc
	global_load_b64 v[7:8], v9, s[2:3]
	s_waitcnt vmcnt(2)
	v_add_co_u32 v12, vcc_lo, v5, 1
	v_add_co_ci_u32_e32 v13, vcc_lo, 0, v6, vcc_lo
	s_delay_alu instid0(VALU_DEP_2) | instskip(NEXT) | instid1(VALU_DEP_2)
	v_add_co_u32 v3, vcc_lo, v12, s4
	v_add_co_ci_u32_e32 v4, vcc_lo, s5, v13, vcc_lo
	s_delay_alu instid0(VALU_DEP_1) | instskip(SKIP_1) | instid1(VALU_DEP_1)
	v_cmp_eq_u64_e32 vcc_lo, 0, v[3:4]
	v_dual_cndmask_b32 v4, v4, v13 :: v_dual_cndmask_b32 v3, v3, v12
	v_and_b32_e32 v6, v4, v6
	s_delay_alu instid0(VALU_DEP_2) | instskip(NEXT) | instid1(VALU_DEP_2)
	v_and_b32_e32 v5, v3, v5
	v_mul_lo_u32 v6, v6, 24
	s_delay_alu instid0(VALU_DEP_2) | instskip(SKIP_1) | instid1(VALU_DEP_2)
	v_mul_hi_u32 v12, v5, 24
	v_mul_lo_u32 v5, v5, 24
	v_add_nc_u32_e32 v6, v12, v6
	s_waitcnt vmcnt(0)
	s_delay_alu instid0(VALU_DEP_2) | instskip(SKIP_1) | instid1(VALU_DEP_3)
	v_add_co_u32 v7, vcc_lo, v7, v5
	v_mov_b32_e32 v5, v10
	v_add_co_ci_u32_e32 v8, vcc_lo, v8, v6, vcc_lo
	v_mov_b32_e32 v6, v11
	global_store_b64 v[7:8], v[10:11], off
	s_waitcnt_vscnt null, 0x0
	global_atomic_cmpswap_b64 v[5:6], v9, v[3:6], s[2:3] offset:24 glc
	s_waitcnt vmcnt(0)
	v_cmp_ne_u64_e32 vcc_lo, v[5:6], v[10:11]
	s_and_b32 exec_lo, exec_lo, vcc_lo
	s_cbranch_execz .LBB3_132
; %bb.130:
	s_mov_b32 s0, 0
.LBB3_131:                              ; =>This Inner Loop Header: Depth=1
	s_sleep 1
	global_store_b64 v[7:8], v[5:6], off
	s_waitcnt_vscnt null, 0x0
	global_atomic_cmpswap_b64 v[10:11], v9, v[3:6], s[2:3] offset:24 glc
	s_waitcnt vmcnt(0)
	v_cmp_eq_u64_e32 vcc_lo, v[10:11], v[5:6]
	v_dual_mov_b32 v5, v10 :: v_dual_mov_b32 v6, v11
	s_or_b32 s0, vcc_lo, s0
	s_delay_alu instid0(SALU_CYCLE_1)
	s_and_not1_b32 exec_lo, exec_lo, s0
	s_cbranch_execnz .LBB3_131
.LBB3_132:
	s_or_b32 exec_lo, exec_lo, s1
.LBB3_133:
	s_getpc_b64 s[0:1]
	s_add_u32 s0, s0, .str.1@rel32@lo+4
	s_addc_u32 s1, s1, .str.1@rel32@hi+12
	s_mov_b64 s[4:5], 0
	s_cmp_lg_u64 s[0:1], 0
	s_cselect_b32 s6, -1, 0
	s_cmp_eq_u64 s[0:1], 0
	s_cbranch_scc1 .LBB3_137
; %bb.134:
	s_waitcnt vmcnt(0)
	v_mov_b32_e32 v3, 0
	s_getpc_b64 s[0:1]
	s_add_u32 s0, s0, .str.1@rel32@lo+3
	s_addc_u32 s1, s1, .str.1@rel32@hi+11
.LBB3_135:                              ; =>This Inner Loop Header: Depth=1
	global_load_u8 v4, v3, s[0:1] offset:1
	s_add_u32 s4, s0, 1
	s_addc_u32 s5, s1, 0
	s_delay_alu instid0(SALU_CYCLE_1)
	s_mov_b64 s[0:1], s[4:5]
	s_waitcnt vmcnt(0)
	v_cmp_ne_u16_e32 vcc_lo, 0, v4
	s_cbranch_vccnz .LBB3_135
; %bb.136:
	s_getpc_b64 s[0:1]
	s_add_u32 s0, s0, .str.1@rel32@lo+4
	s_addc_u32 s1, s1, .str.1@rel32@hi+12
	s_sub_u32 s0, s4, s0
	s_subb_u32 s1, s5, s1
	s_add_u32 s4, s0, 1
	s_addc_u32 s5, s1, 0
.LBB3_137:
	s_and_b32 vcc_lo, exec_lo, s6
	s_cbranch_vccz .LBB3_215
; %bb.138:
	s_waitcnt vmcnt(0)
	v_dual_mov_b32 v7, 0 :: v_dual_and_b32 v34, 2, v1
	v_dual_mov_b32 v4, v2 :: v_dual_and_b32 v3, -3, v1
	v_dual_mov_b32 v8, 2 :: v_dual_mov_b32 v9, 1
	s_getpc_b64 s[6:7]
	s_add_u32 s6, s6, .str.1@rel32@lo+4
	s_addc_u32 s7, s7, .str.1@rel32@hi+12
	s_branch .LBB3_140
.LBB3_139:                              ;   in Loop: Header=BB3_140 Depth=1
	s_or_b32 exec_lo, exec_lo, s1
	s_sub_u32 s4, s4, s10
	s_subb_u32 s5, s5, s11
	s_add_u32 s6, s6, s10
	s_addc_u32 s7, s7, s11
	s_cmp_lg_u64 s[4:5], 0
	s_cbranch_scc0 .LBB3_216
.LBB3_140:                              ; =>This Loop Header: Depth=1
                                        ;     Child Loop BB3_149 Depth 2
                                        ;     Child Loop BB3_145 Depth 2
	;; [unrolled: 1-line block ×11, first 2 shown]
	v_cmp_lt_u64_e64 s0, s[4:5], 56
	v_cmp_gt_u64_e64 s1, s[4:5], 7
                                        ; implicit-def: $vgpr12_vgpr13
                                        ; implicit-def: $sgpr16
	s_delay_alu instid0(VALU_DEP_2) | instskip(SKIP_2) | instid1(VALU_DEP_1)
	s_and_b32 s0, s0, exec_lo
	s_cselect_b32 s11, s5, 0
	s_cselect_b32 s10, s4, 56
	s_and_b32 vcc_lo, exec_lo, s1
	s_mov_b32 s0, -1
	s_cbranch_vccz .LBB3_147
; %bb.141:                              ;   in Loop: Header=BB3_140 Depth=1
	s_and_not1_b32 vcc_lo, exec_lo, s0
	s_mov_b64 s[0:1], s[6:7]
	s_cbranch_vccz .LBB3_151
.LBB3_142:                              ;   in Loop: Header=BB3_140 Depth=1
	s_cmp_gt_u32 s16, 7
	s_cbranch_scc1 .LBB3_152
.LBB3_143:                              ;   in Loop: Header=BB3_140 Depth=1
	v_mov_b32_e32 v14, 0
	v_mov_b32_e32 v15, 0
	s_cmp_eq_u32 s16, 0
	s_cbranch_scc1 .LBB3_146
; %bb.144:                              ;   in Loop: Header=BB3_140 Depth=1
	s_mov_b64 s[12:13], 0
	s_mov_b64 s[14:15], 0
.LBB3_145:                              ;   Parent Loop BB3_140 Depth=1
                                        ; =>  This Inner Loop Header: Depth=2
	s_delay_alu instid0(SALU_CYCLE_1)
	s_add_u32 s18, s0, s14
	s_addc_u32 s19, s1, s15
	s_add_u32 s14, s14, 1
	global_load_u8 v5, v7, s[18:19]
	s_addc_u32 s15, s15, 0
	s_waitcnt vmcnt(0)
	v_and_b32_e32 v6, 0xffff, v5
	s_delay_alu instid0(VALU_DEP_1) | instskip(SKIP_3) | instid1(VALU_DEP_1)
	v_lshlrev_b64 v[5:6], s12, v[6:7]
	s_add_u32 s12, s12, 8
	s_addc_u32 s13, s13, 0
	s_cmp_lg_u32 s16, s14
	v_or_b32_e32 v14, v5, v14
	s_delay_alu instid0(VALU_DEP_2)
	v_or_b32_e32 v15, v6, v15
	s_cbranch_scc1 .LBB3_145
.LBB3_146:                              ;   in Loop: Header=BB3_140 Depth=1
	s_mov_b32 s17, 0
	s_cbranch_execz .LBB3_153
	s_branch .LBB3_154
.LBB3_147:                              ;   in Loop: Header=BB3_140 Depth=1
	v_mov_b32_e32 v12, 0
	v_mov_b32_e32 v13, 0
	s_cmp_eq_u64 s[4:5], 0
	s_mov_b64 s[0:1], 0
	s_cbranch_scc1 .LBB3_150
; %bb.148:                              ;   in Loop: Header=BB3_140 Depth=1
	v_mov_b32_e32 v12, 0
	v_mov_b32_e32 v13, 0
	s_lshl_b64 s[12:13], s[10:11], 3
	s_mov_b64 s[14:15], s[6:7]
.LBB3_149:                              ;   Parent Loop BB3_140 Depth=1
                                        ; =>  This Inner Loop Header: Depth=2
	global_load_u8 v5, v7, s[14:15]
	s_waitcnt vmcnt(0)
	v_and_b32_e32 v6, 0xffff, v5
	s_delay_alu instid0(VALU_DEP_1)
	v_lshlrev_b64 v[5:6], s0, v[6:7]
	s_add_u32 s0, s0, 8
	s_addc_u32 s1, s1, 0
	s_add_u32 s14, s14, 1
	s_addc_u32 s15, s15, 0
	s_cmp_lg_u32 s12, s0
	v_or_b32_e32 v12, v5, v12
	v_or_b32_e32 v13, v6, v13
	s_cbranch_scc1 .LBB3_149
.LBB3_150:                              ;   in Loop: Header=BB3_140 Depth=1
	s_mov_b32 s16, 0
	s_mov_b64 s[0:1], s[6:7]
	s_cbranch_execnz .LBB3_142
.LBB3_151:                              ;   in Loop: Header=BB3_140 Depth=1
	global_load_b64 v[12:13], v7, s[6:7]
	s_add_i32 s16, s10, -8
	s_add_u32 s0, s6, 8
	s_addc_u32 s1, s7, 0
	s_cmp_gt_u32 s16, 7
	s_cbranch_scc0 .LBB3_143
.LBB3_152:                              ;   in Loop: Header=BB3_140 Depth=1
                                        ; implicit-def: $vgpr14_vgpr15
                                        ; implicit-def: $sgpr17
.LBB3_153:                              ;   in Loop: Header=BB3_140 Depth=1
	global_load_b64 v[14:15], v7, s[0:1]
	s_add_i32 s17, s16, -8
	s_add_u32 s0, s0, 8
	s_addc_u32 s1, s1, 0
.LBB3_154:                              ;   in Loop: Header=BB3_140 Depth=1
	s_cmp_gt_u32 s17, 7
	s_cbranch_scc1 .LBB3_159
; %bb.155:                              ;   in Loop: Header=BB3_140 Depth=1
	v_mov_b32_e32 v16, 0
	v_mov_b32_e32 v17, 0
	s_cmp_eq_u32 s17, 0
	s_cbranch_scc1 .LBB3_158
; %bb.156:                              ;   in Loop: Header=BB3_140 Depth=1
	s_mov_b64 s[12:13], 0
	s_mov_b64 s[14:15], 0
.LBB3_157:                              ;   Parent Loop BB3_140 Depth=1
                                        ; =>  This Inner Loop Header: Depth=2
	s_delay_alu instid0(SALU_CYCLE_1)
	s_add_u32 s18, s0, s14
	s_addc_u32 s19, s1, s15
	s_add_u32 s14, s14, 1
	global_load_u8 v5, v7, s[18:19]
	s_addc_u32 s15, s15, 0
	s_waitcnt vmcnt(0)
	v_and_b32_e32 v6, 0xffff, v5
	s_delay_alu instid0(VALU_DEP_1) | instskip(SKIP_3) | instid1(VALU_DEP_1)
	v_lshlrev_b64 v[5:6], s12, v[6:7]
	s_add_u32 s12, s12, 8
	s_addc_u32 s13, s13, 0
	s_cmp_lg_u32 s17, s14
	v_or_b32_e32 v16, v5, v16
	s_delay_alu instid0(VALU_DEP_2)
	v_or_b32_e32 v17, v6, v17
	s_cbranch_scc1 .LBB3_157
.LBB3_158:                              ;   in Loop: Header=BB3_140 Depth=1
	s_mov_b32 s16, 0
	s_cbranch_execz .LBB3_160
	s_branch .LBB3_161
.LBB3_159:                              ;   in Loop: Header=BB3_140 Depth=1
                                        ; implicit-def: $sgpr16
.LBB3_160:                              ;   in Loop: Header=BB3_140 Depth=1
	global_load_b64 v[16:17], v7, s[0:1]
	s_add_i32 s16, s17, -8
	s_add_u32 s0, s0, 8
	s_addc_u32 s1, s1, 0
.LBB3_161:                              ;   in Loop: Header=BB3_140 Depth=1
	s_cmp_gt_u32 s16, 7
	s_cbranch_scc1 .LBB3_166
; %bb.162:                              ;   in Loop: Header=BB3_140 Depth=1
	v_mov_b32_e32 v18, 0
	v_mov_b32_e32 v19, 0
	s_cmp_eq_u32 s16, 0
	s_cbranch_scc1 .LBB3_165
; %bb.163:                              ;   in Loop: Header=BB3_140 Depth=1
	s_mov_b64 s[12:13], 0
	s_mov_b64 s[14:15], 0
.LBB3_164:                              ;   Parent Loop BB3_140 Depth=1
                                        ; =>  This Inner Loop Header: Depth=2
	s_delay_alu instid0(SALU_CYCLE_1)
	s_add_u32 s18, s0, s14
	s_addc_u32 s19, s1, s15
	s_add_u32 s14, s14, 1
	global_load_u8 v5, v7, s[18:19]
	s_addc_u32 s15, s15, 0
	s_waitcnt vmcnt(0)
	v_and_b32_e32 v6, 0xffff, v5
	s_delay_alu instid0(VALU_DEP_1) | instskip(SKIP_3) | instid1(VALU_DEP_1)
	v_lshlrev_b64 v[5:6], s12, v[6:7]
	s_add_u32 s12, s12, 8
	s_addc_u32 s13, s13, 0
	s_cmp_lg_u32 s16, s14
	v_or_b32_e32 v18, v5, v18
	s_delay_alu instid0(VALU_DEP_2)
	v_or_b32_e32 v19, v6, v19
	s_cbranch_scc1 .LBB3_164
.LBB3_165:                              ;   in Loop: Header=BB3_140 Depth=1
	s_mov_b32 s17, 0
	s_cbranch_execz .LBB3_167
	s_branch .LBB3_168
.LBB3_166:                              ;   in Loop: Header=BB3_140 Depth=1
                                        ; implicit-def: $vgpr18_vgpr19
                                        ; implicit-def: $sgpr17
.LBB3_167:                              ;   in Loop: Header=BB3_140 Depth=1
	global_load_b64 v[18:19], v7, s[0:1]
	s_add_i32 s17, s16, -8
	s_add_u32 s0, s0, 8
	s_addc_u32 s1, s1, 0
.LBB3_168:                              ;   in Loop: Header=BB3_140 Depth=1
	s_cmp_gt_u32 s17, 7
	s_cbranch_scc1 .LBB3_173
; %bb.169:                              ;   in Loop: Header=BB3_140 Depth=1
	v_mov_b32_e32 v20, 0
	v_mov_b32_e32 v21, 0
	s_cmp_eq_u32 s17, 0
	s_cbranch_scc1 .LBB3_172
; %bb.170:                              ;   in Loop: Header=BB3_140 Depth=1
	s_mov_b64 s[12:13], 0
	s_mov_b64 s[14:15], 0
.LBB3_171:                              ;   Parent Loop BB3_140 Depth=1
                                        ; =>  This Inner Loop Header: Depth=2
	s_delay_alu instid0(SALU_CYCLE_1)
	s_add_u32 s18, s0, s14
	s_addc_u32 s19, s1, s15
	s_add_u32 s14, s14, 1
	global_load_u8 v5, v7, s[18:19]
	s_addc_u32 s15, s15, 0
	s_waitcnt vmcnt(0)
	v_and_b32_e32 v6, 0xffff, v5
	s_delay_alu instid0(VALU_DEP_1) | instskip(SKIP_3) | instid1(VALU_DEP_1)
	v_lshlrev_b64 v[5:6], s12, v[6:7]
	s_add_u32 s12, s12, 8
	s_addc_u32 s13, s13, 0
	s_cmp_lg_u32 s17, s14
	v_or_b32_e32 v20, v5, v20
	s_delay_alu instid0(VALU_DEP_2)
	v_or_b32_e32 v21, v6, v21
	s_cbranch_scc1 .LBB3_171
.LBB3_172:                              ;   in Loop: Header=BB3_140 Depth=1
	s_mov_b32 s16, 0
	s_cbranch_execz .LBB3_174
	s_branch .LBB3_175
.LBB3_173:                              ;   in Loop: Header=BB3_140 Depth=1
                                        ; implicit-def: $sgpr16
.LBB3_174:                              ;   in Loop: Header=BB3_140 Depth=1
	global_load_b64 v[20:21], v7, s[0:1]
	s_add_i32 s16, s17, -8
	s_add_u32 s0, s0, 8
	s_addc_u32 s1, s1, 0
.LBB3_175:                              ;   in Loop: Header=BB3_140 Depth=1
	s_cmp_gt_u32 s16, 7
	s_cbranch_scc1 .LBB3_180
; %bb.176:                              ;   in Loop: Header=BB3_140 Depth=1
	v_mov_b32_e32 v22, 0
	v_mov_b32_e32 v23, 0
	s_cmp_eq_u32 s16, 0
	s_cbranch_scc1 .LBB3_179
; %bb.177:                              ;   in Loop: Header=BB3_140 Depth=1
	s_mov_b64 s[12:13], 0
	s_mov_b64 s[14:15], 0
.LBB3_178:                              ;   Parent Loop BB3_140 Depth=1
                                        ; =>  This Inner Loop Header: Depth=2
	s_delay_alu instid0(SALU_CYCLE_1)
	s_add_u32 s18, s0, s14
	s_addc_u32 s19, s1, s15
	s_add_u32 s14, s14, 1
	global_load_u8 v5, v7, s[18:19]
	s_addc_u32 s15, s15, 0
	s_waitcnt vmcnt(0)
	v_and_b32_e32 v6, 0xffff, v5
	s_delay_alu instid0(VALU_DEP_1) | instskip(SKIP_3) | instid1(VALU_DEP_1)
	v_lshlrev_b64 v[5:6], s12, v[6:7]
	s_add_u32 s12, s12, 8
	s_addc_u32 s13, s13, 0
	s_cmp_lg_u32 s16, s14
	v_or_b32_e32 v22, v5, v22
	s_delay_alu instid0(VALU_DEP_2)
	v_or_b32_e32 v23, v6, v23
	s_cbranch_scc1 .LBB3_178
.LBB3_179:                              ;   in Loop: Header=BB3_140 Depth=1
	s_mov_b32 s17, 0
	s_cbranch_execz .LBB3_181
	s_branch .LBB3_182
.LBB3_180:                              ;   in Loop: Header=BB3_140 Depth=1
                                        ; implicit-def: $vgpr22_vgpr23
                                        ; implicit-def: $sgpr17
.LBB3_181:                              ;   in Loop: Header=BB3_140 Depth=1
	global_load_b64 v[22:23], v7, s[0:1]
	s_add_i32 s17, s16, -8
	s_add_u32 s0, s0, 8
	s_addc_u32 s1, s1, 0
.LBB3_182:                              ;   in Loop: Header=BB3_140 Depth=1
	s_cmp_gt_u32 s17, 7
	s_cbranch_scc1 .LBB3_187
; %bb.183:                              ;   in Loop: Header=BB3_140 Depth=1
	v_mov_b32_e32 v24, 0
	v_mov_b32_e32 v25, 0
	s_cmp_eq_u32 s17, 0
	s_cbranch_scc1 .LBB3_186
; %bb.184:                              ;   in Loop: Header=BB3_140 Depth=1
	s_mov_b64 s[12:13], 0
	s_mov_b64 s[14:15], s[0:1]
.LBB3_185:                              ;   Parent Loop BB3_140 Depth=1
                                        ; =>  This Inner Loop Header: Depth=2
	global_load_u8 v5, v7, s[14:15]
	s_add_i32 s17, s17, -1
	s_waitcnt vmcnt(0)
	v_and_b32_e32 v6, 0xffff, v5
	s_delay_alu instid0(VALU_DEP_1)
	v_lshlrev_b64 v[5:6], s12, v[6:7]
	s_add_u32 s12, s12, 8
	s_addc_u32 s13, s13, 0
	s_add_u32 s14, s14, 1
	s_addc_u32 s15, s15, 0
	s_cmp_lg_u32 s17, 0
	v_or_b32_e32 v24, v5, v24
	v_or_b32_e32 v25, v6, v25
	s_cbranch_scc1 .LBB3_185
.LBB3_186:                              ;   in Loop: Header=BB3_140 Depth=1
	s_cbranch_execz .LBB3_188
	s_branch .LBB3_189
.LBB3_187:                              ;   in Loop: Header=BB3_140 Depth=1
.LBB3_188:                              ;   in Loop: Header=BB3_140 Depth=1
	global_load_b64 v[24:25], v7, s[0:1]
.LBB3_189:                              ;   in Loop: Header=BB3_140 Depth=1
	v_readfirstlane_b32 s0, v33
	s_waitcnt vmcnt(0)
	v_mov_b32_e32 v5, 0
	v_mov_b32_e32 v6, 0
	s_delay_alu instid0(VALU_DEP_3) | instskip(NEXT) | instid1(VALU_DEP_1)
	v_cmp_eq_u32_e64 s0, s0, v33
	s_and_saveexec_b32 s1, s0
	s_cbranch_execz .LBB3_195
; %bb.190:                              ;   in Loop: Header=BB3_140 Depth=1
	global_load_b64 v[28:29], v7, s[2:3] offset:24 glc
	s_waitcnt vmcnt(0)
	buffer_gl1_inv
	buffer_gl0_inv
	s_clause 0x1
	global_load_b64 v[5:6], v7, s[2:3] offset:40
	global_load_b64 v[10:11], v7, s[2:3]
	s_mov_b32 s12, exec_lo
	s_waitcnt vmcnt(1)
	v_and_b32_e32 v6, v6, v29
	v_and_b32_e32 v5, v5, v28
	s_delay_alu instid0(VALU_DEP_2) | instskip(NEXT) | instid1(VALU_DEP_2)
	v_mul_lo_u32 v6, v6, 24
	v_mul_hi_u32 v26, v5, 24
	v_mul_lo_u32 v5, v5, 24
	s_delay_alu instid0(VALU_DEP_2) | instskip(SKIP_1) | instid1(VALU_DEP_2)
	v_add_nc_u32_e32 v6, v26, v6
	s_waitcnt vmcnt(0)
	v_add_co_u32 v5, vcc_lo, v10, v5
	s_delay_alu instid0(VALU_DEP_2)
	v_add_co_ci_u32_e32 v6, vcc_lo, v11, v6, vcc_lo
	global_load_b64 v[26:27], v[5:6], off glc
	s_waitcnt vmcnt(0)
	global_atomic_cmpswap_b64 v[5:6], v7, v[26:29], s[2:3] offset:24 glc
	s_waitcnt vmcnt(0)
	buffer_gl1_inv
	buffer_gl0_inv
	v_cmpx_ne_u64_e64 v[5:6], v[28:29]
	s_cbranch_execz .LBB3_194
; %bb.191:                              ;   in Loop: Header=BB3_140 Depth=1
	s_mov_b32 s13, 0
	.p2align	6
.LBB3_192:                              ;   Parent Loop BB3_140 Depth=1
                                        ; =>  This Inner Loop Header: Depth=2
	s_sleep 1
	s_clause 0x1
	global_load_b64 v[10:11], v7, s[2:3] offset:40
	global_load_b64 v[26:27], v7, s[2:3]
	v_dual_mov_b32 v29, v6 :: v_dual_mov_b32 v28, v5
	s_waitcnt vmcnt(1)
	s_delay_alu instid0(VALU_DEP_1) | instskip(SKIP_1) | instid1(VALU_DEP_1)
	v_and_b32_e32 v10, v10, v28
	s_waitcnt vmcnt(0)
	v_mad_u64_u32 v[5:6], null, v10, 24, v[26:27]
	v_and_b32_e32 v26, v11, v29
	s_delay_alu instid0(VALU_DEP_1) | instskip(NEXT) | instid1(VALU_DEP_1)
	v_mad_u64_u32 v[10:11], null, v26, 24, v[6:7]
	v_mov_b32_e32 v6, v10
	global_load_b64 v[26:27], v[5:6], off glc
	s_waitcnt vmcnt(0)
	global_atomic_cmpswap_b64 v[5:6], v7, v[26:29], s[2:3] offset:24 glc
	s_waitcnt vmcnt(0)
	buffer_gl1_inv
	buffer_gl0_inv
	v_cmp_eq_u64_e32 vcc_lo, v[5:6], v[28:29]
	s_or_b32 s13, vcc_lo, s13
	s_delay_alu instid0(SALU_CYCLE_1)
	s_and_not1_b32 exec_lo, exec_lo, s13
	s_cbranch_execnz .LBB3_192
; %bb.193:                              ;   in Loop: Header=BB3_140 Depth=1
	s_or_b32 exec_lo, exec_lo, s13
.LBB3_194:                              ;   in Loop: Header=BB3_140 Depth=1
	s_delay_alu instid0(SALU_CYCLE_1)
	s_or_b32 exec_lo, exec_lo, s12
.LBB3_195:                              ;   in Loop: Header=BB3_140 Depth=1
	s_delay_alu instid0(SALU_CYCLE_1)
	s_or_b32 exec_lo, exec_lo, s1
	s_clause 0x1
	global_load_b64 v[10:11], v7, s[2:3] offset:40
	global_load_b128 v[26:29], v7, s[2:3]
	v_readfirstlane_b32 s12, v5
	v_readfirstlane_b32 s13, v6
	s_mov_b32 s1, exec_lo
	s_waitcnt vmcnt(1)
	v_readfirstlane_b32 s14, v10
	v_readfirstlane_b32 s15, v11
	s_delay_alu instid0(VALU_DEP_1) | instskip(NEXT) | instid1(SALU_CYCLE_1)
	s_and_b64 s[14:15], s[12:13], s[14:15]
	s_mul_i32 s16, s15, 24
	s_mul_hi_u32 s17, s14, 24
	s_mul_i32 s18, s14, 24
	s_add_i32 s17, s17, s16
	s_waitcnt vmcnt(0)
	v_add_co_u32 v30, vcc_lo, v26, s18
	v_add_co_ci_u32_e32 v31, vcc_lo, s17, v27, vcc_lo
	s_and_saveexec_b32 s16, s0
	s_cbranch_execz .LBB3_197
; %bb.196:                              ;   in Loop: Header=BB3_140 Depth=1
	v_mov_b32_e32 v6, s1
	global_store_b128 v[30:31], v[6:9], off offset:8
.LBB3_197:                              ;   in Loop: Header=BB3_140 Depth=1
	s_or_b32 exec_lo, exec_lo, s16
	s_lshl_b64 s[14:15], s[14:15], 12
	v_cmp_gt_u64_e64 vcc_lo, s[4:5], 56
	v_or_b32_e32 v6, v3, v34
	v_add_co_u32 v28, s1, v28, s14
	s_delay_alu instid0(VALU_DEP_1)
	v_add_co_ci_u32_e64 v29, s1, s15, v29, s1
	s_lshl_b32 s1, s10, 2
	v_or_b32_e32 v5, 0, v4
	v_cndmask_b32_e32 v3, v6, v3, vcc_lo
	s_add_i32 s1, s1, 28
	v_readfirstlane_b32 s14, v28
	s_and_b32 s1, s1, 0x1e0
	v_cndmask_b32_e32 v11, v5, v4, vcc_lo
	v_readfirstlane_b32 s15, v29
	v_and_or_b32 v10, 0xffffff1f, v3, s1
	s_clause 0x3
	global_store_b128 v32, v[10:13], s[14:15]
	global_store_b128 v32, v[14:17], s[14:15] offset:16
	global_store_b128 v32, v[18:21], s[14:15] offset:32
	;; [unrolled: 1-line block ×3, first 2 shown]
	s_and_saveexec_b32 s1, s0
	s_cbranch_execz .LBB3_205
; %bb.198:                              ;   in Loop: Header=BB3_140 Depth=1
	s_clause 0x1
	global_load_b64 v[14:15], v7, s[2:3] offset:32 glc
	global_load_b64 v[3:4], v7, s[2:3] offset:40
	v_dual_mov_b32 v12, s12 :: v_dual_mov_b32 v13, s13
	s_waitcnt vmcnt(0)
	v_readfirstlane_b32 s14, v3
	v_readfirstlane_b32 s15, v4
	s_delay_alu instid0(VALU_DEP_1) | instskip(NEXT) | instid1(SALU_CYCLE_1)
	s_and_b64 s[14:15], s[14:15], s[12:13]
	s_mul_i32 s15, s15, 24
	s_mul_hi_u32 s16, s14, 24
	s_mul_i32 s14, s14, 24
	s_add_i32 s16, s16, s15
	v_add_co_u32 v10, vcc_lo, v26, s14
	v_add_co_ci_u32_e32 v11, vcc_lo, s16, v27, vcc_lo
	s_mov_b32 s14, exec_lo
	global_store_b64 v[10:11], v[14:15], off
	s_waitcnt_vscnt null, 0x0
	global_atomic_cmpswap_b64 v[5:6], v7, v[12:15], s[2:3] offset:32 glc
	s_waitcnt vmcnt(0)
	v_cmpx_ne_u64_e64 v[5:6], v[14:15]
	s_cbranch_execz .LBB3_201
; %bb.199:                              ;   in Loop: Header=BB3_140 Depth=1
	s_mov_b32 s15, 0
.LBB3_200:                              ;   Parent Loop BB3_140 Depth=1
                                        ; =>  This Inner Loop Header: Depth=2
	v_dual_mov_b32 v3, s12 :: v_dual_mov_b32 v4, s13
	s_sleep 1
	global_store_b64 v[10:11], v[5:6], off
	s_waitcnt_vscnt null, 0x0
	global_atomic_cmpswap_b64 v[3:4], v7, v[3:6], s[2:3] offset:32 glc
	s_waitcnt vmcnt(0)
	v_cmp_eq_u64_e32 vcc_lo, v[3:4], v[5:6]
	v_dual_mov_b32 v6, v4 :: v_dual_mov_b32 v5, v3
	s_or_b32 s15, vcc_lo, s15
	s_delay_alu instid0(SALU_CYCLE_1)
	s_and_not1_b32 exec_lo, exec_lo, s15
	s_cbranch_execnz .LBB3_200
.LBB3_201:                              ;   in Loop: Header=BB3_140 Depth=1
	s_or_b32 exec_lo, exec_lo, s14
	global_load_b64 v[3:4], v7, s[2:3] offset:16
	s_mov_b32 s15, exec_lo
	s_mov_b32 s14, exec_lo
	v_mbcnt_lo_u32_b32 v5, s15, 0
	s_delay_alu instid0(VALU_DEP_1)
	v_cmpx_eq_u32_e32 0, v5
	s_cbranch_execz .LBB3_203
; %bb.202:                              ;   in Loop: Header=BB3_140 Depth=1
	s_bcnt1_i32_b32 s15, s15
	s_delay_alu instid0(SALU_CYCLE_1)
	v_mov_b32_e32 v6, s15
	s_waitcnt vmcnt(0)
	global_atomic_add_u64 v[3:4], v[6:7], off offset:8
.LBB3_203:                              ;   in Loop: Header=BB3_140 Depth=1
	s_or_b32 exec_lo, exec_lo, s14
	s_waitcnt vmcnt(0)
	global_load_b64 v[10:11], v[3:4], off offset:16
	s_waitcnt vmcnt(0)
	v_cmp_eq_u64_e32 vcc_lo, 0, v[10:11]
	s_cbranch_vccnz .LBB3_205
; %bb.204:                              ;   in Loop: Header=BB3_140 Depth=1
	global_load_b32 v6, v[3:4], off offset:24
	s_waitcnt vmcnt(0)
	v_and_b32_e32 v3, 0xffffff, v6
	s_waitcnt_vscnt null, 0x0
	global_store_b64 v[10:11], v[6:7], off
	v_readfirstlane_b32 m0, v3
	s_sendmsg sendmsg(MSG_INTERRUPT)
.LBB3_205:                              ;   in Loop: Header=BB3_140 Depth=1
	s_or_b32 exec_lo, exec_lo, s1
	v_add_co_u32 v3, vcc_lo, v28, v32
	v_add_co_ci_u32_e32 v4, vcc_lo, 0, v29, vcc_lo
	s_branch .LBB3_209
	.p2align	6
.LBB3_206:                              ;   in Loop: Header=BB3_209 Depth=2
	s_or_b32 exec_lo, exec_lo, s1
	s_delay_alu instid0(VALU_DEP_1) | instskip(NEXT) | instid1(VALU_DEP_1)
	v_readfirstlane_b32 s1, v5
	s_cmp_eq_u32 s1, 0
	s_cbranch_scc1 .LBB3_208
; %bb.207:                              ;   in Loop: Header=BB3_209 Depth=2
	s_sleep 1
	s_cbranch_execnz .LBB3_209
	s_branch .LBB3_211
	.p2align	6
.LBB3_208:                              ;   in Loop: Header=BB3_140 Depth=1
	s_branch .LBB3_211
.LBB3_209:                              ;   Parent Loop BB3_140 Depth=1
                                        ; =>  This Inner Loop Header: Depth=2
	v_mov_b32_e32 v5, 1
	s_and_saveexec_b32 s1, s0
	s_cbranch_execz .LBB3_206
; %bb.210:                              ;   in Loop: Header=BB3_209 Depth=2
	global_load_b32 v5, v[30:31], off offset:20 glc
	s_waitcnt vmcnt(0)
	buffer_gl1_inv
	buffer_gl0_inv
	v_and_b32_e32 v5, 1, v5
	s_branch .LBB3_206
.LBB3_211:                              ;   in Loop: Header=BB3_140 Depth=1
	global_load_b128 v[3:6], v[3:4], off
	s_and_saveexec_b32 s1, s0
	s_cbranch_execz .LBB3_139
; %bb.212:                              ;   in Loop: Header=BB3_140 Depth=1
	s_clause 0x2
	global_load_b64 v[5:6], v7, s[2:3] offset:40
	global_load_b64 v[14:15], v7, s[2:3] offset:24 glc
	global_load_b64 v[12:13], v7, s[2:3]
	s_waitcnt vmcnt(2)
	v_add_co_u32 v16, vcc_lo, v5, 1
	v_add_co_ci_u32_e32 v17, vcc_lo, 0, v6, vcc_lo
	s_delay_alu instid0(VALU_DEP_2) | instskip(NEXT) | instid1(VALU_DEP_2)
	v_add_co_u32 v10, vcc_lo, v16, s12
	v_add_co_ci_u32_e32 v11, vcc_lo, s13, v17, vcc_lo
	s_delay_alu instid0(VALU_DEP_1) | instskip(SKIP_1) | instid1(VALU_DEP_1)
	v_cmp_eq_u64_e32 vcc_lo, 0, v[10:11]
	v_dual_cndmask_b32 v11, v11, v17 :: v_dual_cndmask_b32 v10, v10, v16
	v_and_b32_e32 v6, v11, v6
	s_delay_alu instid0(VALU_DEP_2) | instskip(NEXT) | instid1(VALU_DEP_2)
	v_and_b32_e32 v5, v10, v5
	v_mul_lo_u32 v6, v6, 24
	s_delay_alu instid0(VALU_DEP_2) | instskip(SKIP_1) | instid1(VALU_DEP_2)
	v_mul_hi_u32 v16, v5, 24
	v_mul_lo_u32 v5, v5, 24
	v_add_nc_u32_e32 v6, v16, v6
	s_waitcnt vmcnt(0)
	s_delay_alu instid0(VALU_DEP_2) | instskip(SKIP_1) | instid1(VALU_DEP_3)
	v_add_co_u32 v5, vcc_lo, v12, v5
	v_mov_b32_e32 v12, v14
	v_add_co_ci_u32_e32 v6, vcc_lo, v13, v6, vcc_lo
	v_mov_b32_e32 v13, v15
	global_store_b64 v[5:6], v[14:15], off
	s_waitcnt_vscnt null, 0x0
	global_atomic_cmpswap_b64 v[12:13], v7, v[10:13], s[2:3] offset:24 glc
	s_waitcnt vmcnt(0)
	v_cmp_ne_u64_e32 vcc_lo, v[12:13], v[14:15]
	s_and_b32 exec_lo, exec_lo, vcc_lo
	s_cbranch_execz .LBB3_139
; %bb.213:                              ;   in Loop: Header=BB3_140 Depth=1
	s_mov_b32 s0, 0
.LBB3_214:                              ;   Parent Loop BB3_140 Depth=1
                                        ; =>  This Inner Loop Header: Depth=2
	s_sleep 1
	global_store_b64 v[5:6], v[12:13], off
	s_waitcnt_vscnt null, 0x0
	global_atomic_cmpswap_b64 v[14:15], v7, v[10:13], s[2:3] offset:24 glc
	s_waitcnt vmcnt(0)
	v_cmp_eq_u64_e32 vcc_lo, v[14:15], v[12:13]
	v_dual_mov_b32 v12, v14 :: v_dual_mov_b32 v13, v15
	s_or_b32 s0, vcc_lo, s0
	s_delay_alu instid0(SALU_CYCLE_1)
	s_and_not1_b32 exec_lo, exec_lo, s0
	s_cbranch_execnz .LBB3_214
	s_branch .LBB3_139
.LBB3_215:
                                        ; implicit-def: $vgpr3_vgpr4
	s_cbranch_execnz .LBB3_217
	s_branch .LBB3_244
.LBB3_216:
	s_branch .LBB3_244
.LBB3_217:
	v_readfirstlane_b32 s0, v33
	v_mov_b32_e32 v9, 0
	v_mov_b32_e32 v10, 0
	s_delay_alu instid0(VALU_DEP_3) | instskip(NEXT) | instid1(VALU_DEP_1)
	v_cmp_eq_u32_e64 s0, s0, v33
	s_and_saveexec_b32 s1, s0
	s_cbranch_execz .LBB3_223
; %bb.218:
	s_waitcnt vmcnt(0)
	v_mov_b32_e32 v3, 0
	s_mov_b32 s4, exec_lo
	global_load_b64 v[6:7], v3, s[2:3] offset:24 glc
	s_waitcnt vmcnt(0)
	buffer_gl1_inv
	buffer_gl0_inv
	s_clause 0x1
	global_load_b64 v[4:5], v3, s[2:3] offset:40
	global_load_b64 v[8:9], v3, s[2:3]
	s_waitcnt vmcnt(1)
	v_and_b32_e32 v4, v4, v6
	v_and_b32_e32 v5, v5, v7
	s_delay_alu instid0(VALU_DEP_2) | instskip(NEXT) | instid1(VALU_DEP_2)
	v_mul_hi_u32 v10, v4, 24
	v_mul_lo_u32 v5, v5, 24
	v_mul_lo_u32 v4, v4, 24
	s_delay_alu instid0(VALU_DEP_2) | instskip(SKIP_1) | instid1(VALU_DEP_2)
	v_add_nc_u32_e32 v5, v10, v5
	s_waitcnt vmcnt(0)
	v_add_co_u32 v4, vcc_lo, v8, v4
	s_delay_alu instid0(VALU_DEP_2)
	v_add_co_ci_u32_e32 v5, vcc_lo, v9, v5, vcc_lo
	global_load_b64 v[4:5], v[4:5], off glc
	s_waitcnt vmcnt(0)
	global_atomic_cmpswap_b64 v[9:10], v3, v[4:7], s[2:3] offset:24 glc
	s_waitcnt vmcnt(0)
	buffer_gl1_inv
	buffer_gl0_inv
	v_cmpx_ne_u64_e64 v[9:10], v[6:7]
	s_cbranch_execz .LBB3_222
; %bb.219:
	s_mov_b32 s5, 0
	.p2align	6
.LBB3_220:                              ; =>This Inner Loop Header: Depth=1
	s_sleep 1
	s_clause 0x1
	global_load_b64 v[4:5], v3, s[2:3] offset:40
	global_load_b64 v[11:12], v3, s[2:3]
	v_dual_mov_b32 v6, v9 :: v_dual_mov_b32 v7, v10
	s_waitcnt vmcnt(1)
	s_delay_alu instid0(VALU_DEP_1) | instskip(NEXT) | instid1(VALU_DEP_2)
	v_and_b32_e32 v4, v4, v6
	v_and_b32_e32 v5, v5, v7
	s_waitcnt vmcnt(0)
	s_delay_alu instid0(VALU_DEP_2) | instskip(NEXT) | instid1(VALU_DEP_1)
	v_mad_u64_u32 v[8:9], null, v4, 24, v[11:12]
	v_mov_b32_e32 v4, v9
	s_delay_alu instid0(VALU_DEP_1)
	v_mad_u64_u32 v[9:10], null, v5, 24, v[4:5]
	global_load_b64 v[4:5], v[8:9], off glc
	s_waitcnt vmcnt(0)
	global_atomic_cmpswap_b64 v[9:10], v3, v[4:7], s[2:3] offset:24 glc
	s_waitcnt vmcnt(0)
	buffer_gl1_inv
	buffer_gl0_inv
	v_cmp_eq_u64_e32 vcc_lo, v[9:10], v[6:7]
	s_or_b32 s5, vcc_lo, s5
	s_delay_alu instid0(SALU_CYCLE_1)
	s_and_not1_b32 exec_lo, exec_lo, s5
	s_cbranch_execnz .LBB3_220
; %bb.221:
	s_or_b32 exec_lo, exec_lo, s5
.LBB3_222:
	s_delay_alu instid0(SALU_CYCLE_1)
	s_or_b32 exec_lo, exec_lo, s4
.LBB3_223:
	s_delay_alu instid0(SALU_CYCLE_1)
	s_or_b32 exec_lo, exec_lo, s1
	s_waitcnt vmcnt(0)
	v_mov_b32_e32 v3, 0
	v_readfirstlane_b32 s4, v9
	v_readfirstlane_b32 s5, v10
	s_mov_b32 s1, exec_lo
	s_clause 0x1
	global_load_b64 v[11:12], v3, s[2:3] offset:40
	global_load_b128 v[5:8], v3, s[2:3]
	s_waitcnt vmcnt(1)
	v_readfirstlane_b32 s6, v11
	v_readfirstlane_b32 s7, v12
	s_delay_alu instid0(VALU_DEP_1) | instskip(NEXT) | instid1(SALU_CYCLE_1)
	s_and_b64 s[6:7], s[4:5], s[6:7]
	s_mul_i32 s10, s7, 24
	s_mul_hi_u32 s11, s6, 24
	s_mul_i32 s12, s6, 24
	s_add_i32 s11, s11, s10
	s_waitcnt vmcnt(0)
	v_add_co_u32 v9, vcc_lo, v5, s12
	v_add_co_ci_u32_e32 v10, vcc_lo, s11, v6, vcc_lo
	s_and_saveexec_b32 s10, s0
	s_cbranch_execz .LBB3_225
; %bb.224:
	v_dual_mov_b32 v11, s1 :: v_dual_mov_b32 v12, v3
	v_dual_mov_b32 v13, 2 :: v_dual_mov_b32 v14, 1
	global_store_b128 v[9:10], v[11:14], off offset:8
.LBB3_225:
	s_or_b32 exec_lo, exec_lo, s10
	s_lshl_b64 s[6:7], s[6:7], 12
	s_mov_b32 s12, 0
	v_add_co_u32 v7, vcc_lo, v7, s6
	v_add_co_ci_u32_e32 v8, vcc_lo, s7, v8, vcc_lo
	s_mov_b32 s13, s12
	s_delay_alu instid0(VALU_DEP_2)
	v_readfirstlane_b32 s6, v7
	v_add_co_u32 v7, vcc_lo, v7, v32
	s_mov_b32 s14, s12
	s_mov_b32 s15, s12
	v_and_or_b32 v1, 0xffffff1f, v1, 32
	v_dual_mov_b32 v4, v3 :: v_dual_mov_b32 v11, s12
	v_readfirstlane_b32 s7, v8
	v_add_co_ci_u32_e32 v8, vcc_lo, 0, v8, vcc_lo
	v_dual_mov_b32 v12, s13 :: v_dual_mov_b32 v13, s14
	v_mov_b32_e32 v14, s15
	s_clause 0x3
	global_store_b128 v32, v[1:4], s[6:7]
	global_store_b128 v32, v[11:14], s[6:7] offset:16
	global_store_b128 v32, v[11:14], s[6:7] offset:32
	;; [unrolled: 1-line block ×3, first 2 shown]
	s_and_saveexec_b32 s1, s0
	s_cbranch_execz .LBB3_233
; %bb.226:
	v_dual_mov_b32 v11, 0 :: v_dual_mov_b32 v12, s4
	v_mov_b32_e32 v13, s5
	s_clause 0x1
	global_load_b64 v[14:15], v11, s[2:3] offset:32 glc
	global_load_b64 v[1:2], v11, s[2:3] offset:40
	s_waitcnt vmcnt(0)
	v_readfirstlane_b32 s6, v1
	v_readfirstlane_b32 s7, v2
	s_delay_alu instid0(VALU_DEP_1) | instskip(NEXT) | instid1(SALU_CYCLE_1)
	s_and_b64 s[6:7], s[6:7], s[4:5]
	s_mul_i32 s7, s7, 24
	s_mul_hi_u32 s10, s6, 24
	s_mul_i32 s6, s6, 24
	s_add_i32 s10, s10, s7
	v_add_co_u32 v5, vcc_lo, v5, s6
	v_add_co_ci_u32_e32 v6, vcc_lo, s10, v6, vcc_lo
	s_mov_b32 s6, exec_lo
	global_store_b64 v[5:6], v[14:15], off
	s_waitcnt_vscnt null, 0x0
	global_atomic_cmpswap_b64 v[3:4], v11, v[12:15], s[2:3] offset:32 glc
	s_waitcnt vmcnt(0)
	v_cmpx_ne_u64_e64 v[3:4], v[14:15]
	s_cbranch_execz .LBB3_229
; %bb.227:
	s_mov_b32 s7, 0
.LBB3_228:                              ; =>This Inner Loop Header: Depth=1
	v_dual_mov_b32 v1, s4 :: v_dual_mov_b32 v2, s5
	s_sleep 1
	global_store_b64 v[5:6], v[3:4], off
	s_waitcnt_vscnt null, 0x0
	global_atomic_cmpswap_b64 v[1:2], v11, v[1:4], s[2:3] offset:32 glc
	s_waitcnt vmcnt(0)
	v_cmp_eq_u64_e32 vcc_lo, v[1:2], v[3:4]
	v_dual_mov_b32 v4, v2 :: v_dual_mov_b32 v3, v1
	s_or_b32 s7, vcc_lo, s7
	s_delay_alu instid0(SALU_CYCLE_1)
	s_and_not1_b32 exec_lo, exec_lo, s7
	s_cbranch_execnz .LBB3_228
.LBB3_229:
	s_or_b32 exec_lo, exec_lo, s6
	v_mov_b32_e32 v4, 0
	s_mov_b32 s7, exec_lo
	s_mov_b32 s6, exec_lo
	v_mbcnt_lo_u32_b32 v3, s7, 0
	global_load_b64 v[1:2], v4, s[2:3] offset:16
	v_cmpx_eq_u32_e32 0, v3
	s_cbranch_execz .LBB3_231
; %bb.230:
	s_bcnt1_i32_b32 s7, s7
	s_delay_alu instid0(SALU_CYCLE_1)
	v_mov_b32_e32 v3, s7
	s_waitcnt vmcnt(0)
	global_atomic_add_u64 v[1:2], v[3:4], off offset:8
.LBB3_231:
	s_or_b32 exec_lo, exec_lo, s6
	s_waitcnt vmcnt(0)
	global_load_b64 v[3:4], v[1:2], off offset:16
	s_waitcnt vmcnt(0)
	v_cmp_eq_u64_e32 vcc_lo, 0, v[3:4]
	s_cbranch_vccnz .LBB3_233
; %bb.232:
	global_load_b32 v1, v[1:2], off offset:24
	s_waitcnt vmcnt(0)
	v_dual_mov_b32 v2, 0 :: v_dual_and_b32 v5, 0xffffff, v1
	s_waitcnt_vscnt null, 0x0
	global_store_b64 v[3:4], v[1:2], off
	v_readfirstlane_b32 m0, v5
	s_sendmsg sendmsg(MSG_INTERRUPT)
.LBB3_233:
	s_or_b32 exec_lo, exec_lo, s1
	s_branch .LBB3_237
	.p2align	6
.LBB3_234:                              ;   in Loop: Header=BB3_237 Depth=1
	s_or_b32 exec_lo, exec_lo, s1
	s_delay_alu instid0(VALU_DEP_1) | instskip(NEXT) | instid1(VALU_DEP_1)
	v_readfirstlane_b32 s1, v1
	s_cmp_eq_u32 s1, 0
	s_cbranch_scc1 .LBB3_236
; %bb.235:                              ;   in Loop: Header=BB3_237 Depth=1
	s_sleep 1
	s_cbranch_execnz .LBB3_237
	s_branch .LBB3_239
	.p2align	6
.LBB3_236:
	s_branch .LBB3_239
.LBB3_237:                              ; =>This Inner Loop Header: Depth=1
	v_mov_b32_e32 v1, 1
	s_and_saveexec_b32 s1, s0
	s_cbranch_execz .LBB3_234
; %bb.238:                              ;   in Loop: Header=BB3_237 Depth=1
	global_load_b32 v1, v[9:10], off offset:20 glc
	s_waitcnt vmcnt(0)
	buffer_gl1_inv
	buffer_gl0_inv
	v_and_b32_e32 v1, 1, v1
	s_branch .LBB3_234
.LBB3_239:
	global_load_b64 v[3:4], v[7:8], off
	s_and_saveexec_b32 s1, s0
	s_cbranch_execz .LBB3_243
; %bb.240:
	v_mov_b32_e32 v9, 0
	s_clause 0x2
	global_load_b64 v[1:2], v9, s[2:3] offset:40
	global_load_b64 v[10:11], v9, s[2:3] offset:24 glc
	global_load_b64 v[7:8], v9, s[2:3]
	s_waitcnt vmcnt(2)
	v_add_co_u32 v12, vcc_lo, v1, 1
	v_add_co_ci_u32_e32 v13, vcc_lo, 0, v2, vcc_lo
	s_delay_alu instid0(VALU_DEP_2) | instskip(NEXT) | instid1(VALU_DEP_2)
	v_add_co_u32 v5, vcc_lo, v12, s4
	v_add_co_ci_u32_e32 v6, vcc_lo, s5, v13, vcc_lo
	s_delay_alu instid0(VALU_DEP_1) | instskip(SKIP_1) | instid1(VALU_DEP_1)
	v_cmp_eq_u64_e32 vcc_lo, 0, v[5:6]
	v_dual_cndmask_b32 v6, v6, v13 :: v_dual_cndmask_b32 v5, v5, v12
	v_and_b32_e32 v2, v6, v2
	s_delay_alu instid0(VALU_DEP_2) | instskip(NEXT) | instid1(VALU_DEP_2)
	v_and_b32_e32 v1, v5, v1
	v_mul_lo_u32 v2, v2, 24
	s_delay_alu instid0(VALU_DEP_2) | instskip(SKIP_1) | instid1(VALU_DEP_2)
	v_mul_hi_u32 v12, v1, 24
	v_mul_lo_u32 v1, v1, 24
	v_add_nc_u32_e32 v2, v12, v2
	s_waitcnt vmcnt(0)
	s_delay_alu instid0(VALU_DEP_2) | instskip(SKIP_1) | instid1(VALU_DEP_3)
	v_add_co_u32 v1, vcc_lo, v7, v1
	v_mov_b32_e32 v7, v10
	v_add_co_ci_u32_e32 v2, vcc_lo, v8, v2, vcc_lo
	v_mov_b32_e32 v8, v11
	global_store_b64 v[1:2], v[10:11], off
	s_waitcnt_vscnt null, 0x0
	global_atomic_cmpswap_b64 v[7:8], v9, v[5:8], s[2:3] offset:24 glc
	s_waitcnt vmcnt(0)
	v_cmp_ne_u64_e32 vcc_lo, v[7:8], v[10:11]
	s_and_b32 exec_lo, exec_lo, vcc_lo
	s_cbranch_execz .LBB3_243
; %bb.241:
	s_mov_b32 s0, 0
.LBB3_242:                              ; =>This Inner Loop Header: Depth=1
	s_sleep 1
	global_store_b64 v[1:2], v[7:8], off
	s_waitcnt_vscnt null, 0x0
	global_atomic_cmpswap_b64 v[10:11], v9, v[5:8], s[2:3] offset:24 glc
	s_waitcnt vmcnt(0)
	v_cmp_eq_u64_e32 vcc_lo, v[10:11], v[7:8]
	v_dual_mov_b32 v7, v10 :: v_dual_mov_b32 v8, v11
	s_or_b32 s0, vcc_lo, s0
	s_delay_alu instid0(SALU_CYCLE_1)
	s_and_not1_b32 exec_lo, exec_lo, s0
	s_cbranch_execnz .LBB3_242
.LBB3_243:
	s_or_b32 exec_lo, exec_lo, s1
.LBB3_244:
	v_readfirstlane_b32 s0, v33
	s_waitcnt vmcnt(0)
	v_mov_b32_e32 v1, 0
	v_mov_b32_e32 v2, 0
	s_delay_alu instid0(VALU_DEP_3) | instskip(NEXT) | instid1(VALU_DEP_1)
	v_cmp_eq_u32_e64 s0, s0, v33
	s_and_saveexec_b32 s1, s0
	s_cbranch_execz .LBB3_250
; %bb.245:
	v_mov_b32_e32 v5, 0
	s_mov_b32 s4, exec_lo
	global_load_b64 v[8:9], v5, s[2:3] offset:24 glc
	s_waitcnt vmcnt(0)
	buffer_gl1_inv
	buffer_gl0_inv
	s_clause 0x1
	global_load_b64 v[1:2], v5, s[2:3] offset:40
	global_load_b64 v[6:7], v5, s[2:3]
	s_waitcnt vmcnt(1)
	v_and_b32_e32 v2, v2, v9
	v_and_b32_e32 v1, v1, v8
	s_delay_alu instid0(VALU_DEP_2) | instskip(NEXT) | instid1(VALU_DEP_2)
	v_mul_lo_u32 v2, v2, 24
	v_mul_hi_u32 v10, v1, 24
	v_mul_lo_u32 v1, v1, 24
	s_delay_alu instid0(VALU_DEP_2) | instskip(SKIP_1) | instid1(VALU_DEP_2)
	v_add_nc_u32_e32 v2, v10, v2
	s_waitcnt vmcnt(0)
	v_add_co_u32 v1, vcc_lo, v6, v1
	s_delay_alu instid0(VALU_DEP_2)
	v_add_co_ci_u32_e32 v2, vcc_lo, v7, v2, vcc_lo
	global_load_b64 v[6:7], v[1:2], off glc
	s_waitcnt vmcnt(0)
	global_atomic_cmpswap_b64 v[1:2], v5, v[6:9], s[2:3] offset:24 glc
	s_waitcnt vmcnt(0)
	buffer_gl1_inv
	buffer_gl0_inv
	v_cmpx_ne_u64_e64 v[1:2], v[8:9]
	s_cbranch_execz .LBB3_249
; %bb.246:
	s_mov_b32 s5, 0
	.p2align	6
.LBB3_247:                              ; =>This Inner Loop Header: Depth=1
	s_sleep 1
	s_clause 0x1
	global_load_b64 v[6:7], v5, s[2:3] offset:40
	global_load_b64 v[10:11], v5, s[2:3]
	v_dual_mov_b32 v9, v2 :: v_dual_mov_b32 v8, v1
	s_waitcnt vmcnt(1)
	s_delay_alu instid0(VALU_DEP_1) | instskip(SKIP_1) | instid1(VALU_DEP_1)
	v_and_b32_e32 v6, v6, v8
	s_waitcnt vmcnt(0)
	v_mad_u64_u32 v[1:2], null, v6, 24, v[10:11]
	v_and_b32_e32 v10, v7, v9
	s_delay_alu instid0(VALU_DEP_1) | instskip(NEXT) | instid1(VALU_DEP_1)
	v_mad_u64_u32 v[6:7], null, v10, 24, v[2:3]
	v_mov_b32_e32 v2, v6
	global_load_b64 v[6:7], v[1:2], off glc
	s_waitcnt vmcnt(0)
	global_atomic_cmpswap_b64 v[1:2], v5, v[6:9], s[2:3] offset:24 glc
	s_waitcnt vmcnt(0)
	buffer_gl1_inv
	buffer_gl0_inv
	v_cmp_eq_u64_e32 vcc_lo, v[1:2], v[8:9]
	s_or_b32 s5, vcc_lo, s5
	s_delay_alu instid0(SALU_CYCLE_1)
	s_and_not1_b32 exec_lo, exec_lo, s5
	s_cbranch_execnz .LBB3_247
; %bb.248:
	s_or_b32 exec_lo, exec_lo, s5
.LBB3_249:
	s_delay_alu instid0(SALU_CYCLE_1)
	s_or_b32 exec_lo, exec_lo, s4
.LBB3_250:
	s_delay_alu instid0(SALU_CYCLE_1)
	s_or_b32 exec_lo, exec_lo, s1
	v_mov_b32_e32 v6, 0
	v_readfirstlane_b32 s4, v1
	v_readfirstlane_b32 s5, v2
	s_mov_b32 s1, exec_lo
	s_clause 0x1
	global_load_b64 v[11:12], v6, s[2:3] offset:40
	global_load_b128 v[7:10], v6, s[2:3]
	s_waitcnt vmcnt(1)
	v_readfirstlane_b32 s6, v11
	v_readfirstlane_b32 s7, v12
	s_delay_alu instid0(VALU_DEP_1) | instskip(NEXT) | instid1(SALU_CYCLE_1)
	s_and_b64 s[6:7], s[4:5], s[6:7]
	s_mul_i32 s10, s7, 24
	s_mul_hi_u32 s11, s6, 24
	s_mul_i32 s12, s6, 24
	s_add_i32 s11, s11, s10
	s_waitcnt vmcnt(0)
	v_add_co_u32 v11, vcc_lo, v7, s12
	v_add_co_ci_u32_e32 v12, vcc_lo, s11, v8, vcc_lo
	s_and_saveexec_b32 s10, s0
	s_cbranch_execz .LBB3_252
; %bb.251:
	v_dual_mov_b32 v5, s1 :: v_dual_mov_b32 v16, 1
	v_dual_mov_b32 v15, 2 :: v_dual_mov_b32 v14, v6
	s_delay_alu instid0(VALU_DEP_2)
	v_mov_b32_e32 v13, v5
	global_store_b128 v[11:12], v[13:16], off offset:8
.LBB3_252:
	s_or_b32 exec_lo, exec_lo, s10
	s_lshl_b64 s[6:7], s[6:7], 12
	s_mov_b32 s12, 0
	v_add_co_u32 v1, vcc_lo, v9, s6
	v_add_co_ci_u32_e32 v2, vcc_lo, s7, v10, vcc_lo
	s_mov_b32 s15, s12
	s_delay_alu instid0(VALU_DEP_2)
	v_add_co_u32 v9, vcc_lo, v1, v32
	s_mov_b32 s13, s12
	s_mov_b32 s14, s12
	v_and_or_b32 v3, 0xffffff1f, v3, 32
	v_dual_mov_b32 v5, v0 :: v_dual_mov_b32 v16, s15
	v_readfirstlane_b32 s6, v1
	v_readfirstlane_b32 s7, v2
	v_add_co_ci_u32_e32 v10, vcc_lo, 0, v2, vcc_lo
	v_dual_mov_b32 v15, s14 :: v_dual_mov_b32 v14, s13
	v_mov_b32_e32 v13, s12
	s_clause 0x3
	global_store_b128 v32, v[3:6], s[6:7]
	global_store_b128 v32, v[13:16], s[6:7] offset:16
	global_store_b128 v32, v[13:16], s[6:7] offset:32
	global_store_b128 v32, v[13:16], s[6:7] offset:48
	s_and_saveexec_b32 s1, s0
	s_cbranch_execz .LBB3_260
; %bb.253:
	v_dual_mov_b32 v6, 0 :: v_dual_mov_b32 v13, s4
	v_mov_b32_e32 v14, s5
	s_clause 0x1
	global_load_b64 v[15:16], v6, s[2:3] offset:32 glc
	global_load_b64 v[0:1], v6, s[2:3] offset:40
	s_waitcnt vmcnt(0)
	v_readfirstlane_b32 s6, v0
	v_readfirstlane_b32 s7, v1
	s_delay_alu instid0(VALU_DEP_1) | instskip(NEXT) | instid1(SALU_CYCLE_1)
	s_and_b64 s[6:7], s[6:7], s[4:5]
	s_mul_i32 s7, s7, 24
	s_mul_hi_u32 s10, s6, 24
	s_mul_i32 s6, s6, 24
	s_add_i32 s10, s10, s7
	v_add_co_u32 v4, vcc_lo, v7, s6
	v_add_co_ci_u32_e32 v5, vcc_lo, s10, v8, vcc_lo
	s_mov_b32 s6, exec_lo
	global_store_b64 v[4:5], v[15:16], off
	s_waitcnt_vscnt null, 0x0
	global_atomic_cmpswap_b64 v[2:3], v6, v[13:16], s[2:3] offset:32 glc
	s_waitcnt vmcnt(0)
	v_cmpx_ne_u64_e64 v[2:3], v[15:16]
	s_cbranch_execz .LBB3_256
; %bb.254:
	s_mov_b32 s7, 0
.LBB3_255:                              ; =>This Inner Loop Header: Depth=1
	v_dual_mov_b32 v0, s4 :: v_dual_mov_b32 v1, s5
	s_sleep 1
	global_store_b64 v[4:5], v[2:3], off
	s_waitcnt_vscnt null, 0x0
	global_atomic_cmpswap_b64 v[0:1], v6, v[0:3], s[2:3] offset:32 glc
	s_waitcnt vmcnt(0)
	v_cmp_eq_u64_e32 vcc_lo, v[0:1], v[2:3]
	v_dual_mov_b32 v3, v1 :: v_dual_mov_b32 v2, v0
	s_or_b32 s7, vcc_lo, s7
	s_delay_alu instid0(SALU_CYCLE_1)
	s_and_not1_b32 exec_lo, exec_lo, s7
	s_cbranch_execnz .LBB3_255
.LBB3_256:
	s_or_b32 exec_lo, exec_lo, s6
	v_mov_b32_e32 v3, 0
	s_mov_b32 s7, exec_lo
	s_mov_b32 s6, exec_lo
	v_mbcnt_lo_u32_b32 v2, s7, 0
	global_load_b64 v[0:1], v3, s[2:3] offset:16
	v_cmpx_eq_u32_e32 0, v2
	s_cbranch_execz .LBB3_258
; %bb.257:
	s_bcnt1_i32_b32 s7, s7
	s_delay_alu instid0(SALU_CYCLE_1)
	v_mov_b32_e32 v2, s7
	s_waitcnt vmcnt(0)
	global_atomic_add_u64 v[0:1], v[2:3], off offset:8
.LBB3_258:
	s_or_b32 exec_lo, exec_lo, s6
	s_waitcnt vmcnt(0)
	global_load_b64 v[2:3], v[0:1], off offset:16
	s_waitcnt vmcnt(0)
	v_cmp_eq_u64_e32 vcc_lo, 0, v[2:3]
	s_cbranch_vccnz .LBB3_260
; %bb.259:
	global_load_b32 v0, v[0:1], off offset:24
	s_waitcnt vmcnt(0)
	v_dual_mov_b32 v1, 0 :: v_dual_and_b32 v4, 0xffffff, v0
	s_waitcnt_vscnt null, 0x0
	global_store_b64 v[2:3], v[0:1], off
	v_readfirstlane_b32 m0, v4
	s_sendmsg sendmsg(MSG_INTERRUPT)
.LBB3_260:
	s_or_b32 exec_lo, exec_lo, s1
	s_branch .LBB3_264
	.p2align	6
.LBB3_261:                              ;   in Loop: Header=BB3_264 Depth=1
	s_or_b32 exec_lo, exec_lo, s1
	s_delay_alu instid0(VALU_DEP_1) | instskip(NEXT) | instid1(VALU_DEP_1)
	v_readfirstlane_b32 s1, v0
	s_cmp_eq_u32 s1, 0
	s_cbranch_scc1 .LBB3_263
; %bb.262:                              ;   in Loop: Header=BB3_264 Depth=1
	s_sleep 1
	s_cbranch_execnz .LBB3_264
	s_branch .LBB3_266
	.p2align	6
.LBB3_263:
	s_branch .LBB3_266
.LBB3_264:                              ; =>This Inner Loop Header: Depth=1
	v_mov_b32_e32 v0, 1
	s_and_saveexec_b32 s1, s0
	s_cbranch_execz .LBB3_261
; %bb.265:                              ;   in Loop: Header=BB3_264 Depth=1
	global_load_b32 v0, v[11:12], off offset:20 glc
	s_waitcnt vmcnt(0)
	buffer_gl1_inv
	buffer_gl0_inv
	v_and_b32_e32 v0, 1, v0
	s_branch .LBB3_261
.LBB3_266:
	global_load_b64 v[0:1], v[9:10], off
	s_and_saveexec_b32 s1, s0
	s_cbranch_execz .LBB3_270
; %bb.267:
	v_mov_b32_e32 v8, 0
	s_clause 0x2
	global_load_b64 v[4:5], v8, s[2:3] offset:40
	global_load_b64 v[9:10], v8, s[2:3] offset:24 glc
	global_load_b64 v[6:7], v8, s[2:3]
	s_waitcnt vmcnt(2)
	v_add_co_u32 v11, vcc_lo, v4, 1
	v_add_co_ci_u32_e32 v12, vcc_lo, 0, v5, vcc_lo
	s_delay_alu instid0(VALU_DEP_2) | instskip(NEXT) | instid1(VALU_DEP_2)
	v_add_co_u32 v2, vcc_lo, v11, s4
	v_add_co_ci_u32_e32 v3, vcc_lo, s5, v12, vcc_lo
	s_delay_alu instid0(VALU_DEP_1) | instskip(SKIP_1) | instid1(VALU_DEP_1)
	v_cmp_eq_u64_e32 vcc_lo, 0, v[2:3]
	v_dual_cndmask_b32 v3, v3, v12 :: v_dual_cndmask_b32 v2, v2, v11
	v_and_b32_e32 v5, v3, v5
	s_delay_alu instid0(VALU_DEP_2) | instskip(NEXT) | instid1(VALU_DEP_2)
	v_and_b32_e32 v4, v2, v4
	v_mul_lo_u32 v5, v5, 24
	s_delay_alu instid0(VALU_DEP_2) | instskip(SKIP_1) | instid1(VALU_DEP_2)
	v_mul_hi_u32 v11, v4, 24
	v_mul_lo_u32 v4, v4, 24
	v_add_nc_u32_e32 v5, v11, v5
	s_waitcnt vmcnt(0)
	s_delay_alu instid0(VALU_DEP_2) | instskip(SKIP_1) | instid1(VALU_DEP_3)
	v_add_co_u32 v6, vcc_lo, v6, v4
	v_mov_b32_e32 v4, v9
	v_add_co_ci_u32_e32 v7, vcc_lo, v7, v5, vcc_lo
	v_mov_b32_e32 v5, v10
	global_store_b64 v[6:7], v[9:10], off
	s_waitcnt_vscnt null, 0x0
	global_atomic_cmpswap_b64 v[4:5], v8, v[2:5], s[2:3] offset:24 glc
	s_waitcnt vmcnt(0)
	v_cmp_ne_u64_e32 vcc_lo, v[4:5], v[9:10]
	s_and_b32 exec_lo, exec_lo, vcc_lo
	s_cbranch_execz .LBB3_270
; %bb.268:
	s_mov_b32 s0, 0
.LBB3_269:                              ; =>This Inner Loop Header: Depth=1
	s_sleep 1
	global_store_b64 v[6:7], v[4:5], off
	s_waitcnt_vscnt null, 0x0
	global_atomic_cmpswap_b64 v[9:10], v8, v[2:5], s[2:3] offset:24 glc
	s_waitcnt vmcnt(0)
	v_cmp_eq_u64_e32 vcc_lo, v[9:10], v[4:5]
	v_dual_mov_b32 v4, v9 :: v_dual_mov_b32 v5, v10
	s_or_b32 s0, vcc_lo, s0
	s_delay_alu instid0(SALU_CYCLE_1)
	s_and_not1_b32 exec_lo, exec_lo, s0
	s_cbranch_execnz .LBB3_269
.LBB3_270:
	s_or_b32 exec_lo, exec_lo, s1
	s_getpc_b64 s[0:1]
	s_add_u32 s0, s0, __FUNCTION__._ZL18flash_attn_ext_f16ILi64ELi64ELi2ELi8ELb1ELb0EEvPKcS1_S1_S1_S1_PKiPfP15HIP_vector_typeIfLj2EEffffjfiS5_IjLj3EEiiiiiiiiiiiliiliiiiil@rel32@lo+4
	s_addc_u32 s1, s1, __FUNCTION__._ZL18flash_attn_ext_f16ILi64ELi64ELi2ELi8ELb1ELb0EEvPKcS1_S1_S1_S1_PKiPfP15HIP_vector_typeIfLj2EEffffjfiS5_IjLj3EEiiiiiiiiiiiliiliiiiil@rel32@hi+12
	s_delay_alu instid0(SALU_CYCLE_1) | instskip(SKIP_3) | instid1(SALU_CYCLE_1)
	v_dual_mov_b32 v2, s0 :: v_dual_mov_b32 v3, s1
	s_cmp_lg_u64 s[0:1], 0
	s_mov_b64 s[16:17], s[8:9]
	s_cselect_b32 s4, 19, 0
	v_dual_mov_b32 v5, 0 :: v_dual_mov_b32 v4, s4
	s_getpc_b64 s[2:3]
	s_add_u32 s2, s2, __ockl_printf_append_string_n@rel32@lo+4
	s_addc_u32 s3, s3, __ockl_printf_append_string_n@rel32@hi+12
	s_delay_alu instid0(SALU_CYCLE_1)
	s_swappc_b64 s[30:31], s[2:3]
	v_dual_mov_b32 v2, 0x514 :: v_dual_mov_b32 v3, 0
	v_mov_b32_e32 v4, 1
	s_mov_b64 s[8:9], s[16:17]
	s_getpc_b64 s[0:1]
	s_add_u32 s0, s0, __ockl_printf_append_args@rel32@lo+4
	s_addc_u32 s1, s1, __ockl_printf_append_args@rel32@hi+12
	s_delay_alu instid0(SALU_CYCLE_1)
	s_swappc_b64 s[30:31], s[0:1]
	s_trap 2
	s_sendmsg_rtn_b32 s0, sendmsg(MSG_RTN_GET_DOORBELL)
	s_mov_b32 ttmp2, m0
	s_waitcnt lgkmcnt(0)
	s_and_b32 s0, s0, 0x3ff
	s_delay_alu instid0(SALU_CYCLE_1) | instskip(NEXT) | instid1(SALU_CYCLE_1)
	s_bitset1_b32 s0, 10
	s_mov_b32 m0, s0
	s_sendmsg sendmsg(MSG_INTERRUPT)
	s_mov_b32 m0, ttmp2
.LBB3_271:                              ; =>This Inner Loop Header: Depth=1
	s_sethalt 5
	s_branch .LBB3_271
.Lfunc_end3:
	.size	_ZL14no_device_codePKciS0_iS0_, .Lfunc_end3-_ZL14no_device_codePKciS0_iS0_
                                        ; -- End function
	.section	.AMDGPU.csdata,"",@progbits
; Function info:
; codeLenInByte = 10540
; NumSgprs: 36
; NumVgprs: 37
; ScratchSize: 16
; MemoryBound: 0
	.section	.text._ZL18flash_attn_ext_f16ILi64ELi64ELi2ELi8ELb1ELb0EEvPKcS1_S1_S1_S1_PKiPfP15HIP_vector_typeIfLj2EEffffjfiS5_IjLj3EEiiiiiiiiiiiliiliiiiil,"axG",@progbits,_ZL18flash_attn_ext_f16ILi64ELi64ELi2ELi8ELb1ELb0EEvPKcS1_S1_S1_S1_PKiPfP15HIP_vector_typeIfLj2EEffffjfiS5_IjLj3EEiiiiiiiiiiiliiliiiiil,comdat
	.globl	_ZL18flash_attn_ext_f16ILi64ELi64ELi2ELi8ELb1ELb0EEvPKcS1_S1_S1_S1_PKiPfP15HIP_vector_typeIfLj2EEffffjfiS5_IjLj3EEiiiiiiiiiiiliiliiiiil ; -- Begin function _ZL18flash_attn_ext_f16ILi64ELi64ELi2ELi8ELb1ELb0EEvPKcS1_S1_S1_S1_PKiPfP15HIP_vector_typeIfLj2EEffffjfiS5_IjLj3EEiiiiiiiiiiiliiliiiiil
	.p2align	8
	.type	_ZL18flash_attn_ext_f16ILi64ELi64ELi2ELi8ELb1ELb0EEvPKcS1_S1_S1_S1_PKiPfP15HIP_vector_typeIfLj2EEffffjfiS5_IjLj3EEiiiiiiiiiiiliiliiiiil,@function
_ZL18flash_attn_ext_f16ILi64ELi64ELi2ELi8ELb1ELb0EEvPKcS1_S1_S1_S1_PKiPfP15HIP_vector_typeIfLj2EEffffjfiS5_IjLj3EEiiiiiiiiiiiliiliiiiil: ; @_ZL18flash_attn_ext_f16ILi64ELi64ELi2ELi8ELb1ELb0EEvPKcS1_S1_S1_S1_PKiPfP15HIP_vector_typeIfLj2EEffffjfiS5_IjLj3EEiiiiiiiiiiiliiliiiiil
; %bb.0:
	v_mov_b32_e32 v0, 0x6cc
	s_add_u32 s8, s0, 0xd0
	s_addc_u32 s9, s1, 0
	s_mov_b32 s32, 0
	s_getpc_b64 s[0:1]
	s_add_u32 s0, s0, _ZL14no_device_codePKciS0_iS0_@rel32@lo+4
	s_addc_u32 s1, s1, _ZL14no_device_codePKciS0_iS0_@rel32@hi+12
	s_delay_alu instid0(SALU_CYCLE_1)
	s_swappc_b64 s[30:31], s[0:1]
	.section	.rodata,"a",@progbits
	.p2align	6, 0x0
	.amdhsa_kernel _ZL18flash_attn_ext_f16ILi64ELi64ELi2ELi8ELb1ELb0EEvPKcS1_S1_S1_S1_PKiPfP15HIP_vector_typeIfLj2EEffffjfiS5_IjLj3EEiiiiiiiiiiiliiliiiiil
		.amdhsa_group_segment_fixed_size 0
		.amdhsa_private_segment_fixed_size 16
		.amdhsa_kernarg_size 464
		.amdhsa_user_sgpr_count 15
		.amdhsa_user_sgpr_dispatch_ptr 0
		.amdhsa_user_sgpr_queue_ptr 0
		.amdhsa_user_sgpr_kernarg_segment_ptr 1
		.amdhsa_user_sgpr_dispatch_id 0
		.amdhsa_user_sgpr_private_segment_size 0
		.amdhsa_wavefront_size32 1
		.amdhsa_uses_dynamic_stack 0
		.amdhsa_enable_private_segment 1
		.amdhsa_system_sgpr_workgroup_id_x 1
		.amdhsa_system_sgpr_workgroup_id_y 0
		.amdhsa_system_sgpr_workgroup_id_z 0
		.amdhsa_system_sgpr_workgroup_info 0
		.amdhsa_system_vgpr_workitem_id 0
		.amdhsa_next_free_vgpr 37
		.amdhsa_next_free_sgpr 34
		.amdhsa_reserve_vcc 1
		.amdhsa_float_round_mode_32 0
		.amdhsa_float_round_mode_16_64 0
		.amdhsa_float_denorm_mode_32 3
		.amdhsa_float_denorm_mode_16_64 3
		.amdhsa_dx10_clamp 1
		.amdhsa_ieee_mode 1
		.amdhsa_fp16_overflow 0
		.amdhsa_workgroup_processor_mode 1
		.amdhsa_memory_ordered 1
		.amdhsa_forward_progress 0
		.amdhsa_shared_vgpr_count 0
		.amdhsa_exception_fp_ieee_invalid_op 0
		.amdhsa_exception_fp_denorm_src 0
		.amdhsa_exception_fp_ieee_div_zero 0
		.amdhsa_exception_fp_ieee_overflow 0
		.amdhsa_exception_fp_ieee_underflow 0
		.amdhsa_exception_fp_ieee_inexact 0
		.amdhsa_exception_int_div_zero 0
	.end_amdhsa_kernel
	.section	.text._ZL18flash_attn_ext_f16ILi64ELi64ELi2ELi8ELb1ELb0EEvPKcS1_S1_S1_S1_PKiPfP15HIP_vector_typeIfLj2EEffffjfiS5_IjLj3EEiiiiiiiiiiiliiliiiiil,"axG",@progbits,_ZL18flash_attn_ext_f16ILi64ELi64ELi2ELi8ELb1ELb0EEvPKcS1_S1_S1_S1_PKiPfP15HIP_vector_typeIfLj2EEffffjfiS5_IjLj3EEiiiiiiiiiiiliiliiiiil,comdat
.Lfunc_end4:
	.size	_ZL18flash_attn_ext_f16ILi64ELi64ELi2ELi8ELb1ELb0EEvPKcS1_S1_S1_S1_PKiPfP15HIP_vector_typeIfLj2EEffffjfiS5_IjLj3EEiiiiiiiiiiiliiliiiiil, .Lfunc_end4-_ZL18flash_attn_ext_f16ILi64ELi64ELi2ELi8ELb1ELb0EEvPKcS1_S1_S1_S1_PKiPfP15HIP_vector_typeIfLj2EEffffjfiS5_IjLj3EEiiiiiiiiiiiliiliiiiil
                                        ; -- End function
	.section	.AMDGPU.csdata,"",@progbits
; Kernel info:
; codeLenInByte = 52
; NumSgprs: 36
; NumVgprs: 37
; ScratchSize: 16
; MemoryBound: 0
; FloatMode: 240
; IeeeMode: 1
; LDSByteSize: 0 bytes/workgroup (compile time only)
; SGPRBlocks: 4
; VGPRBlocks: 4
; NumSGPRsForWavesPerEU: 36
; NumVGPRsForWavesPerEU: 37
; Occupancy: 16
; WaveLimiterHint : 1
; COMPUTE_PGM_RSRC2:SCRATCH_EN: 1
; COMPUTE_PGM_RSRC2:USER_SGPR: 15
; COMPUTE_PGM_RSRC2:TRAP_HANDLER: 0
; COMPUTE_PGM_RSRC2:TGID_X_EN: 1
; COMPUTE_PGM_RSRC2:TGID_Y_EN: 0
; COMPUTE_PGM_RSRC2:TGID_Z_EN: 0
; COMPUTE_PGM_RSRC2:TIDIG_COMP_CNT: 0
	.section	.text._ZL25flash_attn_mask_to_KV_maxILi2EEvPK7__half2Piiii,"axG",@progbits,_ZL25flash_attn_mask_to_KV_maxILi2EEvPK7__half2Piiii,comdat
	.globl	_ZL25flash_attn_mask_to_KV_maxILi2EEvPK7__half2Piiii ; -- Begin function _ZL25flash_attn_mask_to_KV_maxILi2EEvPK7__half2Piiii
	.p2align	8
	.type	_ZL25flash_attn_mask_to_KV_maxILi2EEvPK7__half2Piiii,@function
_ZL25flash_attn_mask_to_KV_maxILi2EEvPK7__half2Piiii: ; @_ZL25flash_attn_mask_to_KV_maxILi2EEvPK7__half2Piiii
; %bb.0:
	s_load_b128 s[4:7], s[0:1], 0x0
	s_mov_b32 s2, exec_lo
	v_cmpx_gt_u32_e32 32, v0
	s_cbranch_execz .LBB5_2
; %bb.1:
	v_dual_mov_b32 v2, 1 :: v_dual_lshlrev_b32 v1, 2, v0
	ds_store_b32 v1, v2
.LBB5_2:
	s_or_b32 exec_lo, exec_lo, s2
	s_clause 0x1
	s_load_b128 s[8:11], s[0:1], 0x10
	s_load_b32 s1, s[0:1], 0x20
	v_dual_mov_b32 v2, 0 :: v_dual_and_b32 v1, 31, v0
	v_lshrrev_b32_e32 v3, 3, v0
	s_waitcnt lgkmcnt(0)
	s_barrier
	s_delay_alu instid0(VALU_DEP_2) | instskip(SKIP_4) | instid1(SALU_CYCLE_1)
	v_lshlrev_b32_e32 v4, 2, v1
	buffer_gl0_inv
	s_mul_i32 s0, s14, s9
	s_mul_i32 s2, s15, s10
	s_lshl_b32 s0, s0, 1
	s_add_i32 s2, s2, s0
	v_cmp_eq_u32_e64 s0, 0, v1
	s_ashr_i32 s3, s2, 31
	s_delay_alu instid0(SALU_CYCLE_1) | instskip(NEXT) | instid1(SALU_CYCLE_1)
	s_lshl_b64 s[10:11], s[2:3], 2
	s_add_u32 s3, s4, s10
	s_addc_u32 s4, s5, s11
	s_lshl_b32 s5, s8, 8
	s_branch .LBB5_4
.LBB5_3:                                ;   in Loop: Header=BB5_4 Depth=1
	s_or_b32 exec_lo, exec_lo, s10
	s_waitcnt lgkmcnt(0)
	s_barrier
	buffer_gl0_inv
	ds_load_b32 v1, v4
	s_waitcnt lgkmcnt(0)
	s_barrier
	buffer_gl0_inv
	;;#ASMSTART
	;;#ASMEND
	v_cmp_ne_u32_e32 vcc_lo, 0, v1
	s_cmp_lg_u32 vcc_lo, exec_lo
	s_cselect_b32 s8, -1, 0
	s_delay_alu instid0(SALU_CYCLE_1)
	s_and_b32 vcc_lo, exec_lo, s8
	s_cbranch_vccnz .LBB5_12
.LBB5_4:                                ; =>This Inner Loop Header: Depth=1
	s_mov_b32 s2, s5
	s_addk_i32 s5, 0xff00
	s_delay_alu instid0(SALU_CYCLE_1)
	s_cmp_lt_i32 s5, 0
	s_cbranch_scc1 .LBB5_11
; %bb.5:                                ;   in Loop: Header=BB5_4 Depth=1
	s_lshr_b32 s8, s5, 1
	s_mov_b32 s10, 0
	v_add_nc_u32_e32 v1, s8, v0
	s_delay_alu instid0(VALU_DEP_1) | instskip(NEXT) | instid1(VALU_DEP_1)
	v_lshlrev_b64 v[5:6], 2, v[1:2]
	v_add_co_u32 v5, vcc_lo, s3, v5
	s_delay_alu instid0(VALU_DEP_2) | instskip(SKIP_4) | instid1(VALU_DEP_2)
	v_add_co_ci_u32_e32 v6, vcc_lo, s4, v6, vcc_lo
	global_load_b32 v5, v[5:6], off
	s_waitcnt vmcnt(0)
	v_lshrrev_b32_e32 v6, 16, v5
	v_cmp_class_f16_e64 s8, v5, 0x204
	v_and_b32_e32 v6, 0x7fff, v6
	s_delay_alu instid0(VALU_DEP_1) | instskip(NEXT) | instid1(VALU_DEP_3)
	v_cmp_eq_f16_e32 vcc_lo, 0x7c00, v6
	s_and_b32 s11, s8, vcc_lo
	s_delay_alu instid0(SALU_CYCLE_1)
	s_and_saveexec_b32 s8, s11
	s_cbranch_execz .LBB5_9
; %bb.6:                                ;   in Loop: Header=BB5_4 Depth=1
	v_add_nc_u32_e32 v5, s9, v1
	s_delay_alu instid0(VALU_DEP_1) | instskip(NEXT) | instid1(VALU_DEP_1)
	v_ashrrev_i32_e32 v6, 31, v5
	v_lshlrev_b64 v[5:6], 2, v[5:6]
	s_delay_alu instid0(VALU_DEP_1) | instskip(NEXT) | instid1(VALU_DEP_2)
	v_add_co_u32 v5, vcc_lo, s3, v5
	v_add_co_ci_u32_e32 v6, vcc_lo, s4, v6, vcc_lo
	global_load_b32 v1, v[5:6], off
	s_waitcnt vmcnt(0)
	v_cmp_class_f16_e64 s12, v1, 0x204
	s_delay_alu instid0(VALU_DEP_1)
	s_and_saveexec_b32 s11, s12
; %bb.7:                                ;   in Loop: Header=BB5_4 Depth=1
	v_lshrrev_b32_e32 v1, 16, v1
	s_delay_alu instid0(VALU_DEP_1) | instskip(NEXT) | instid1(VALU_DEP_1)
	v_cmp_class_f16_e64 s10, v1, 0x204
	s_and_b32 s10, s10, exec_lo
; %bb.8:                                ;   in Loop: Header=BB5_4 Depth=1
	s_or_b32 exec_lo, exec_lo, s11
	s_delay_alu instid0(SALU_CYCLE_1)
	s_and_b32 s10, s10, exec_lo
.LBB5_9:                                ;   in Loop: Header=BB5_4 Depth=1
	s_or_b32 exec_lo, exec_lo, s8
	v_cndmask_b32_e64 v1, 0, 1, s10
	;;#ASMSTART
	;;#ASMEND
	s_delay_alu instid0(VALU_DEP_1)
	v_cmp_ne_u32_e32 vcc_lo, 0, v1
	s_mov_b32 s8, exec_lo
	s_and_saveexec_b32 s10, s0
	s_cbranch_execz .LBB5_3
; %bb.10:                               ;   in Loop: Header=BB5_4 Depth=1
	s_cmp_eq_u32 vcc_lo, s8
	s_cselect_b32 s8, -1, 0
	s_delay_alu instid0(SALU_CYCLE_1)
	v_cndmask_b32_e64 v1, 0, 1, s8
	ds_store_b32 v3, v1
	s_branch .LBB5_3
.LBB5_11:                               ;   in Loop: Header=BB5_4 Depth=1
                                        ; implicit-def: $sgpr5
	s_cbranch_execz .LBB5_4
.LBB5_12:
	s_mov_b32 s0, exec_lo
	v_cmpx_eq_u32_e32 0, v0
	s_cbranch_execz .LBB5_14
; %bb.13:
	s_mul_i32 s0, s1, s15
	v_dual_mov_b32 v0, 0 :: v_dual_mov_b32 v1, s2
	s_add_i32 s0, s0, s14
	s_delay_alu instid0(SALU_CYCLE_1) | instskip(NEXT) | instid1(SALU_CYCLE_1)
	s_ashr_i32 s1, s0, 31
	s_lshl_b64 s[0:1], s[0:1], 2
	s_delay_alu instid0(SALU_CYCLE_1)
	s_add_u32 s0, s6, s0
	s_addc_u32 s1, s7, s1
	global_store_b32 v0, v1, s[0:1]
.LBB5_14:
	s_nop 0
	s_sendmsg sendmsg(MSG_DEALLOC_VGPRS)
	s_endpgm
	.section	.rodata,"a",@progbits
	.p2align	6, 0x0
	.amdhsa_kernel _ZL25flash_attn_mask_to_KV_maxILi2EEvPK7__half2Piiii
		.amdhsa_group_segment_fixed_size 128
		.amdhsa_private_segment_fixed_size 0
		.amdhsa_kernarg_size 288
		.amdhsa_user_sgpr_count 14
		.amdhsa_user_sgpr_dispatch_ptr 0
		.amdhsa_user_sgpr_queue_ptr 0
		.amdhsa_user_sgpr_kernarg_segment_ptr 1
		.amdhsa_user_sgpr_dispatch_id 0
		.amdhsa_user_sgpr_private_segment_size 0
		.amdhsa_wavefront_size32 1
		.amdhsa_uses_dynamic_stack 0
		.amdhsa_enable_private_segment 0
		.amdhsa_system_sgpr_workgroup_id_x 1
		.amdhsa_system_sgpr_workgroup_id_y 1
		.amdhsa_system_sgpr_workgroup_id_z 0
		.amdhsa_system_sgpr_workgroup_info 0
		.amdhsa_system_vgpr_workitem_id 0
		.amdhsa_next_free_vgpr 7
		.amdhsa_next_free_sgpr 16
		.amdhsa_reserve_vcc 1
		.amdhsa_float_round_mode_32 0
		.amdhsa_float_round_mode_16_64 0
		.amdhsa_float_denorm_mode_32 3
		.amdhsa_float_denorm_mode_16_64 3
		.amdhsa_dx10_clamp 1
		.amdhsa_ieee_mode 1
		.amdhsa_fp16_overflow 0
		.amdhsa_workgroup_processor_mode 1
		.amdhsa_memory_ordered 1
		.amdhsa_forward_progress 0
		.amdhsa_shared_vgpr_count 0
		.amdhsa_exception_fp_ieee_invalid_op 0
		.amdhsa_exception_fp_denorm_src 0
		.amdhsa_exception_fp_ieee_div_zero 0
		.amdhsa_exception_fp_ieee_overflow 0
		.amdhsa_exception_fp_ieee_underflow 0
		.amdhsa_exception_fp_ieee_inexact 0
		.amdhsa_exception_int_div_zero 0
	.end_amdhsa_kernel
	.section	.text._ZL25flash_attn_mask_to_KV_maxILi2EEvPK7__half2Piiii,"axG",@progbits,_ZL25flash_attn_mask_to_KV_maxILi2EEvPK7__half2Piiii,comdat
.Lfunc_end5:
	.size	_ZL25flash_attn_mask_to_KV_maxILi2EEvPK7__half2Piiii, .Lfunc_end5-_ZL25flash_attn_mask_to_KV_maxILi2EEvPK7__half2Piiii
                                        ; -- End function
	.section	.AMDGPU.csdata,"",@progbits
; Kernel info:
; codeLenInByte = 584
; NumSgprs: 18
; NumVgprs: 7
; ScratchSize: 0
; MemoryBound: 0
; FloatMode: 240
; IeeeMode: 1
; LDSByteSize: 128 bytes/workgroup (compile time only)
; SGPRBlocks: 2
; VGPRBlocks: 0
; NumSGPRsForWavesPerEU: 18
; NumVGPRsForWavesPerEU: 7
; Occupancy: 16
; WaveLimiterHint : 0
; COMPUTE_PGM_RSRC2:SCRATCH_EN: 0
; COMPUTE_PGM_RSRC2:USER_SGPR: 14
; COMPUTE_PGM_RSRC2:TRAP_HANDLER: 0
; COMPUTE_PGM_RSRC2:TGID_X_EN: 1
; COMPUTE_PGM_RSRC2:TGID_Y_EN: 1
; COMPUTE_PGM_RSRC2:TGID_Z_EN: 0
; COMPUTE_PGM_RSRC2:TIDIG_COMP_CNT: 0
	.section	.text._ZL33flash_attn_stream_k_fixup_uniformILi64ELi2ELi8EEvPfPK15HIP_vector_typeIfLj2EEiiiiiiS1_IjLj3EES5_S5_,"axG",@progbits,_ZL33flash_attn_stream_k_fixup_uniformILi64ELi2ELi8EEvPfPK15HIP_vector_typeIfLj2EEiiiiiiS1_IjLj3EES5_S5_,comdat
	.globl	_ZL33flash_attn_stream_k_fixup_uniformILi64ELi2ELi8EEvPfPK15HIP_vector_typeIfLj2EEiiiiiiS1_IjLj3EES5_S5_ ; -- Begin function _ZL33flash_attn_stream_k_fixup_uniformILi64ELi2ELi8EEvPfPK15HIP_vector_typeIfLj2EEiiiiiiS1_IjLj3EES5_S5_
	.p2align	8
	.type	_ZL33flash_attn_stream_k_fixup_uniformILi64ELi2ELi8EEvPfPK15HIP_vector_typeIfLj2EEiiiiiiS1_IjLj3EES5_S5_,@function
_ZL33flash_attn_stream_k_fixup_uniformILi64ELi2ELi8EEvPfPK15HIP_vector_typeIfLj2EEiiiiiiS1_IjLj3EES5_S5_: ; @_ZL33flash_attn_stream_k_fixup_uniformILi64ELi2ELi8EEvPfPK15HIP_vector_typeIfLj2EEiiiiiiS1_IjLj3EES5_S5_
; %bb.0:
	s_clause 0x1
	s_load_b256 s[4:11], s[0:1], 0x1c
	s_load_b128 s[16:19], s[0:1], 0x3c
	s_waitcnt lgkmcnt(0)
	s_mul_hi_u32 s2, s7, s13
	s_delay_alu instid0(SALU_CYCLE_1) | instskip(NEXT) | instid1(SALU_CYCLE_1)
	s_add_i32 s2, s13, s2
	s_lshr_b32 s2, s2, s8
	s_delay_alu instid0(SALU_CYCLE_1) | instskip(SKIP_2) | instid1(SALU_CYCLE_1)
	s_mul_i32 s3, s2, s9
	s_load_b64 s[8:9], s[0:1], 0x10
	s_sub_i32 s7, s13, s3
	s_mul_hi_u32 s3, s7, s10
	s_delay_alu instid0(SALU_CYCLE_1) | instskip(NEXT) | instid1(SALU_CYCLE_1)
	s_add_i32 s3, s7, s3
	s_lshr_b32 s3, s3, s11
	s_delay_alu instid0(SALU_CYCLE_1) | instskip(NEXT) | instid1(SALU_CYCLE_1)
	s_mul_i32 s10, s3, s16
	s_sub_i32 s7, s7, s10
	s_delay_alu instid0(SALU_CYCLE_1) | instskip(NEXT) | instid1(SALU_CYCLE_1)
	s_mul_hi_u32 s10, s7, s17
	s_add_i32 s10, s7, s10
	s_delay_alu instid0(SALU_CYCLE_1) | instskip(NEXT) | instid1(SALU_CYCLE_1)
	s_lshr_b32 s10, s10, s18
	s_mul_i32 s11, s10, s19
	s_lshl_b32 s10, s10, 3
	s_sub_i32 s7, s7, s11
	s_delay_alu instid0(SALU_CYCLE_1) | instskip(NEXT) | instid1(SALU_CYCLE_1)
	s_lshl_b32 s11, s7, 1
	s_add_i32 s11, s11, s14
	s_waitcnt lgkmcnt(0)
	s_cmp_lt_i32 s11, s8
	s_cselect_b32 s11, -1, 0
	s_add_i32 s12, s10, s15
	s_delay_alu instid0(SALU_CYCLE_1) | instskip(SKIP_1) | instid1(SALU_CYCLE_1)
	s_cmp_lt_i32 s12, s5
	s_cselect_b32 s12, -1, 0
	s_and_b32 s11, s11, s12
	s_delay_alu instid0(SALU_CYCLE_1)
	s_and_not1_b32 vcc_lo, exec_lo, s11
	s_cbranch_vccnz .LBB6_6
; %bb.1:
	s_mul_i32 s2, s2, s8
	s_mul_i32 s5, s3, s5
	s_add_i32 s2, s2, s14
	s_mul_i32 s7, s9, s7
	s_mul_i32 s2, s2, s9
	s_lshl_b32 s7, s7, 7
	s_add_i32 s8, s2, s15
	s_load_b128 s[0:3], s[0:1], 0x0
	s_add_i32 s5, s8, s5
	s_lshl_b32 s9, s14, 3
	s_add_i32 s5, s5, s10
	s_delay_alu instid0(SALU_CYCLE_1) | instskip(NEXT) | instid1(SALU_CYCLE_1)
	s_lshl_b32 s5, s5, 6
	s_add_i32 s7, s7, s5
	s_mul_i32 s5, s13, s6
	v_or_b32_e32 v1, s7, v0
	s_add_i32 s10, s5, s6
	s_delay_alu instid0(VALU_DEP_1) | instskip(NEXT) | instid1(VALU_DEP_1)
	v_ashrrev_i32_e32 v2, 31, v1
	v_lshlrev_b64 v[1:2], 2, v[1:2]
	s_waitcnt lgkmcnt(0)
	s_delay_alu instid0(VALU_DEP_1) | instskip(NEXT) | instid1(VALU_DEP_2)
	v_add_co_u32 v1, vcc_lo, s0, v1
	v_add_co_ci_u32_e32 v2, vcc_lo, s1, v2, vcc_lo
	s_add_i32 s0, s9, s15
	s_lshl_b32 s1, s10, 4
	s_delay_alu instid0(SALU_CYCLE_1) | instskip(SKIP_2) | instid1(SALU_CYCLE_1)
	s_add_i32 s0, s0, s1
	global_load_b32 v5, v[1:2], off
	s_add_i32 s0, s0, -16
	s_ashr_i32 s1, s0, 31
	s_delay_alu instid0(SALU_CYCLE_1) | instskip(NEXT) | instid1(SALU_CYCLE_1)
	s_lshl_b64 s[0:1], s[0:1], 3
	s_add_u32 s0, s2, s0
	s_addc_u32 s1, s3, s1
	s_add_i32 s7, s10, -2
	s_load_b32 s11, s[0:1], 0x4
	s_cmp_lt_i32 s7, s5
	s_cbranch_scc1 .LBB6_4
; %bb.2:
	s_lshl_b32 s16, s4, 6
	s_load_b32 s12, s[0:1], 0x0
	s_ashr_i32 s17, s16, 31
	s_delay_alu instid0(SALU_CYCLE_1) | instskip(NEXT) | instid1(SALU_CYCLE_1)
	s_lshl_b64 s[0:1], s[16:17], 2
	s_add_u32 s7, s2, s0
	s_addc_u32 s8, s3, s1
	s_add_i32 s13, s13, 1
	s_lshl_b32 s0, s14, 9
	s_lshl_b32 s1, s15, 6
	s_mul_i32 s6, s6, s13
	s_add_i32 s0, s1, s0
	s_lshl_b32 s1, s6, 10
	s_delay_alu instid0(SALU_CYCLE_1)
	s_add_i32 s0, s0, s1
	s_lshl_b32 s1, s6, 4
	v_or_b32_e32 v0, s0, v0
	s_lshl_b32 s0, s4, 4
	s_add_i32 s1, s15, s1
	s_waitcnt lgkmcnt(0)
	v_mov_b32_e32 v6, s11
	s_add_i32 s0, s1, s0
	v_dual_mov_b32 v0, s12 :: v_dual_add_nc_u32 v3, 0xfffff800, v0
	s_add_i32 s0, s0, s9
	s_add_i32 s4, s10, -1
	s_sub_i32 s0, s0, 32
.LBB6_3:                                ; =>This Inner Loop Header: Depth=1
	s_delay_alu instid0(VALU_DEP_1) | instskip(SKIP_1) | instid1(SALU_CYCLE_1)
	v_ashrrev_i32_e32 v4, 31, v3
	s_ashr_i32 s1, s0, 31
	s_lshl_b64 s[10:11], s[0:1], 3
	s_delay_alu instid0(SALU_CYCLE_1) | instskip(NEXT) | instid1(VALU_DEP_1)
	s_add_u32 s10, s2, s10
	v_lshlrev_b64 v[7:8], 2, v[3:4]
	s_addc_u32 s11, s3, s11
	s_add_i32 s4, s4, -1
	s_add_i32 s0, s0, -16
	s_cmp_le_i32 s4, s5
	s_load_b64 s[10:11], s[10:11], 0x0
	v_add_co_u32 v7, vcc_lo, s7, v7
	v_add_co_ci_u32_e32 v8, vcc_lo, s8, v8, vcc_lo
	global_load_b32 v4, v[7:8], off
	v_max_f32_e32 v7, v0, v0
	s_waitcnt lgkmcnt(0)
	v_max_f32_e64 v8, s10, s10
	s_delay_alu instid0(VALU_DEP_1) | instskip(NEXT) | instid1(VALU_DEP_1)
	v_max_f32_e32 v7, v7, v8
	v_sub_f32_e32 v8, s10, v7
	s_delay_alu instid0(VALU_DEP_1) | instskip(NEXT) | instid1(VALU_DEP_1)
	v_dual_sub_f32 v0, v0, v7 :: v_dual_mul_f32 v9, 0x3fb8aa3b, v8
	v_fma_f32 v10, 0x3fb8aa3b, v8, -v9
	v_rndne_f32_e32 v11, v9
	s_delay_alu instid0(VALU_DEP_3) | instskip(NEXT) | instid1(VALU_DEP_2)
	v_mul_f32_e32 v12, 0x3fb8aa3b, v0
	v_dual_fmac_f32 v10, 0x32a5705f, v8 :: v_dual_sub_f32 v9, v9, v11
	v_cvt_i32_f32_e32 v11, v11
	s_delay_alu instid0(VALU_DEP_3) | instskip(SKIP_1) | instid1(VALU_DEP_4)
	v_fma_f32 v13, 0x3fb8aa3b, v0, -v12
	v_rndne_f32_e32 v14, v12
	v_add_f32_e32 v9, v9, v10
	v_cmp_ngt_f32_e32 vcc_lo, 0xc2ce8ed0, v8
	s_delay_alu instid0(VALU_DEP_3) | instskip(NEXT) | instid1(VALU_DEP_3)
	v_sub_f32_e32 v10, v12, v14
	v_exp_f32_e32 v9, v9
	s_waitcnt_depctr 0xfff
	v_ldexp_f32 v9, v9, v11
	v_cvt_i32_f32_e32 v11, v14
	s_delay_alu instid0(VALU_DEP_2) | instskip(SKIP_1) | instid1(VALU_DEP_2)
	v_cndmask_b32_e32 v9, 0, v9, vcc_lo
	v_cmp_nlt_f32_e32 vcc_lo, 0x42b17218, v8
	v_cndmask_b32_e32 v9, 0x7f800000, v9, vcc_lo
	v_cmp_ngt_f32_e32 vcc_lo, 0xc2ce8ed0, v0
	v_fmac_f32_e32 v13, 0x32a5705f, v0
	s_delay_alu instid0(VALU_DEP_1) | instskip(NEXT) | instid1(VALU_DEP_1)
	v_add_f32_e32 v10, v10, v13
	v_exp_f32_e32 v10, v10
	s_waitcnt_depctr 0xfff
	v_ldexp_f32 v10, v10, v11
	s_delay_alu instid0(VALU_DEP_1)
	v_dual_mov_b32 v11, v6 :: v_dual_cndmask_b32 v10, 0, v10
	v_cmp_le_f32_e32 vcc_lo, 0xc1a00000, v8
	s_waitcnt vmcnt(1)
	v_dual_cndmask_b32 v8, 0, v9 :: v_dual_mov_b32 v9, v5
	v_cmp_nlt_f32_e32 vcc_lo, 0x42b17218, v0
	v_cndmask_b32_e32 v5, 0x7f800000, v10, vcc_lo
	s_delay_alu instid0(VALU_DEP_3) | instskip(SKIP_2) | instid1(VALU_DEP_3)
	v_mul_f32_e32 v10, s11, v8
	v_cmp_le_f32_e32 vcc_lo, 0xc1a00000, v0
	v_mov_b32_e32 v0, v7
	v_mov_b32_e32 v6, v10
	s_waitcnt vmcnt(0)
	v_dual_cndmask_b32 v12, 0, v5 :: v_dual_mul_f32 v5, v4, v8
	s_delay_alu instid0(VALU_DEP_1) | instskip(NEXT) | instid1(VALU_DEP_2)
	v_dual_fmac_f32 v6, v11, v12 :: v_dual_add_nc_u32 v3, 0xfffffc00, v3
	v_fmac_f32_e32 v5, v9, v12
	s_cbranch_scc0 .LBB6_3
	s_branch .LBB6_5
.LBB6_4:
	s_waitcnt lgkmcnt(0)
	v_mov_b32_e32 v6, s11
.LBB6_5:
	s_waitcnt vmcnt(0)
	s_delay_alu instid0(VALU_DEP_1) | instskip(NEXT) | instid1(VALU_DEP_1)
	v_div_scale_f32 v0, null, v6, v6, v5
	v_rcp_f32_e32 v3, v0
	s_waitcnt_depctr 0xfff
	v_fma_f32 v4, -v0, v3, 1.0
	s_delay_alu instid0(VALU_DEP_1) | instskip(SKIP_1) | instid1(VALU_DEP_1)
	v_fmac_f32_e32 v3, v4, v3
	v_div_scale_f32 v4, vcc_lo, v5, v6, v5
	v_mul_f32_e32 v7, v4, v3
	s_delay_alu instid0(VALU_DEP_1) | instskip(NEXT) | instid1(VALU_DEP_1)
	v_fma_f32 v8, -v0, v7, v4
	v_fmac_f32_e32 v7, v8, v3
	s_delay_alu instid0(VALU_DEP_1) | instskip(NEXT) | instid1(VALU_DEP_1)
	v_fma_f32 v0, -v0, v7, v4
	v_div_fmas_f32 v0, v0, v3, v7
	s_delay_alu instid0(VALU_DEP_1)
	v_div_fixup_f32 v0, v0, v6, v5
	global_store_b32 v[1:2], v0, off
.LBB6_6:
	s_nop 0
	s_sendmsg sendmsg(MSG_DEALLOC_VGPRS)
	s_endpgm
	.section	.rodata,"a",@progbits
	.p2align	6, 0x0
	.amdhsa_kernel _ZL33flash_attn_stream_k_fixup_uniformILi64ELi2ELi8EEvPfPK15HIP_vector_typeIfLj2EEiiiiiiS1_IjLj3EES5_S5_
		.amdhsa_group_segment_fixed_size 0
		.amdhsa_private_segment_fixed_size 0
		.amdhsa_kernarg_size 76
		.amdhsa_user_sgpr_count 13
		.amdhsa_user_sgpr_dispatch_ptr 0
		.amdhsa_user_sgpr_queue_ptr 0
		.amdhsa_user_sgpr_kernarg_segment_ptr 1
		.amdhsa_user_sgpr_dispatch_id 0
		.amdhsa_user_sgpr_private_segment_size 0
		.amdhsa_wavefront_size32 1
		.amdhsa_uses_dynamic_stack 0
		.amdhsa_enable_private_segment 0
		.amdhsa_system_sgpr_workgroup_id_x 1
		.amdhsa_system_sgpr_workgroup_id_y 1
		.amdhsa_system_sgpr_workgroup_id_z 1
		.amdhsa_system_sgpr_workgroup_info 0
		.amdhsa_system_vgpr_workitem_id 0
		.amdhsa_next_free_vgpr 15
		.amdhsa_next_free_sgpr 20
		.amdhsa_reserve_vcc 1
		.amdhsa_float_round_mode_32 0
		.amdhsa_float_round_mode_16_64 0
		.amdhsa_float_denorm_mode_32 3
		.amdhsa_float_denorm_mode_16_64 3
		.amdhsa_dx10_clamp 1
		.amdhsa_ieee_mode 1
		.amdhsa_fp16_overflow 0
		.amdhsa_workgroup_processor_mode 1
		.amdhsa_memory_ordered 1
		.amdhsa_forward_progress 0
		.amdhsa_shared_vgpr_count 0
		.amdhsa_exception_fp_ieee_invalid_op 0
		.amdhsa_exception_fp_denorm_src 0
		.amdhsa_exception_fp_ieee_div_zero 0
		.amdhsa_exception_fp_ieee_overflow 0
		.amdhsa_exception_fp_ieee_underflow 0
		.amdhsa_exception_fp_ieee_inexact 0
		.amdhsa_exception_int_div_zero 0
	.end_amdhsa_kernel
	.section	.text._ZL33flash_attn_stream_k_fixup_uniformILi64ELi2ELi8EEvPfPK15HIP_vector_typeIfLj2EEiiiiiiS1_IjLj3EES5_S5_,"axG",@progbits,_ZL33flash_attn_stream_k_fixup_uniformILi64ELi2ELi8EEvPfPK15HIP_vector_typeIfLj2EEiiiiiiS1_IjLj3EES5_S5_,comdat
.Lfunc_end6:
	.size	_ZL33flash_attn_stream_k_fixup_uniformILi64ELi2ELi8EEvPfPK15HIP_vector_typeIfLj2EEiiiiiiS1_IjLj3EES5_S5_, .Lfunc_end6-_ZL33flash_attn_stream_k_fixup_uniformILi64ELi2ELi8EEvPfPK15HIP_vector_typeIfLj2EEiiiiiiS1_IjLj3EES5_S5_
                                        ; -- End function
	.section	.AMDGPU.csdata,"",@progbits
; Kernel info:
; codeLenInByte = 996
; NumSgprs: 22
; NumVgprs: 15
; ScratchSize: 0
; MemoryBound: 0
; FloatMode: 240
; IeeeMode: 1
; LDSByteSize: 0 bytes/workgroup (compile time only)
; SGPRBlocks: 2
; VGPRBlocks: 1
; NumSGPRsForWavesPerEU: 22
; NumVGPRsForWavesPerEU: 15
; Occupancy: 16
; WaveLimiterHint : 0
; COMPUTE_PGM_RSRC2:SCRATCH_EN: 0
; COMPUTE_PGM_RSRC2:USER_SGPR: 13
; COMPUTE_PGM_RSRC2:TRAP_HANDLER: 0
; COMPUTE_PGM_RSRC2:TGID_X_EN: 1
; COMPUTE_PGM_RSRC2:TGID_Y_EN: 1
; COMPUTE_PGM_RSRC2:TGID_Z_EN: 1
; COMPUTE_PGM_RSRC2:TIDIG_COMP_CNT: 0
	.section	.text._ZL33flash_attn_stream_k_fixup_generalILi64ELi2ELi8EEvPfPK15HIP_vector_typeIfLj2EEiiiiS1_IjLj3EES5_S5_S5_,"axG",@progbits,_ZL33flash_attn_stream_k_fixup_generalILi64ELi2ELi8EEvPfPK15HIP_vector_typeIfLj2EEiiiiS1_IjLj3EES5_S5_S5_,comdat
	.globl	_ZL33flash_attn_stream_k_fixup_generalILi64ELi2ELi8EEvPfPK15HIP_vector_typeIfLj2EEiiiiS1_IjLj3EES5_S5_S5_ ; -- Begin function _ZL33flash_attn_stream_k_fixup_generalILi64ELi2ELi8EEvPfPK15HIP_vector_typeIfLj2EEiiiiS1_IjLj3EES5_S5_S5_
	.p2align	8
	.type	_ZL33flash_attn_stream_k_fixup_generalILi64ELi2ELi8EEvPfPK15HIP_vector_typeIfLj2EEiiiiS1_IjLj3EES5_S5_S5_,@function
_ZL33flash_attn_stream_k_fixup_generalILi64ELi2ELi8EEvPfPK15HIP_vector_typeIfLj2EEiiiiS1_IjLj3EES5_S5_S5_: ; @_ZL33flash_attn_stream_k_fixup_generalILi64ELi2ELi8EEvPfPK15HIP_vector_typeIfLj2EEiiiiS1_IjLj3EES5_S5_S5_
; %bb.0:
	s_clause 0x1
	s_load_b128 s[4:7], s[0:1], 0x10
	s_load_b32 s20, s[0:1], 0x50
	s_mov_b32 s2, 0
	s_waitcnt lgkmcnt(0)
	s_mul_hi_i32 s3, s7, s13
	s_mul_i32 s12, s7, s13
	s_cmp_lg_u64 s[2:3], 0
	s_cbranch_scc0 .LBB7_21
; %bb.1:
	v_cvt_f32_ubyte0_e32 v1, 0
	v_cvt_f32_u32_e32 v2, s20
	s_sub_u32 s10, 0, s20
	s_subb_u32 s11, 0, 0
	s_delay_alu instid0(VALU_DEP_1) | instskip(NEXT) | instid1(VALU_DEP_1)
	v_fmamk_f32 v1, v1, 0x4f800000, v2
	v_rcp_f32_e32 v1, v1
	s_waitcnt_depctr 0xfff
	v_mul_f32_e32 v1, 0x5f7ffffc, v1
	s_delay_alu instid0(VALU_DEP_1) | instskip(NEXT) | instid1(VALU_DEP_1)
	v_mul_f32_e32 v2, 0x2f800000, v1
	v_trunc_f32_e32 v2, v2
	s_delay_alu instid0(VALU_DEP_1) | instskip(SKIP_1) | instid1(VALU_DEP_2)
	v_fmamk_f32 v1, v2, 0xcf800000, v1
	v_cvt_u32_f32_e32 v2, v2
	v_cvt_u32_f32_e32 v1, v1
	s_delay_alu instid0(VALU_DEP_2) | instskip(NEXT) | instid1(VALU_DEP_2)
	v_readfirstlane_b32 s8, v2
	v_readfirstlane_b32 s9, v1
	s_delay_alu instid0(VALU_DEP_2) | instskip(NEXT) | instid1(VALU_DEP_1)
	s_mul_i32 s16, s10, s8
	s_mul_hi_u32 s18, s10, s9
	s_mul_i32 s17, s11, s9
	s_add_i32 s16, s18, s16
	s_mul_i32 s19, s10, s9
	s_add_i32 s16, s16, s17
	s_mul_hi_u32 s18, s9, s19
	s_mul_hi_u32 s21, s8, s19
	s_mul_i32 s17, s8, s19
	s_mul_hi_u32 s19, s9, s16
	s_mul_i32 s9, s9, s16
	s_mul_hi_u32 s22, s8, s16
	s_add_u32 s9, s18, s9
	s_addc_u32 s18, 0, s19
	s_add_u32 s9, s9, s17
	s_mul_i32 s16, s8, s16
	s_addc_u32 s9, s18, s21
	s_addc_u32 s17, s22, 0
	s_add_u32 s9, s9, s16
	s_addc_u32 s16, 0, s17
	v_add_co_u32 v1, s9, v1, s9
	s_delay_alu instid0(VALU_DEP_1) | instskip(SKIP_1) | instid1(VALU_DEP_1)
	s_cmp_lg_u32 s9, 0
	s_addc_u32 s8, s8, s16
	v_readfirstlane_b32 s9, v1
	s_mul_i32 s16, s10, s8
	s_delay_alu instid0(VALU_DEP_1)
	s_mul_hi_u32 s17, s10, s9
	s_mul_i32 s11, s11, s9
	s_add_i32 s16, s17, s16
	s_mul_i32 s10, s10, s9
	s_add_i32 s16, s16, s11
	s_mul_hi_u32 s17, s8, s10
	s_mul_i32 s18, s8, s10
	s_mul_hi_u32 s10, s9, s10
	s_mul_hi_u32 s19, s9, s16
	s_mul_i32 s9, s9, s16
	s_mul_hi_u32 s11, s8, s16
	s_add_u32 s9, s10, s9
	s_addc_u32 s10, 0, s19
	s_add_u32 s9, s9, s18
	s_mul_i32 s16, s8, s16
	s_addc_u32 s9, s10, s17
	s_addc_u32 s10, s11, 0
	s_add_u32 s9, s9, s16
	s_addc_u32 s10, 0, s10
	v_add_co_u32 v1, s9, v1, s9
	s_delay_alu instid0(VALU_DEP_1) | instskip(SKIP_2) | instid1(SALU_CYCLE_1)
	s_cmp_lg_u32 s9, 0
	s_addc_u32 s16, s8, s10
	s_ashr_i32 s8, s3, 31
	s_add_u32 s10, s12, s8
	s_addc_u32 s11, s3, s8
	v_readfirstlane_b32 s3, v1
	s_mov_b32 s9, s8
	s_delay_alu instid0(SALU_CYCLE_1) | instskip(NEXT) | instid1(SALU_CYCLE_1)
	s_xor_b64 s[10:11], s[10:11], s[8:9]
	s_mul_i32 s18, s10, s16
	s_delay_alu instid0(VALU_DEP_1)
	s_mul_hi_u32 s19, s10, s3
	s_mul_hi_u32 s17, s10, s16
	;; [unrolled: 1-line block ×3, first 2 shown]
	s_mul_i32 s3, s11, s3
	s_add_u32 s18, s19, s18
	s_addc_u32 s17, 0, s17
	s_mul_hi_u32 s21, s11, s16
	s_add_u32 s3, s18, s3
	s_mul_i32 s16, s11, s16
	s_addc_u32 s3, s17, s22
	s_addc_u32 s17, s21, 0
	s_add_u32 s3, s3, s16
	s_addc_u32 s16, 0, s17
	s_mul_i32 s18, s20, s3
	s_add_u32 s17, s3, 1
	v_sub_co_u32 v1, s10, s10, s18
	s_mul_hi_u32 s18, s20, s3
	s_addc_u32 s19, s16, 0
	s_mul_i32 s21, s20, s16
	s_delay_alu instid0(VALU_DEP_1)
	v_sub_co_u32 v2, s22, v1, s20
	s_add_u32 s23, s3, 2
	s_addc_u32 s24, s16, 0
	s_add_i32 s18, s18, s21
	s_cmp_lg_u32 s10, 0
	v_readfirstlane_b32 s10, v2
	s_subb_u32 s11, s11, s18
	s_cmp_lg_u32 s22, 0
	s_subb_u32 s18, s11, 0
	s_delay_alu instid0(VALU_DEP_1) | instskip(SKIP_4) | instid1(SALU_CYCLE_1)
	s_cmp_ge_u32 s10, s20
	s_cselect_b32 s10, -1, 0
	s_cmp_eq_u32 s18, 0
	v_readfirstlane_b32 s18, v1
	s_cselect_b32 s10, s10, -1
	s_cmp_lg_u32 s10, 0
	s_cselect_b32 s10, s23, s17
	s_cselect_b32 s17, s24, s19
	s_cmp_ge_u32 s18, s20
	s_cselect_b32 s18, -1, 0
	s_cmp_eq_u32 s11, 0
	s_cselect_b32 s11, s18, -1
	s_delay_alu instid0(SALU_CYCLE_1) | instskip(SKIP_2) | instid1(SALU_CYCLE_1)
	s_cmp_lg_u32 s11, 0
	s_cselect_b32 s11, s17, s16
	s_cselect_b32 s10, s10, s3
	s_xor_b64 s[10:11], s[10:11], s[8:9]
	s_delay_alu instid0(SALU_CYCLE_1)
	s_sub_u32 s16, s10, s8
	s_load_b128 s[8:11], s[0:1], 0x44
	s_and_not1_b32 vcc_lo, exec_lo, s2
	s_cbranch_vccnz .LBB7_3
.LBB7_2:
	v_cvt_f32_u32_e32 v1, s20
	s_sub_i32 s3, 0, s20
	s_delay_alu instid0(VALU_DEP_1) | instskip(SKIP_2) | instid1(VALU_DEP_1)
	v_rcp_iflag_f32_e32 v1, v1
	s_waitcnt_depctr 0xfff
	v_mul_f32_e32 v1, 0x4f7ffffe, v1
	v_cvt_u32_f32_e32 v1, v1
	s_delay_alu instid0(VALU_DEP_1) | instskip(NEXT) | instid1(VALU_DEP_1)
	v_readfirstlane_b32 s2, v1
	s_mul_i32 s3, s3, s2
	s_delay_alu instid0(SALU_CYCLE_1) | instskip(NEXT) | instid1(SALU_CYCLE_1)
	s_mul_hi_u32 s3, s2, s3
	s_add_i32 s2, s2, s3
	s_delay_alu instid0(SALU_CYCLE_1) | instskip(NEXT) | instid1(SALU_CYCLE_1)
	s_mul_hi_u32 s2, s12, s2
	s_mul_i32 s3, s2, s20
	s_waitcnt lgkmcnt(0)
	s_add_i32 s11, s2, 1
	s_sub_i32 s3, s12, s3
	s_delay_alu instid0(SALU_CYCLE_1)
	s_sub_i32 s12, s3, s20
	s_cmp_ge_u32 s3, s20
	s_cselect_b32 s2, s11, s2
	s_cselect_b32 s3, s12, s3
	s_add_i32 s11, s2, 1
	s_cmp_ge_u32 s3, s20
	s_cselect_b32 s16, s11, s2
.LBB7_3:
	s_waitcnt lgkmcnt(0)
	s_add_i32 s11, s13, 1
	s_mov_b32 s2, 0
	s_mul_hi_i32 s3, s7, s11
	s_mul_i32 s11, s7, s11
	s_cmp_lg_u64 s[2:3], 0
	s_cbranch_scc0 .LBB7_22
; %bb.4:
	v_cvt_f32_ubyte0_e32 v1, 0
	v_cvt_f32_u32_e32 v2, s20
	s_sub_u32 s18, 0, s20
	s_subb_u32 s19, 0, 0
	s_delay_alu instid0(VALU_DEP_1) | instskip(NEXT) | instid1(VALU_DEP_1)
	v_fmamk_f32 v1, v1, 0x4f800000, v2
	v_rcp_f32_e32 v1, v1
	s_waitcnt_depctr 0xfff
	v_mul_f32_e32 v1, 0x5f7ffffc, v1
	s_delay_alu instid0(VALU_DEP_1) | instskip(NEXT) | instid1(VALU_DEP_1)
	v_mul_f32_e32 v2, 0x2f800000, v1
	v_trunc_f32_e32 v2, v2
	s_delay_alu instid0(VALU_DEP_1) | instskip(SKIP_1) | instid1(VALU_DEP_2)
	v_fmamk_f32 v1, v2, 0xcf800000, v1
	v_cvt_u32_f32_e32 v2, v2
	v_cvt_u32_f32_e32 v1, v1
	s_delay_alu instid0(VALU_DEP_2) | instskip(NEXT) | instid1(VALU_DEP_2)
	v_readfirstlane_b32 s12, v2
	v_readfirstlane_b32 s17, v1
	s_delay_alu instid0(VALU_DEP_2) | instskip(NEXT) | instid1(VALU_DEP_1)
	s_mul_i32 s21, s18, s12
	s_mul_hi_u32 s23, s18, s17
	s_mul_i32 s22, s19, s17
	s_add_i32 s21, s23, s21
	s_mul_i32 s24, s18, s17
	s_add_i32 s21, s21, s22
	s_mul_hi_u32 s23, s17, s24
	s_mul_hi_u32 s25, s12, s24
	s_mul_i32 s22, s12, s24
	s_mul_hi_u32 s24, s17, s21
	s_mul_i32 s17, s17, s21
	s_mul_hi_u32 s26, s12, s21
	s_add_u32 s17, s23, s17
	s_addc_u32 s23, 0, s24
	s_add_u32 s17, s17, s22
	s_mul_i32 s21, s12, s21
	s_addc_u32 s17, s23, s25
	s_addc_u32 s22, s26, 0
	s_add_u32 s17, s17, s21
	s_addc_u32 s21, 0, s22
	v_add_co_u32 v1, s17, v1, s17
	s_delay_alu instid0(VALU_DEP_1) | instskip(SKIP_1) | instid1(VALU_DEP_1)
	s_cmp_lg_u32 s17, 0
	s_addc_u32 s12, s12, s21
	v_readfirstlane_b32 s17, v1
	s_mul_i32 s21, s18, s12
	s_delay_alu instid0(VALU_DEP_1)
	s_mul_hi_u32 s22, s18, s17
	s_mul_i32 s19, s19, s17
	s_add_i32 s21, s22, s21
	s_mul_i32 s18, s18, s17
	s_add_i32 s21, s21, s19
	s_mul_hi_u32 s22, s12, s18
	s_mul_i32 s23, s12, s18
	s_mul_hi_u32 s18, s17, s18
	s_mul_hi_u32 s24, s17, s21
	s_mul_i32 s17, s17, s21
	s_mul_hi_u32 s19, s12, s21
	s_add_u32 s17, s18, s17
	s_addc_u32 s18, 0, s24
	s_add_u32 s17, s17, s23
	s_mul_i32 s21, s12, s21
	s_addc_u32 s17, s18, s22
	s_addc_u32 s18, s19, 0
	s_add_u32 s17, s17, s21
	s_addc_u32 s18, 0, s18
	v_add_co_u32 v1, s17, v1, s17
	s_delay_alu instid0(VALU_DEP_1) | instskip(SKIP_2) | instid1(SALU_CYCLE_1)
	s_cmp_lg_u32 s17, 0
	s_addc_u32 s12, s12, s18
	s_ashr_i32 s18, s3, 31
	s_add_u32 s22, s11, s18
	s_addc_u32 s23, s3, s18
	v_readfirstlane_b32 s3, v1
	s_mov_b32 s19, s18
	s_delay_alu instid0(SALU_CYCLE_1) | instskip(NEXT) | instid1(SALU_CYCLE_1)
	s_xor_b64 s[22:23], s[22:23], s[18:19]
	s_mul_i32 s21, s22, s12
	s_delay_alu instid0(VALU_DEP_1)
	s_mul_hi_u32 s24, s22, s3
	s_mul_hi_u32 s17, s22, s12
	;; [unrolled: 1-line block ×3, first 2 shown]
	s_mul_i32 s3, s23, s3
	s_add_u32 s21, s24, s21
	s_addc_u32 s17, 0, s17
	s_mul_hi_u32 s25, s23, s12
	s_add_u32 s3, s21, s3
	s_mul_i32 s12, s23, s12
	s_addc_u32 s3, s17, s26
	s_addc_u32 s17, s25, 0
	s_add_u32 s3, s3, s12
	s_addc_u32 s12, 0, s17
	s_mul_i32 s21, s20, s3
	s_add_u32 s17, s3, 1
	v_sub_co_u32 v1, s21, s22, s21
	s_mul_hi_u32 s22, s20, s3
	s_addc_u32 s24, s12, 0
	s_mul_i32 s25, s20, s12
	s_delay_alu instid0(VALU_DEP_1)
	v_sub_co_u32 v2, s26, v1, s20
	s_add_u32 s27, s3, 2
	s_addc_u32 s28, s12, 0
	s_add_i32 s22, s22, s25
	s_cmp_lg_u32 s21, 0
	v_readfirstlane_b32 s21, v2
	s_subb_u32 s22, s23, s22
	s_cmp_lg_u32 s26, 0
	s_subb_u32 s23, s22, 0
	s_delay_alu instid0(VALU_DEP_1) | instskip(SKIP_4) | instid1(SALU_CYCLE_1)
	s_cmp_ge_u32 s21, s20
	s_cselect_b32 s21, -1, 0
	s_cmp_eq_u32 s23, 0
	v_readfirstlane_b32 s23, v1
	s_cselect_b32 s21, s21, -1
	s_cmp_lg_u32 s21, 0
	s_cselect_b32 s17, s27, s17
	s_cselect_b32 s21, s28, s24
	s_cmp_ge_u32 s23, s20
	s_cselect_b32 s23, -1, 0
	s_cmp_eq_u32 s22, 0
	s_cselect_b32 s22, s23, -1
	s_delay_alu instid0(SALU_CYCLE_1) | instskip(SKIP_2) | instid1(SALU_CYCLE_1)
	s_cmp_lg_u32 s22, 0
	s_cselect_b32 s23, s21, s12
	s_cselect_b32 s22, s17, s3
	s_xor_b64 s[22:23], s[22:23], s[18:19]
	s_delay_alu instid0(SALU_CYCLE_1)
	s_sub_u32 s18, s22, s18
	s_and_not1_b32 vcc_lo, exec_lo, s2
	s_cbranch_vccnz .LBB7_6
.LBB7_5:
	v_cvt_f32_u32_e32 v1, s20
	s_sub_i32 s3, 0, s20
	s_delay_alu instid0(VALU_DEP_1) | instskip(SKIP_2) | instid1(VALU_DEP_1)
	v_rcp_iflag_f32_e32 v1, v1
	s_waitcnt_depctr 0xfff
	v_mul_f32_e32 v1, 0x4f7ffffe, v1
	v_cvt_u32_f32_e32 v1, v1
	s_delay_alu instid0(VALU_DEP_1) | instskip(NEXT) | instid1(VALU_DEP_1)
	v_readfirstlane_b32 s2, v1
	s_mul_i32 s3, s3, s2
	s_delay_alu instid0(SALU_CYCLE_1) | instskip(NEXT) | instid1(SALU_CYCLE_1)
	s_mul_hi_u32 s3, s2, s3
	s_add_i32 s2, s2, s3
	s_delay_alu instid0(SALU_CYCLE_1) | instskip(NEXT) | instid1(SALU_CYCLE_1)
	s_mul_hi_u32 s2, s11, s2
	s_mul_i32 s3, s2, s20
	s_delay_alu instid0(SALU_CYCLE_1)
	s_sub_i32 s3, s11, s3
	s_add_i32 s11, s2, 1
	s_sub_i32 s12, s3, s20
	s_cmp_ge_u32 s3, s20
	s_cselect_b32 s2, s11, s2
	s_cselect_b32 s3, s12, s3
	s_add_i32 s11, s2, 1
	s_cmp_ge_u32 s3, s20
	s_cselect_b32 s18, s11, s2
.LBB7_6:
	s_delay_alu instid0(SALU_CYCLE_1) | instskip(SKIP_3) | instid1(SALU_CYCLE_1)
	s_cmp_eq_u32 s16, s18
	s_mul_hi_u32 s2, s16, s8
	s_cselect_b32 s3, -1, 0
	s_add_i32 s2, s2, s16
	s_lshr_b32 s11, s2, s9
	s_delay_alu instid0(SALU_CYCLE_1) | instskip(NEXT) | instid1(SALU_CYCLE_1)
	s_mul_i32 s2, s11, s10
	s_cmp_eq_u32 s2, s16
	s_mul_hi_u32 s2, s18, s8
	s_cselect_b32 s12, -1, 0
	s_add_i32 s2, s2, s18
	s_delay_alu instid0(SALU_CYCLE_1) | instskip(NEXT) | instid1(SALU_CYCLE_1)
	s_lshr_b32 s2, s2, s9
	s_cmp_eq_u32 s11, s2
	s_mul_i32 s2, s2, s10
	s_cselect_b32 s17, -1, 0
	s_cmp_lg_u32 s2, s18
	s_cselect_b32 s2, -1, 0
	s_or_b32 s3, s3, s12
	s_and_b32 s2, s17, s2
	s_delay_alu instid0(SALU_CYCLE_1) | instskip(NEXT) | instid1(SALU_CYCLE_1)
	s_or_b32 s2, s3, s2
	s_and_b32 vcc_lo, exec_lo, s2
	s_cbranch_vccnz .LBB7_24
; %bb.7:
	s_load_b256 s[24:31], s[0:1], 0x20
	s_waitcnt lgkmcnt(0)
	s_mul_hi_u32 s2, s16, s24
	s_delay_alu instid0(SALU_CYCLE_1) | instskip(NEXT) | instid1(SALU_CYCLE_1)
	s_add_i32 s2, s2, s16
	s_lshr_b32 s17, s2, s25
	s_load_b32 s2, s[0:1], 0x40
	s_mul_i32 s3, s17, s26
	s_delay_alu instid0(SALU_CYCLE_1) | instskip(NEXT) | instid1(SALU_CYCLE_1)
	s_sub_i32 s3, s16, s3
	s_mul_hi_u32 s12, s3, s27
	s_delay_alu instid0(SALU_CYCLE_1) | instskip(NEXT) | instid1(SALU_CYCLE_1)
	s_add_i32 s12, s3, s12
	s_lshr_b32 s21, s12, s28
	s_delay_alu instid0(SALU_CYCLE_1) | instskip(NEXT) | instid1(SALU_CYCLE_1)
	s_mul_i32 s12, s21, s29
	s_sub_i32 s3, s3, s12
	s_delay_alu instid0(SALU_CYCLE_1) | instskip(NEXT) | instid1(SALU_CYCLE_1)
	s_mul_hi_u32 s12, s3, s30
	s_add_i32 s12, s3, s12
	s_delay_alu instid0(SALU_CYCLE_1)
	s_lshr_b32 s12, s12, s31
	s_waitcnt lgkmcnt(0)
	s_mul_i32 s2, s12, s2
	s_lshl_b32 s23, s12, 3
	s_sub_i32 s2, s3, s2
	s_mov_b32 s12, 0
	s_mul_hi_u32 s3, s2, s8
	s_delay_alu instid0(SALU_CYCLE_1) | instskip(NEXT) | instid1(SALU_CYCLE_1)
	s_add_i32 s2, s2, s3
	s_lshr_b32 s22, s2, s9
	s_delay_alu instid0(SALU_CYCLE_1) | instskip(NEXT) | instid1(SALU_CYCLE_1)
	s_lshl_b32 s2, s22, 1
	s_add_i32 s2, s2, s14
	s_delay_alu instid0(SALU_CYCLE_1) | instskip(SKIP_2) | instid1(SALU_CYCLE_1)
	s_cmp_lt_i32 s2, s4
	s_cselect_b32 s2, -1, 0
	s_add_i32 s3, s23, s15
	s_cmp_lt_i32 s3, s6
	s_cselect_b32 s3, -1, 0
	s_delay_alu instid0(SALU_CYCLE_1) | instskip(NEXT) | instid1(SALU_CYCLE_1)
	s_and_b32 s2, s2, s3
	s_and_not1_b32 vcc_lo, exec_lo, s2
	s_cbranch_vccnz .LBB7_24
; %bb.8:
	s_load_b128 s[0:3], s[0:1], 0x0
	s_lshl_b32 s18, s20, 6
	s_mov_b32 s19, s12
	s_lshl_b32 s24, s14, 3
	s_lshl_b64 s[18:19], s[18:19], 2
	s_mul_i32 s4, s17, s4
	s_add_i32 s17, s24, s15
	s_mul_i32 s21, s21, s6
	v_cvt_f32_ubyte0_e32 v4, 0
	v_cvt_f32_u32_e32 v5, s20
	s_waitcnt lgkmcnt(0)
	s_add_u32 s18, s2, s18
	s_addc_u32 s19, s3, s19
	s_add_i32 s4, s4, s14
	s_delay_alu instid0(SALU_CYCLE_1) | instskip(SKIP_4) | instid1(SALU_CYCLE_1)
	s_mul_i32 s4, s4, s5
	s_mul_i32 s5, s5, s22
	s_add_i32 s4, s4, s15
	s_lshl_b32 s5, s5, 7
	s_add_i32 s4, s4, s21
	s_add_i32 s4, s4, s23
	s_delay_alu instid0(SALU_CYCLE_1) | instskip(NEXT) | instid1(SALU_CYCLE_1)
	s_lshl_b32 s4, s4, 6
	s_add_i32 s5, s5, s4
	s_delay_alu instid0(SALU_CYCLE_1) | instskip(SKIP_1) | instid1(VALU_DEP_2)
	v_or_b32_e32 v1, s5, v0
	v_lshl_or_b32 v0, s17, 6, v0
	v_ashrrev_i32_e32 v2, 31, v1
	s_delay_alu instid0(VALU_DEP_1) | instskip(NEXT) | instid1(VALU_DEP_1)
	v_lshlrev_b64 v[1:2], 2, v[1:2]
	v_add_co_u32 v1, vcc_lo, s0, v1
	s_delay_alu instid0(VALU_DEP_2) | instskip(SKIP_1) | instid1(SALU_CYCLE_1)
	v_add_co_ci_u32_e32 v2, vcc_lo, s1, v2, vcc_lo
	s_lshl_b32 s0, s13, 4
	s_add_i32 s0, s17, s0
	global_load_b32 v3, v[1:2], off
	s_ashr_i32 s1, s0, 31
	s_delay_alu instid0(SALU_CYCLE_1) | instskip(NEXT) | instid1(SALU_CYCLE_1)
	s_lshl_b64 s[0:1], s[0:1], 3
	s_add_u32 s0, s2, s0
	s_addc_u32 s1, s3, s1
	s_add_i32 s14, s13, -1
	s_load_b64 s[0:1], s[0:1], 0x0
	v_fmac_f32_e32 v5, 0x4f800000, v4
	s_sub_i32 s6, 0, s20
	s_waitcnt lgkmcnt(0)
	v_mov_b32_e32 v8, s0
	s_delay_alu instid0(VALU_DEP_2) | instskip(SKIP_2) | instid1(VALU_DEP_2)
	v_rcp_f32_e32 v4, v5
	v_cvt_f32_u32_e32 v5, s20
	v_mov_b32_e32 v7, s1
	v_rcp_iflag_f32_e32 v5, v5
	s_waitcnt_depctr 0xfff
	v_mul_f32_e32 v4, 0x5f7ffffc, v4
	s_delay_alu instid0(VALU_DEP_1) | instskip(SKIP_1) | instid1(VALU_DEP_2)
	v_mul_f32_e32 v6, 0x2f800000, v4
	v_mul_f32_e32 v9, 0x4f7ffffe, v5
	v_trunc_f32_e32 v6, v6
	s_delay_alu instid0(VALU_DEP_1) | instskip(SKIP_1) | instid1(VALU_DEP_4)
	v_fmac_f32_e32 v4, 0xcf800000, v6
	v_cvt_u32_f32_e32 v5, v6
	v_cvt_u32_f32_e32 v6, v9
	s_delay_alu instid0(VALU_DEP_3)
	v_cvt_u32_f32_e32 v4, v4
.LBB7_9:                                ; =>This Inner Loop Header: Depth=1
	s_mul_hi_i32 s13, s14, s7
	s_mul_i32 s4, s14, s7
	s_cmp_lg_u64 s[12:13], 0
	s_mov_b32 s5, -1
                                        ; implicit-def: $sgpr0_sgpr1
	s_cbranch_scc0 .LBB7_11
; %bb.10:                               ;   in Loop: Header=BB7_9 Depth=1
	v_readfirstlane_b32 s0, v4
	v_readfirstlane_b32 s1, v5
	s_sub_u32 s5, 0, s20
	s_subb_u32 s15, 0, 0
	s_delay_alu instid0(VALU_DEP_2) | instskip(NEXT) | instid1(VALU_DEP_1)
	s_mul_hi_u32 s21, s5, s0
	s_mul_i32 s22, s5, s1
	s_mul_i32 s23, s15, s0
	s_add_i32 s21, s21, s22
	s_mul_i32 s22, s5, s0
	s_add_i32 s21, s21, s23
	s_mul_hi_u32 s23, s0, s22
	s_mul_i32 s24, s0, s21
	s_mul_hi_u32 s0, s0, s21
	s_add_u32 s23, s23, s24
	s_mul_i32 s25, s1, s22
	s_addc_u32 s0, 0, s0
	s_mul_hi_u32 s22, s1, s22
	s_mul_hi_u32 s24, s1, s21
	s_add_u32 s23, s23, s25
	s_addc_u32 s0, s0, s22
	s_mul_i32 s21, s1, s21
	s_addc_u32 s22, s24, 0
	s_add_u32 s0, s0, s21
	s_addc_u32 s21, 0, s22
	v_add_co_u32 v9, s0, v4, s0
	s_delay_alu instid0(VALU_DEP_1) | instskip(SKIP_1) | instid1(VALU_DEP_1)
	s_cmp_lg_u32 s0, 0
	s_addc_u32 s1, s1, s21
	v_readfirstlane_b32 s0, v9
	s_mul_i32 s21, s5, s1
	s_delay_alu instid0(VALU_DEP_1)
	s_mul_hi_u32 s22, s5, s0
	s_mul_i32 s15, s15, s0
	s_add_i32 s21, s22, s21
	s_mul_i32 s5, s5, s0
	s_add_i32 s21, s21, s15
	s_mul_hi_u32 s15, s1, s5
	s_mul_i32 s23, s1, s5
	s_mul_i32 s24, s0, s21
	s_mul_hi_u32 s5, s0, s5
	s_mul_hi_u32 s0, s0, s21
	s_add_u32 s5, s5, s24
	s_addc_u32 s0, 0, s0
	s_mul_hi_u32 s22, s1, s21
	s_add_u32 s5, s5, s23
	s_addc_u32 s0, s0, s15
	s_mul_i32 s5, s1, s21
	s_addc_u32 s15, s22, 0
	s_add_u32 s0, s0, s5
	s_addc_u32 s5, 0, s15
	v_add_co_u32 v9, s0, v9, s0
	s_delay_alu instid0(VALU_DEP_1) | instskip(SKIP_2) | instid1(SALU_CYCLE_1)
	s_cmp_lg_u32 s0, 0
	s_addc_u32 s5, s1, s5
	s_ashr_i32 s0, s13, 31
	s_add_u32 s22, s4, s0
	s_addc_u32 s23, s13, s0
	v_readfirstlane_b32 s13, v9
	s_mov_b32 s1, s0
	s_delay_alu instid0(SALU_CYCLE_1) | instskip(NEXT) | instid1(SALU_CYCLE_1)
	s_xor_b64 s[22:23], s[22:23], s[0:1]
	s_mul_i32 s15, s22, s5
	s_delay_alu instid0(VALU_DEP_1)
	s_mul_hi_u32 s21, s22, s13
	s_mul_hi_u32 s24, s22, s5
	s_add_u32 s15, s21, s15
	s_mul_i32 s25, s23, s13
	s_addc_u32 s21, 0, s24
	s_mul_hi_u32 s13, s23, s13
	s_mul_hi_u32 s24, s23, s5
	s_add_u32 s15, s15, s25
	s_addc_u32 s13, s21, s13
	s_mul_i32 s5, s23, s5
	s_addc_u32 s15, s24, 0
	s_add_u32 s5, s13, s5
	s_addc_u32 s13, 0, s15
	s_mul_i32 s21, s20, s5
	s_add_u32 s15, s5, 1
	v_sub_co_u32 v9, s21, s22, s21
	s_addc_u32 s22, s13, 0
	s_mul_i32 s25, s20, s13
	s_mul_hi_u32 s27, s20, s5
	s_delay_alu instid0(VALU_DEP_1)
	v_sub_co_u32 v10, s26, v9, s20
	s_add_u32 s24, s5, 2
	s_addc_u32 s28, s13, 0
	s_add_i32 s27, s27, s25
	s_cmp_lg_u32 s21, 0
	v_readfirstlane_b32 s21, v10
	s_subb_u32 s23, s23, s27
	s_cmp_lg_u32 s26, 0
	s_subb_u32 s25, s23, 0
	s_delay_alu instid0(VALU_DEP_1) | instskip(SKIP_4) | instid1(SALU_CYCLE_1)
	s_cmp_ge_u32 s21, s20
	s_cselect_b32 s21, -1, 0
	s_cmp_eq_u32 s25, 0
	v_readfirstlane_b32 s25, v9
	s_cselect_b32 s21, s21, -1
	s_cmp_lg_u32 s21, 0
	s_cselect_b32 s15, s24, s15
	s_cselect_b32 s21, s28, s22
	s_cmp_ge_u32 s25, s20
	s_cselect_b32 s22, -1, 0
	s_cmp_eq_u32 s23, 0
	s_cselect_b32 s22, s22, -1
	s_delay_alu instid0(SALU_CYCLE_1) | instskip(SKIP_4) | instid1(SALU_CYCLE_1)
	s_cmp_lg_u32 s22, 0
	s_cselect_b32 s23, s21, s13
	s_cselect_b32 s22, s15, s5
	s_mov_b32 s5, 0
	s_xor_b64 s[22:23], s[22:23], s[0:1]
	s_sub_u32 s0, s22, s0
.LBB7_11:                               ;   in Loop: Header=BB7_9 Depth=1
	s_and_not1_b32 vcc_lo, exec_lo, s5
	s_cbranch_vccnz .LBB7_13
; %bb.12:                               ;   in Loop: Header=BB7_9 Depth=1
	v_readfirstlane_b32 s0, v6
	s_delay_alu instid0(VALU_DEP_1) | instskip(NEXT) | instid1(SALU_CYCLE_1)
	s_mul_i32 s1, s6, s0
	s_mul_hi_u32 s1, s0, s1
	s_delay_alu instid0(SALU_CYCLE_1) | instskip(NEXT) | instid1(SALU_CYCLE_1)
	s_add_i32 s0, s0, s1
	s_mul_hi_u32 s0, s4, s0
	s_delay_alu instid0(SALU_CYCLE_1) | instskip(NEXT) | instid1(SALU_CYCLE_1)
	s_mul_i32 s1, s0, s20
	s_sub_i32 s1, s4, s1
	s_add_i32 s4, s0, 1
	s_sub_i32 s5, s1, s20
	s_cmp_ge_u32 s1, s20
	s_cselect_b32 s0, s4, s0
	s_cselect_b32 s1, s5, s1
	s_add_i32 s4, s0, 1
	s_cmp_ge_u32 s1, s20
	s_cselect_b32 s0, s4, s0
.LBB7_13:                               ;   in Loop: Header=BB7_9 Depth=1
	s_delay_alu instid0(SALU_CYCLE_1)
	s_cmp_lg_u32 s16, s0
	s_cbranch_scc0 .LBB7_17
; %bb.14:                               ;   in Loop: Header=BB7_9 Depth=1
	s_add_i32 s1, s14, s20
	s_mov_b32 s5, s12
	s_lshl_b32 s1, s1, 4
	s_mov_b32 s15, s16
	s_add_i32 s4, s1, s17
	s_mul_hi_u32 s1, s0, s8
	s_lshl_b64 s[4:5], s[4:5], 3
	s_delay_alu instid0(SALU_CYCLE_1) | instskip(SKIP_2) | instid1(SALU_CYCLE_1)
	s_add_u32 s4, s2, s4
	s_addc_u32 s5, s3, s5
	s_add_i32 s1, s1, s0
	s_lshr_b32 s1, s1, s9
	s_delay_alu instid0(SALU_CYCLE_1) | instskip(NEXT) | instid1(SALU_CYCLE_1)
	s_mul_i32 s13, s1, s10
	s_cmp_eq_u32 s13, s0
	s_cselect_b32 s13, -1, 0
	s_cmp_lt_u32 s1, s11
	s_cselect_b32 s1, -1, 0
	s_delay_alu instid0(SALU_CYCLE_1)
	s_or_b32 s1, s1, s13
	s_mov_b32 s13, -1
	s_and_b32 vcc_lo, exec_lo, s1
	s_mov_b32 s1, s14
	s_cbranch_vccnz .LBB7_16
; %bb.15:                               ;   in Loop: Header=BB7_9 Depth=1
	s_add_i32 s1, s14, -1
	s_mov_b32 s13, 0
	s_mov_b32 s15, s0
.LBB7_16:                               ;   in Loop: Header=BB7_9 Depth=1
	v_lshl_add_u32 v9, s14, 10, v0
	s_load_b64 s[4:5], s[4:5], 0x0
	s_delay_alu instid0(VALU_DEP_1) | instskip(NEXT) | instid1(VALU_DEP_1)
	v_ashrrev_i32_e32 v10, 31, v9
	v_lshlrev_b64 v[9:10], 2, v[9:10]
	s_delay_alu instid0(VALU_DEP_1) | instskip(NEXT) | instid1(VALU_DEP_2)
	v_add_co_u32 v9, vcc_lo, s18, v9
	v_add_co_ci_u32_e32 v10, vcc_lo, s19, v10, vcc_lo
	s_waitcnt lgkmcnt(0)
	v_max_f32_e64 v11, s4, s4
	global_load_b32 v10, v[9:10], off
	v_max_f32_e32 v9, v8, v8
	s_delay_alu instid0(VALU_DEP_1) | instskip(NEXT) | instid1(VALU_DEP_1)
	v_max_f32_e32 v9, v9, v11
	v_sub_f32_e32 v12, v8, v9
	s_delay_alu instid0(VALU_DEP_1) | instskip(NEXT) | instid1(VALU_DEP_1)
	v_dual_mul_f32 v14, 0x3fb8aa3b, v12 :: v_dual_sub_f32 v11, s4, v9
	v_rndne_f32_e32 v18, v14
	s_delay_alu instid0(VALU_DEP_2) | instskip(SKIP_2) | instid1(VALU_DEP_4)
	v_mul_f32_e32 v13, 0x3fb8aa3b, v11
	v_fma_f32 v17, 0x3fb8aa3b, v12, -v14
	v_cmp_ngt_f32_e32 vcc_lo, 0xc2ce8ed0, v11
	v_sub_f32_e32 v14, v14, v18
	s_delay_alu instid0(VALU_DEP_4) | instskip(SKIP_2) | instid1(VALU_DEP_3)
	v_fma_f32 v15, 0x3fb8aa3b, v11, -v13
	v_rndne_f32_e32 v16, v13
	v_fmac_f32_e32 v17, 0x32a5705f, v12
	v_fmac_f32_e32 v15, 0x32a5705f, v11
	s_delay_alu instid0(VALU_DEP_2) | instskip(NEXT) | instid1(VALU_DEP_1)
	v_dual_sub_f32 v13, v13, v16 :: v_dual_add_f32 v14, v14, v17
	v_add_f32_e32 v13, v13, v15
	s_delay_alu instid0(VALU_DEP_2) | instskip(SKIP_2) | instid1(VALU_DEP_3)
	v_exp_f32_e32 v14, v14
	v_cvt_i32_f32_e32 v15, v16
	v_cvt_i32_f32_e32 v16, v18
	v_exp_f32_e32 v13, v13
	s_waitcnt_depctr 0xfff
	v_ldexp_f32 v14, v14, v16
	v_ldexp_f32 v13, v13, v15
	s_delay_alu instid0(VALU_DEP_1) | instskip(SKIP_1) | instid1(VALU_DEP_4)
	v_cndmask_b32_e32 v13, 0, v13, vcc_lo
	v_cmp_ngt_f32_e32 vcc_lo, 0xc2ce8ed0, v12
	v_cndmask_b32_e32 v14, 0, v14, vcc_lo
	v_cmp_nlt_f32_e32 vcc_lo, 0x42b17218, v11
	s_delay_alu instid0(VALU_DEP_4) | instskip(SKIP_1) | instid1(VALU_DEP_4)
	v_cndmask_b32_e32 v13, 0x7f800000, v13, vcc_lo
	v_cmp_nlt_f32_e32 vcc_lo, 0x42b17218, v12
	v_cndmask_b32_e32 v14, 0x7f800000, v14, vcc_lo
	v_cmp_le_f32_e32 vcc_lo, 0xc1a00000, v11
	s_delay_alu instid0(VALU_DEP_4) | instskip(SKIP_1) | instid1(VALU_DEP_4)
	v_cndmask_b32_e32 v11, 0, v13, vcc_lo
	v_cmp_le_f32_e32 vcc_lo, 0xc1a00000, v12
	v_cndmask_b32_e32 v12, 0, v14, vcc_lo
	s_waitcnt vmcnt(0)
	s_delay_alu instid0(VALU_DEP_3) | instskip(NEXT) | instid1(VALU_DEP_1)
	v_mul_f32_e32 v10, v10, v11
	v_dual_mul_f32 v11, s5, v11 :: v_dual_fmac_f32 v10, v3, v12
	s_delay_alu instid0(VALU_DEP_1)
	v_fmac_f32_e32 v11, v7, v12
	s_cbranch_execz .LBB7_18
	s_branch .LBB7_19
.LBB7_17:                               ;   in Loop: Header=BB7_9 Depth=1
                                        ; implicit-def: $sgpr13
                                        ; implicit-def: $vgpr10
                                        ; implicit-def: $vgpr9
                                        ; implicit-def: $vgpr11
                                        ; implicit-def: $sgpr1
                                        ; implicit-def: $sgpr15
.LBB7_18:                               ;   in Loop: Header=BB7_9 Depth=1
	v_mov_b32_e32 v11, v7
	s_waitcnt vmcnt(0)
	v_dual_mov_b32 v9, v8 :: v_dual_mov_b32 v10, v3
	s_add_i32 s1, s14, -1
	s_mov_b32 s13, 0
	s_mov_b32 s15, s16
.LBB7_19:                               ;   in Loop: Header=BB7_9 Depth=1
	s_and_not1_b32 vcc_lo, exec_lo, s13
	s_cbranch_vccz .LBB7_23
; %bb.20:                               ;   in Loop: Header=BB7_9 Depth=1
	v_dual_mov_b32 v7, v11 :: v_dual_mov_b32 v8, v9
	s_waitcnt vmcnt(0)
	v_mov_b32_e32 v3, v10
	s_mov_b32 s16, s15
	s_mov_b32 s14, s1
	s_branch .LBB7_9
.LBB7_21:
                                        ; implicit-def: $sgpr16_sgpr17
	s_load_b128 s[8:11], s[0:1], 0x44
	s_branch .LBB7_2
.LBB7_22:
                                        ; implicit-def: $sgpr18_sgpr19
	s_branch .LBB7_5
.LBB7_23:
	v_div_scale_f32 v0, null, v11, v11, v10
	s_waitcnt vmcnt(0)
	s_delay_alu instid0(VALU_DEP_1) | instskip(SKIP_2) | instid1(VALU_DEP_1)
	v_rcp_f32_e32 v3, v0
	s_waitcnt_depctr 0xfff
	v_fma_f32 v4, -v0, v3, 1.0
	v_fmac_f32_e32 v3, v4, v3
	v_div_scale_f32 v4, vcc_lo, v10, v11, v10
	s_delay_alu instid0(VALU_DEP_1) | instskip(NEXT) | instid1(VALU_DEP_1)
	v_mul_f32_e32 v5, v4, v3
	v_fma_f32 v6, -v0, v5, v4
	s_delay_alu instid0(VALU_DEP_1) | instskip(NEXT) | instid1(VALU_DEP_1)
	v_fmac_f32_e32 v5, v6, v3
	v_fma_f32 v0, -v0, v5, v4
	s_delay_alu instid0(VALU_DEP_1) | instskip(NEXT) | instid1(VALU_DEP_1)
	v_div_fmas_f32 v0, v0, v3, v5
	v_div_fixup_f32 v0, v0, v11, v10
	global_store_b32 v[1:2], v0, off
.LBB7_24:
	s_nop 0
	s_sendmsg sendmsg(MSG_DEALLOC_VGPRS)
	s_endpgm
	.section	.rodata,"a",@progbits
	.p2align	6, 0x0
	.amdhsa_kernel _ZL33flash_attn_stream_k_fixup_generalILi64ELi2ELi8EEvPfPK15HIP_vector_typeIfLj2EEiiiiS1_IjLj3EES5_S5_S5_
		.amdhsa_group_segment_fixed_size 0
		.amdhsa_private_segment_fixed_size 0
		.amdhsa_kernarg_size 336
		.amdhsa_user_sgpr_count 13
		.amdhsa_user_sgpr_dispatch_ptr 0
		.amdhsa_user_sgpr_queue_ptr 0
		.amdhsa_user_sgpr_kernarg_segment_ptr 1
		.amdhsa_user_sgpr_dispatch_id 0
		.amdhsa_user_sgpr_private_segment_size 0
		.amdhsa_wavefront_size32 1
		.amdhsa_uses_dynamic_stack 0
		.amdhsa_enable_private_segment 0
		.amdhsa_system_sgpr_workgroup_id_x 1
		.amdhsa_system_sgpr_workgroup_id_y 1
		.amdhsa_system_sgpr_workgroup_id_z 1
		.amdhsa_system_sgpr_workgroup_info 0
		.amdhsa_system_vgpr_workitem_id 0
		.amdhsa_next_free_vgpr 19
		.amdhsa_next_free_sgpr 32
		.amdhsa_reserve_vcc 1
		.amdhsa_float_round_mode_32 0
		.amdhsa_float_round_mode_16_64 0
		.amdhsa_float_denorm_mode_32 3
		.amdhsa_float_denorm_mode_16_64 3
		.amdhsa_dx10_clamp 1
		.amdhsa_ieee_mode 1
		.amdhsa_fp16_overflow 0
		.amdhsa_workgroup_processor_mode 1
		.amdhsa_memory_ordered 1
		.amdhsa_forward_progress 0
		.amdhsa_shared_vgpr_count 0
		.amdhsa_exception_fp_ieee_invalid_op 0
		.amdhsa_exception_fp_denorm_src 0
		.amdhsa_exception_fp_ieee_div_zero 0
		.amdhsa_exception_fp_ieee_overflow 0
		.amdhsa_exception_fp_ieee_underflow 0
		.amdhsa_exception_fp_ieee_inexact 0
		.amdhsa_exception_int_div_zero 0
	.end_amdhsa_kernel
	.section	.text._ZL33flash_attn_stream_k_fixup_generalILi64ELi2ELi8EEvPfPK15HIP_vector_typeIfLj2EEiiiiS1_IjLj3EES5_S5_S5_,"axG",@progbits,_ZL33flash_attn_stream_k_fixup_generalILi64ELi2ELi8EEvPfPK15HIP_vector_typeIfLj2EEiiiiS1_IjLj3EES5_S5_S5_,comdat
.Lfunc_end7:
	.size	_ZL33flash_attn_stream_k_fixup_generalILi64ELi2ELi8EEvPfPK15HIP_vector_typeIfLj2EEiiiiS1_IjLj3EES5_S5_S5_, .Lfunc_end7-_ZL33flash_attn_stream_k_fixup_generalILi64ELi2ELi8EEvPfPK15HIP_vector_typeIfLj2EEiiiiS1_IjLj3EES5_S5_S5_
                                        ; -- End function
	.section	.AMDGPU.csdata,"",@progbits
; Kernel info:
; codeLenInByte = 3224
; NumSgprs: 34
; NumVgprs: 19
; ScratchSize: 0
; MemoryBound: 0
; FloatMode: 240
; IeeeMode: 1
; LDSByteSize: 0 bytes/workgroup (compile time only)
; SGPRBlocks: 4
; VGPRBlocks: 2
; NumSGPRsForWavesPerEU: 34
; NumVGPRsForWavesPerEU: 19
; Occupancy: 16
; WaveLimiterHint : 0
; COMPUTE_PGM_RSRC2:SCRATCH_EN: 0
; COMPUTE_PGM_RSRC2:USER_SGPR: 13
; COMPUTE_PGM_RSRC2:TRAP_HANDLER: 0
; COMPUTE_PGM_RSRC2:TGID_X_EN: 1
; COMPUTE_PGM_RSRC2:TGID_Y_EN: 1
; COMPUTE_PGM_RSRC2:TGID_Z_EN: 1
; COMPUTE_PGM_RSRC2:TIDIG_COMP_CNT: 0
	.section	.text._ZL26flash_attn_combine_resultsILi64EEvPKfPK15HIP_vector_typeIfLj2EEPfi,"axG",@progbits,_ZL26flash_attn_combine_resultsILi64EEvPKfPK15HIP_vector_typeIfLj2EEPfi,comdat
	.globl	_ZL26flash_attn_combine_resultsILi64EEvPKfPK15HIP_vector_typeIfLj2EEPfi ; -- Begin function _ZL26flash_attn_combine_resultsILi64EEvPKfPK15HIP_vector_typeIfLj2EEPfi
	.p2align	8
	.type	_ZL26flash_attn_combine_resultsILi64EEvPKfPK15HIP_vector_typeIfLj2EEPfi,@function
_ZL26flash_attn_combine_resultsILi64EEvPKfPK15HIP_vector_typeIfLj2EEPfi: ; @_ZL26flash_attn_combine_resultsILi64EEvPKfPK15HIP_vector_typeIfLj2EEPfi
; %bb.0:
	s_clause 0x3
	s_load_b64 s[2:3], s[0:1], 0x20
	s_load_b32 s11, s[0:1], 0x18
	s_load_b128 s[4:7], s[0:1], 0x0
	s_load_b64 s[8:9], s[0:1], 0x10
	v_lshlrev_b32_e32 v5, 2, v0
	s_mov_b32 s12, exec_lo
	s_waitcnt lgkmcnt(0)
	s_mul_i32 s0, s2, s15
	s_lshl_b32 s1, s11, 1
	s_add_i32 s0, s0, s13
	s_delay_alu instid0(SALU_CYCLE_1) | instskip(NEXT) | instid1(SALU_CYCLE_1)
	s_mul_i32 s10, s0, s3
	s_add_i32 s10, s10, s14
	s_delay_alu instid0(SALU_CYCLE_1)
	s_mul_i32 s2, s10, s11
	v_cmpx_gt_i32_e64 s1, v0
	s_cbranch_execz .LBB8_3
; %bb.1:
	s_ashr_i32 s3, s2, 31
	v_dual_mov_b32 v4, v0 :: v_dual_add_nc_u32 v3, 0, v5
	s_lshl_b64 s[14:15], s[2:3], 3
	s_delay_alu instid0(SALU_CYCLE_1) | instskip(SKIP_2) | instid1(VALU_DEP_1)
	s_add_u32 s0, s6, s14
	s_addc_u32 s3, s7, s15
	v_add_co_u32 v1, s0, s0, v5
	v_add_co_ci_u32_e64 v2, null, s3, 0, s0
	s_mov_b32 s3, 0
.LBB8_2:                                ; =>This Inner Loop Header: Depth=1
	global_load_b32 v6, v[1:2], off
	v_add_nc_u32_e32 v4, 64, v4
	v_add_co_u32 v1, vcc_lo, 0x100, v1
	v_add_co_ci_u32_e32 v2, vcc_lo, 0, v2, vcc_lo
	s_delay_alu instid0(VALU_DEP_3) | instskip(NEXT) | instid1(VALU_DEP_1)
	v_cmp_le_i32_e64 s0, s1, v4
	s_or_b32 s3, s0, s3
	s_waitcnt vmcnt(0)
	ds_store_b32 v3, v6
	v_add_nc_u32_e32 v3, 0x100, v3
	s_and_not1_b32 exec_lo, exec_lo, s3
	s_cbranch_execnz .LBB8_2
.LBB8_3:
	s_or_b32 exec_lo, exec_lo, s12
	v_mov_b32_e32 v1, 0
	s_waitcnt lgkmcnt(0)
	s_barrier
	buffer_gl0_inv
	s_cmp_lt_i32 s11, 2
	ds_load_b32 v6, v1
	s_cbranch_scc1 .LBB8_11
; %bb.4:
	s_add_i32 s1, s11, -2
	s_add_i32 s0, s11, -1
	s_cmp_lt_u32 s1, 7
	s_cbranch_scc1 .LBB8_8
; %bb.5:
	s_mov_b32 s3, 0
	s_add_i32 s1, 0, 8
	s_and_b32 s6, s0, -8
	.p2align	6
.LBB8_6:                                ; =>This Inner Loop Header: Depth=1
	v_mov_b32_e32 v9, s1
	s_mov_b32 s7, s3
	s_add_i32 s3, s3, 8
	s_add_i32 s1, s1, 64
	s_cmp_eq_u32 s6, s3
	ds_load_2addr_b32 v[1:2], v9 offset1:2
	ds_load_2addr_b32 v[3:4], v9 offset0:4 offset1:6
	ds_load_2addr_b32 v[7:8], v9 offset0:8 offset1:10
	;; [unrolled: 1-line block ×3, first 2 shown]
	s_waitcnt lgkmcnt(3)
	v_max3_f32 v1, v6, v1, v2
	s_waitcnt lgkmcnt(2)
	s_delay_alu instid0(VALU_DEP_1) | instskip(SKIP_1) | instid1(VALU_DEP_1)
	v_max3_f32 v1, v1, v3, v4
	s_waitcnt lgkmcnt(1)
	v_max3_f32 v1, v1, v7, v8
	s_waitcnt lgkmcnt(0)
	s_delay_alu instid0(VALU_DEP_1)
	v_max3_f32 v6, v1, v9, v10
	s_cbranch_scc0 .LBB8_6
; %bb.7:
	s_add_i32 s1, s7, 9
	s_and_b32 s0, s0, 7
	s_delay_alu instid0(SALU_CYCLE_1)
	s_cmp_eq_u32 s0, 0
	s_cbranch_scc0 .LBB8_9
	s_branch .LBB8_11
.LBB8_8:
	s_mov_b32 s1, 1
	s_and_b32 s0, s0, 7
	s_delay_alu instid0(SALU_CYCLE_1)
	s_cmp_eq_u32 s0, 0
	s_cbranch_scc1 .LBB8_11
.LBB8_9:
	s_lshl_b32 s1, s1, 3
	s_delay_alu instid0(SALU_CYCLE_1)
	s_add_i32 s1, s1, 0
.LBB8_10:                               ; =>This Inner Loop Header: Depth=1
	s_waitcnt lgkmcnt(0)
	s_delay_alu instid0(VALU_DEP_1)
	v_dual_mov_b32 v1, s1 :: v_dual_max_f32 v2, v6, v6
	s_add_i32 s0, s0, -1
	s_add_i32 s1, s1, 8
	s_cmp_lg_u32 s0, 0
	ds_load_b32 v1, v1
	s_waitcnt lgkmcnt(0)
	v_max_f32_e32 v1, v1, v1
	s_delay_alu instid0(VALU_DEP_1)
	v_max_f32_e32 v6, v2, v1
	s_cbranch_scc1 .LBB8_10
.LBB8_11:
	s_cmp_lt_i32 s11, 1
	s_cbranch_scc1 .LBB8_16
; %bb.12:
	s_lshl_b32 s0, s2, 6
	v_mov_b32_e32 v7, 0
	s_ashr_i32 s1, s0, 31
	s_mov_b32 s13, 0
	s_lshl_b64 s[0:1], s[0:1], 2
	s_delay_alu instid0(SALU_CYCLE_1)
	s_add_u32 s6, s4, s0
	s_addc_u32 s7, s5, s1
	s_cmp_lt_u32 s11, 8
	s_cbranch_scc1 .LBB8_17
; %bb.13:
	v_or_b32_e32 v1, 0x1c0, v0
	v_dual_mov_b32 v4, 0 :: v_dual_mov_b32 v7, 0
	v_mov_b32_e32 v8, 0
	s_and_b32 s12, s11, 0x7ffffff8
	s_mov_b32 s14, 0
.LBB8_14:                               ; =>This Inner Loop Header: Depth=1
	s_delay_alu instid0(VALU_DEP_2) | instskip(SKIP_3) | instid1(VALU_DEP_2)
	v_dual_mov_b32 v2, v4 :: v_dual_add_nc_u32 v3, 0xfffffe40, v1
	v_mov_b32_e32 v21, s13
	s_add_i32 s14, s14, 8
	s_add_i32 s13, s13, 64
	v_lshlrev_b64 v[9:10], 2, v[3:4]
	v_add_nc_u32_e32 v3, 0xfffffe80, v1
	v_lshlrev_b64 v[11:12], 2, v[1:2]
	s_cmp_eq_u32 s12, s14
	s_delay_alu instid0(VALU_DEP_2) | instskip(NEXT) | instid1(VALU_DEP_4)
	v_lshlrev_b64 v[13:14], 2, v[3:4]
	v_add_co_u32 v9, vcc_lo, s6, v9
	v_add_co_ci_u32_e32 v10, vcc_lo, s7, v10, vcc_lo
	v_add_nc_u32_e32 v3, 0xfffffec0, v1
	s_delay_alu instid0(VALU_DEP_4)
	v_add_co_u32 v13, vcc_lo, s6, v13
	global_load_b32 v25, v[9:10], off
	v_add_co_ci_u32_e32 v14, vcc_lo, s7, v14, vcc_lo
	v_lshlrev_b64 v[15:16], 2, v[3:4]
	v_add_nc_u32_e32 v3, 0xffffff00, v1
	global_load_b32 v26, v[13:14], off
	v_lshlrev_b64 v[9:10], 2, v[3:4]
	v_add_nc_u32_e32 v3, 0xffffff40, v1
	v_add_co_u32 v13, vcc_lo, s6, v15
	v_add_co_ci_u32_e32 v14, vcc_lo, s7, v16, vcc_lo
	s_delay_alu instid0(VALU_DEP_4) | instskip(NEXT) | instid1(VALU_DEP_4)
	v_add_co_u32 v9, vcc_lo, s6, v9
	v_lshlrev_b64 v[15:16], 2, v[3:4]
	v_add_nc_u32_e32 v3, 0xffffff80, v1
	v_add_co_ci_u32_e32 v10, vcc_lo, s7, v10, vcc_lo
	s_clause 0x1
	global_load_b32 v27, v[13:14], off
	global_load_b32 v28, v[9:10], off
	v_lshlrev_b64 v[13:14], 2, v[3:4]
	v_subrev_nc_u32_e32 v3, 64, v1
	v_add_co_u32 v9, vcc_lo, s6, v15
	v_add_co_ci_u32_e32 v10, vcc_lo, s7, v16, vcc_lo
	s_delay_alu instid0(VALU_DEP_4) | instskip(NEXT) | instid1(VALU_DEP_4)
	v_add_co_u32 v13, vcc_lo, s6, v13
	v_lshlrev_b64 v[2:3], 2, v[3:4]
	v_add_co_ci_u32_e32 v14, vcc_lo, s7, v14, vcc_lo
	s_clause 0x1
	global_load_b32 v29, v[9:10], off
	global_load_b32 v30, v[13:14], off
	v_add_co_u32 v2, vcc_lo, s6, v2
	v_add_co_ci_u32_e32 v3, vcc_lo, s7, v3, vcc_lo
	v_add_co_u32 v9, vcc_lo, s6, v11
	v_add_co_ci_u32_e32 v10, vcc_lo, s7, v12, vcc_lo
	s_clause 0x1
	global_load_b32 v2, v[2:3], off
	global_load_b32 v3, v[9:10], off
	ds_load_2addr_b64 v[9:12], v21 offset1:1
	ds_load_2addr_b64 v[13:16], v21 offset0:2 offset1:3
	ds_load_2addr_b64 v[17:20], v21 offset0:4 offset1:5
	;; [unrolled: 1-line block ×3, first 2 shown]
	v_add_nc_u32_e32 v1, 0x200, v1
	s_waitcnt lgkmcnt(1)
	v_sub_f32_e32 v19, v19, v6
	v_sub_f32_e32 v11, v11, v6
	s_waitcnt lgkmcnt(0)
	v_sub_f32_e32 v23, v23, v6
	s_delay_alu instid0(VALU_DEP_3) | instskip(NEXT) | instid1(VALU_DEP_3)
	v_dual_sub_f32 v13, v13, v6 :: v_dual_mul_f32 v36, 0x3fb8aa3b, v19
	v_mul_f32_e32 v32, 0x3fb8aa3b, v11
	s_delay_alu instid0(VALU_DEP_2) | instskip(SKIP_1) | instid1(VALU_DEP_4)
	v_dual_mul_f32 v38, 0x3fb8aa3b, v23 :: v_dual_mul_f32 v33, 0x3fb8aa3b, v13
	v_cmp_ngt_f32_e32 vcc_lo, 0xc2ce8ed0, v13
	v_fma_f32 v49, 0x3fb8aa3b, v19, -v36
	s_delay_alu instid0(VALU_DEP_4) | instskip(SKIP_4) | instid1(VALU_DEP_4)
	v_fma_f32 v41, 0x3fb8aa3b, v11, -v32
	v_rndne_f32_e32 v42, v32
	v_fma_f32 v43, 0x3fb8aa3b, v13, -v33
	v_rndne_f32_e32 v44, v33
	v_rndne_f32_e32 v54, v38
	v_dual_fmac_f32 v41, 0x32a5705f, v11 :: v_dual_sub_f32 v32, v32, v42
	v_sub_f32_e32 v15, v15, v6
	v_fmac_f32_e32 v43, 0x32a5705f, v13
	v_sub_f32_e32 v33, v33, v44
	v_cvt_i32_f32_e32 v42, v42
	v_dual_add_f32 v32, v32, v41 :: v_dual_sub_f32 v9, v9, v6
	v_mul_f32_e32 v34, 0x3fb8aa3b, v15
	s_delay_alu instid0(VALU_DEP_4) | instskip(SKIP_1) | instid1(VALU_DEP_4)
	v_add_f32_e32 v33, v33, v43
	v_cvt_i32_f32_e32 v44, v44
	v_exp_f32_e32 v32, v32
	v_mul_f32_e32 v31, 0x3fb8aa3b, v9
	v_fma_f32 v45, 0x3fb8aa3b, v15, -v34
	v_rndne_f32_e32 v46, v34
	v_exp_f32_e32 v33, v33
	v_cmp_ngt_f32_e64 s5, 0xc2ce8ed0, v9
	v_fma_f32 v39, 0x3fb8aa3b, v9, -v31
	v_rndne_f32_e32 v40, v31
	v_dual_fmac_f32 v45, 0x32a5705f, v15 :: v_dual_sub_f32 v34, v34, v46
	v_sub_f32_e32 v17, v17, v6
	s_delay_alu instid0(VALU_DEP_4) | instskip(NEXT) | instid1(VALU_DEP_4)
	v_fmac_f32_e32 v39, 0x32a5705f, v9
	v_sub_f32_e32 v31, v31, v40
	v_cvt_i32_f32_e32 v40, v40
	v_add_f32_e32 v34, v34, v45
	v_ldexp_f32 v32, v32, v42
	v_ldexp_f32 v33, v33, v44
	v_add_f32_e32 v31, v31, v39
	v_cvt_i32_f32_e32 v46, v46
	v_exp_f32_e32 v34, v34
	v_cmp_ngt_f32_e64 s0, 0xc2ce8ed0, v15
	v_cmp_ngt_f32_e64 s1, 0xc2ce8ed0, v17
	v_exp_f32_e32 v31, v31
	v_rndne_f32_e32 v50, v36
	s_delay_alu instid0(VALU_DEP_1)
	v_dual_fmac_f32 v49, 0x32a5705f, v19 :: v_dual_sub_f32 v36, v36, v50
	s_waitcnt_depctr 0xfff
	v_ldexp_f32 v34, v34, v46
	v_cvt_i32_f32_e32 v50, v50
	v_ldexp_f32 v31, v31, v40
	v_add_f32_e32 v36, v36, v49
	v_cmp_ngt_f32_e64 s2, 0xc2ce8ed0, v19
	s_delay_alu instid0(VALU_DEP_3) | instskip(SKIP_1) | instid1(VALU_DEP_4)
	v_cndmask_b32_e64 v31, 0, v31, s5
	v_cmp_ngt_f32_e64 s5, 0xc2ce8ed0, v11
	v_exp_f32_e32 v36, v36
	s_delay_alu instid0(VALU_DEP_1) | instskip(SKIP_1) | instid1(VALU_DEP_1)
	v_cndmask_b32_e64 v32, 0, v32, s5
	v_cmp_nlt_f32_e64 s5, 0x42b17218, v9
	v_cndmask_b32_e64 v9, 0x7f800000, v31, s5
	v_cndmask_b32_e32 v31, 0, v33, vcc_lo
	v_cmp_nlt_f32_e32 vcc_lo, 0x42b17218, v11
	s_waitcnt_depctr 0xfff
	v_ldexp_f32 v36, v36, v50
	v_dual_fmac_f32 v8, v9, v10 :: v_dual_cndmask_b32 v11, 0x7f800000, v32
	v_cmp_nlt_f32_e32 vcc_lo, 0x42b17218, v13
	s_delay_alu instid0(VALU_DEP_2)
	v_fmac_f32_e32 v8, v11, v12
	v_cndmask_b32_e32 v10, 0x7f800000, v31, vcc_lo
	v_cmp_nlt_f32_e32 vcc_lo, 0x42b17218, v15
	v_fma_f32 v53, 0x3fb8aa3b, v23, -v38
	v_sub_f32_e32 v38, v38, v54
	v_cvt_i32_f32_e32 v54, v54
	v_fmac_f32_e32 v8, v10, v14
	v_cmp_ngt_f32_e64 s4, 0xc2ce8ed0, v23
	v_fmac_f32_e32 v53, 0x32a5705f, v23
	s_delay_alu instid0(VALU_DEP_1) | instskip(NEXT) | instid1(VALU_DEP_1)
	v_dual_sub_f32 v21, v21, v6 :: v_dual_add_f32 v38, v38, v53
	v_cmp_ngt_f32_e64 s3, 0xc2ce8ed0, v21
	s_delay_alu instid0(VALU_DEP_2)
	v_exp_f32_e32 v38, v38
	s_waitcnt_depctr 0xfff
	v_ldexp_f32 v38, v38, v54
	s_waitcnt vmcnt(7)
	v_fmac_f32_e32 v7, v25, v9
	v_cndmask_b32_e64 v9, 0, v34, s0
	s_delay_alu instid0(VALU_DEP_1)
	v_cndmask_b32_e32 v9, 0x7f800000, v9, vcc_lo
	v_mul_f32_e32 v35, 0x3fb8aa3b, v17
	s_waitcnt vmcnt(6)
	v_fmac_f32_e32 v7, v26, v11
	v_cmp_nlt_f32_e32 vcc_lo, 0x42b17218, v17
	v_fmac_f32_e32 v8, v9, v16
	v_fma_f32 v47, 0x3fb8aa3b, v17, -v35
	v_rndne_f32_e32 v48, v35
	s_delay_alu instid0(VALU_DEP_2) | instskip(NEXT) | instid1(VALU_DEP_2)
	v_fmac_f32_e32 v47, 0x32a5705f, v17
	v_sub_f32_e32 v35, v35, v48
	v_cvt_i32_f32_e32 v48, v48
	s_waitcnt vmcnt(5)
	v_fmac_f32_e32 v7, v27, v10
	v_cndmask_b32_e64 v10, 0, v36, s2
	v_add_f32_e32 v35, v35, v47
	s_waitcnt vmcnt(4)
	s_delay_alu instid0(VALU_DEP_3) | instskip(NEXT) | instid1(VALU_DEP_2)
	v_fmac_f32_e32 v7, v28, v9
	v_exp_f32_e32 v35, v35
	s_waitcnt_depctr 0xfff
	v_ldexp_f32 v35, v35, v48
	s_delay_alu instid0(VALU_DEP_1) | instskip(NEXT) | instid1(VALU_DEP_1)
	v_cndmask_b32_e64 v11, 0, v35, s1
	v_cndmask_b32_e32 v11, 0x7f800000, v11, vcc_lo
	v_mul_f32_e32 v37, 0x3fb8aa3b, v21
	v_cmp_nlt_f32_e32 vcc_lo, 0x42b17218, v19
	s_delay_alu instid0(VALU_DEP_3) | instskip(NEXT) | instid1(VALU_DEP_3)
	v_fmac_f32_e32 v8, v11, v18
	v_fma_f32 v51, 0x3fb8aa3b, v21, -v37
	v_rndne_f32_e32 v52, v37
	s_waitcnt vmcnt(3)
	v_dual_cndmask_b32 v10, 0x7f800000, v10 :: v_dual_fmac_f32 v7, v29, v11
	v_cmp_nlt_f32_e32 vcc_lo, 0x42b17218, v21
	v_fmac_f32_e32 v51, 0x32a5705f, v21
	v_sub_f32_e32 v37, v37, v52
	v_cvt_i32_f32_e32 v52, v52
	v_cndmask_b32_e64 v11, 0, v38, s4
	v_fmac_f32_e32 v8, v10, v20
	s_waitcnt vmcnt(2)
	v_fmac_f32_e32 v7, v30, v10
	v_add_f32_e32 v37, v37, v51
	s_delay_alu instid0(VALU_DEP_1) | instskip(SKIP_2) | instid1(VALU_DEP_1)
	v_exp_f32_e32 v37, v37
	s_waitcnt_depctr 0xfff
	v_ldexp_f32 v37, v37, v52
	v_cndmask_b32_e64 v9, 0, v37, s3
	s_delay_alu instid0(VALU_DEP_1) | instskip(SKIP_1) | instid1(VALU_DEP_2)
	v_cndmask_b32_e32 v9, 0x7f800000, v9, vcc_lo
	v_cmp_nlt_f32_e32 vcc_lo, 0x42b17218, v23
	v_fmac_f32_e32 v8, v9, v22
	s_waitcnt vmcnt(1)
	v_dual_cndmask_b32 v10, 0x7f800000, v11 :: v_dual_fmac_f32 v7, v2, v9
	s_waitcnt vmcnt(0)
	s_delay_alu instid0(VALU_DEP_1)
	v_dual_fmac_f32 v8, v10, v24 :: v_dual_fmac_f32 v7, v3, v10
	s_cbranch_scc0 .LBB8_14
; %bb.15:
	s_and_b32 s0, s11, 7
	s_delay_alu instid0(SALU_CYCLE_1)
	s_cmp_eq_u32 s0, 0
	s_cbranch_scc0 .LBB8_18
	s_branch .LBB8_20
.LBB8_16:
	v_mov_b32_e32 v0, 0x7fc00000
	s_branch .LBB8_21
.LBB8_17:
	v_mov_b32_e32 v8, 0
	s_mov_b32 s12, 0
	s_and_b32 s0, s11, 7
	s_delay_alu instid0(SALU_CYCLE_1)
	s_cmp_eq_u32 s0, 0
	s_cbranch_scc1 .LBB8_20
.LBB8_18:
	v_lshl_or_b32 v0, s12, 6, v0
	v_mov_b32_e32 v1, 0
	s_lshl_b32 s1, s12, 3
	s_delay_alu instid0(SALU_CYCLE_1)
	s_add_i32 s1, s1, 0
	s_set_inst_prefetch_distance 0x1
	.p2align	6
.LBB8_19:                               ; =>This Inner Loop Header: Depth=1
	s_delay_alu instid0(VALU_DEP_1) | instskip(SKIP_2) | instid1(VALU_DEP_2)
	v_lshlrev_b64 v[2:3], 2, v[0:1]
	s_add_i32 s0, s0, -1
	v_add_nc_u32_e32 v0, 64, v0
	v_add_co_u32 v2, vcc_lo, s6, v2
	s_delay_alu instid0(VALU_DEP_3)
	v_add_co_ci_u32_e32 v3, vcc_lo, s7, v3, vcc_lo
	global_load_b32 v4, v[2:3], off
	v_mov_b32_e32 v2, s1
	s_add_i32 s1, s1, 8
	s_cmp_lg_u32 s0, 0
	ds_load_b64 v[2:3], v2
	s_waitcnt lgkmcnt(0)
	v_sub_f32_e32 v2, v2, v6
	s_delay_alu instid0(VALU_DEP_1) | instskip(SKIP_1) | instid1(VALU_DEP_2)
	v_mul_f32_e32 v9, 0x3fb8aa3b, v2
	v_cmp_ngt_f32_e32 vcc_lo, 0xc2ce8ed0, v2
	v_fma_f32 v10, 0x3fb8aa3b, v2, -v9
	v_rndne_f32_e32 v11, v9
	s_delay_alu instid0(VALU_DEP_1) | instskip(NEXT) | instid1(VALU_DEP_1)
	v_dual_fmac_f32 v10, 0x32a5705f, v2 :: v_dual_sub_f32 v9, v9, v11
	v_add_f32_e32 v9, v9, v10
	v_cvt_i32_f32_e32 v10, v11
	s_delay_alu instid0(VALU_DEP_2) | instskip(SKIP_2) | instid1(VALU_DEP_1)
	v_exp_f32_e32 v9, v9
	s_waitcnt_depctr 0xfff
	v_ldexp_f32 v9, v9, v10
	v_cndmask_b32_e32 v9, 0, v9, vcc_lo
	v_cmp_nlt_f32_e32 vcc_lo, 0x42b17218, v2
	s_delay_alu instid0(VALU_DEP_2) | instskip(SKIP_1) | instid1(VALU_DEP_1)
	v_cndmask_b32_e32 v2, 0x7f800000, v9, vcc_lo
	s_waitcnt vmcnt(0)
	v_dual_fmac_f32 v8, v2, v3 :: v_dual_fmac_f32 v7, v4, v2
	s_cbranch_scc1 .LBB8_19
.LBB8_20:
	s_set_inst_prefetch_distance 0x2
	s_delay_alu instid0(VALU_DEP_1) | instskip(NEXT) | instid1(VALU_DEP_1)
	v_div_scale_f32 v0, null, v8, v8, v7
	v_rcp_f32_e32 v1, v0
	s_waitcnt_depctr 0xfff
	v_fma_f32 v2, -v0, v1, 1.0
	s_delay_alu instid0(VALU_DEP_1) | instskip(SKIP_1) | instid1(VALU_DEP_1)
	v_fmac_f32_e32 v1, v2, v1
	v_div_scale_f32 v2, vcc_lo, v7, v8, v7
	v_mul_f32_e32 v3, v2, v1
	s_delay_alu instid0(VALU_DEP_1) | instskip(NEXT) | instid1(VALU_DEP_1)
	v_fma_f32 v4, -v0, v3, v2
	v_fmac_f32_e32 v3, v4, v1
	s_delay_alu instid0(VALU_DEP_1) | instskip(NEXT) | instid1(VALU_DEP_1)
	v_fma_f32 v0, -v0, v3, v2
	v_div_fmas_f32 v0, v0, v1, v3
	s_delay_alu instid0(VALU_DEP_1)
	v_div_fixup_f32 v0, v0, v8, v7
.LBB8_21:
	s_lshl_b32 s0, s10, 6
	s_delay_alu instid0(SALU_CYCLE_1) | instskip(NEXT) | instid1(SALU_CYCLE_1)
	s_ashr_i32 s1, s0, 31
	s_lshl_b64 s[0:1], s[0:1], 2
	s_delay_alu instid0(SALU_CYCLE_1)
	s_add_u32 s0, s8, s0
	s_addc_u32 s1, s9, s1
	global_store_b32 v5, v0, s[0:1]
	s_nop 0
	s_sendmsg sendmsg(MSG_DEALLOC_VGPRS)
	s_endpgm
	.section	.rodata,"a",@progbits
	.p2align	6, 0x0
	.amdhsa_kernel _ZL26flash_attn_combine_resultsILi64EEvPKfPK15HIP_vector_typeIfLj2EEPfi
		.amdhsa_group_segment_fixed_size 0
		.amdhsa_private_segment_fixed_size 0
		.amdhsa_kernarg_size 288
		.amdhsa_user_sgpr_count 13
		.amdhsa_user_sgpr_dispatch_ptr 0
		.amdhsa_user_sgpr_queue_ptr 0
		.amdhsa_user_sgpr_kernarg_segment_ptr 1
		.amdhsa_user_sgpr_dispatch_id 0
		.amdhsa_user_sgpr_private_segment_size 0
		.amdhsa_wavefront_size32 1
		.amdhsa_uses_dynamic_stack 0
		.amdhsa_enable_private_segment 0
		.amdhsa_system_sgpr_workgroup_id_x 1
		.amdhsa_system_sgpr_workgroup_id_y 1
		.amdhsa_system_sgpr_workgroup_id_z 1
		.amdhsa_system_sgpr_workgroup_info 0
		.amdhsa_system_vgpr_workitem_id 0
		.amdhsa_next_free_vgpr 55
		.amdhsa_next_free_sgpr 16
		.amdhsa_reserve_vcc 1
		.amdhsa_float_round_mode_32 0
		.amdhsa_float_round_mode_16_64 0
		.amdhsa_float_denorm_mode_32 3
		.amdhsa_float_denorm_mode_16_64 3
		.amdhsa_dx10_clamp 1
		.amdhsa_ieee_mode 1
		.amdhsa_fp16_overflow 0
		.amdhsa_workgroup_processor_mode 1
		.amdhsa_memory_ordered 1
		.amdhsa_forward_progress 0
		.amdhsa_shared_vgpr_count 0
		.amdhsa_exception_fp_ieee_invalid_op 0
		.amdhsa_exception_fp_denorm_src 0
		.amdhsa_exception_fp_ieee_div_zero 0
		.amdhsa_exception_fp_ieee_overflow 0
		.amdhsa_exception_fp_ieee_underflow 0
		.amdhsa_exception_fp_ieee_inexact 0
		.amdhsa_exception_int_div_zero 0
	.end_amdhsa_kernel
	.section	.text._ZL26flash_attn_combine_resultsILi64EEvPKfPK15HIP_vector_typeIfLj2EEPfi,"axG",@progbits,_ZL26flash_attn_combine_resultsILi64EEvPKfPK15HIP_vector_typeIfLj2EEPfi,comdat
.Lfunc_end8:
	.size	_ZL26flash_attn_combine_resultsILi64EEvPKfPK15HIP_vector_typeIfLj2EEPfi, .Lfunc_end8-_ZL26flash_attn_combine_resultsILi64EEvPKfPK15HIP_vector_typeIfLj2EEPfi
                                        ; -- End function
	.section	.AMDGPU.csdata,"",@progbits
; Kernel info:
; codeLenInByte = 2344
; NumSgprs: 18
; NumVgprs: 55
; ScratchSize: 0
; MemoryBound: 0
; FloatMode: 240
; IeeeMode: 1
; LDSByteSize: 0 bytes/workgroup (compile time only)
; SGPRBlocks: 2
; VGPRBlocks: 6
; NumSGPRsForWavesPerEU: 18
; NumVGPRsForWavesPerEU: 55
; Occupancy: 16
; WaveLimiterHint : 0
; COMPUTE_PGM_RSRC2:SCRATCH_EN: 0
; COMPUTE_PGM_RSRC2:USER_SGPR: 13
; COMPUTE_PGM_RSRC2:TRAP_HANDLER: 0
; COMPUTE_PGM_RSRC2:TGID_X_EN: 1
; COMPUTE_PGM_RSRC2:TGID_Y_EN: 1
; COMPUTE_PGM_RSRC2:TGID_Z_EN: 1
; COMPUTE_PGM_RSRC2:TIDIG_COMP_CNT: 0
	.section	.text._ZL18flash_attn_ext_f16ILi80ELi80ELi2ELi8ELb0ELb0EEvPKcS1_S1_S1_S1_PKiPfP15HIP_vector_typeIfLj2EEffffjfiS5_IjLj3EEiiiiiiiiiiiliiliiiiil,"axG",@progbits,_ZL18flash_attn_ext_f16ILi80ELi80ELi2ELi8ELb0ELb0EEvPKcS1_S1_S1_S1_PKiPfP15HIP_vector_typeIfLj2EEffffjfiS5_IjLj3EEiiiiiiiiiiiliiliiiiil,comdat
	.globl	_ZL18flash_attn_ext_f16ILi80ELi80ELi2ELi8ELb0ELb0EEvPKcS1_S1_S1_S1_PKiPfP15HIP_vector_typeIfLj2EEffffjfiS5_IjLj3EEiiiiiiiiiiiliiliiiiil ; -- Begin function _ZL18flash_attn_ext_f16ILi80ELi80ELi2ELi8ELb0ELb0EEvPKcS1_S1_S1_S1_PKiPfP15HIP_vector_typeIfLj2EEffffjfiS5_IjLj3EEiiiiiiiiiiiliiliiiiil
	.p2align	8
	.type	_ZL18flash_attn_ext_f16ILi80ELi80ELi2ELi8ELb0ELb0EEvPKcS1_S1_S1_S1_PKiPfP15HIP_vector_typeIfLj2EEffffjfiS5_IjLj3EEiiiiiiiiiiiliiliiiiil,@function
_ZL18flash_attn_ext_f16ILi80ELi80ELi2ELi8ELb0ELb0EEvPKcS1_S1_S1_S1_PKiPfP15HIP_vector_typeIfLj2EEffffjfiS5_IjLj3EEiiiiiiiiiiiliiliiiiil: ; @_ZL18flash_attn_ext_f16ILi80ELi80ELi2ELi8ELb0ELb0EEvPKcS1_S1_S1_S1_PKiPfP15HIP_vector_typeIfLj2EEffffjfiS5_IjLj3EEiiiiiiiiiiiliiliiiiil
; %bb.0:
	s_clause 0x2
	s_load_b64 s[2:3], s[0:1], 0x80
	s_load_b128 s[8:11], s[0:1], 0x64
	s_load_b32 s14, s[0:1], 0xd0
	s_waitcnt lgkmcnt(0)
	s_abs_i32 s4, s3
	s_abs_i32 s7, s9
	v_cvt_f32_u32_e32 v1, s4
	s_sub_i32 s6, 0, s4
	v_cvt_f32_u32_e32 v3, s14
	s_delay_alu instid0(VALU_DEP_2) | instskip(SKIP_2) | instid1(VALU_DEP_1)
	v_rcp_iflag_f32_e32 v1, v1
	s_waitcnt_depctr 0xfff
	v_mul_f32_e32 v1, 0x4f7ffffe, v1
	v_cvt_u32_f32_e32 v1, v1
	s_delay_alu instid0(VALU_DEP_1) | instskip(SKIP_1) | instid1(VALU_DEP_2)
	v_readfirstlane_b32 s5, v1
	v_cvt_f32_ubyte0_e32 v1, 0
	s_mul_i32 s6, s6, s5
	s_delay_alu instid0(SALU_CYCLE_1) | instskip(NEXT) | instid1(SALU_CYCLE_1)
	s_mul_hi_u32 s6, s5, s6
	s_add_i32 s5, s5, s6
	s_xor_b32 s6, s9, s3
	s_mul_hi_u32 s5, s7, s5
	s_ashr_i32 s6, s6, 31
	s_mul_i32 s12, s5, s4
	s_delay_alu instid0(SALU_CYCLE_1)
	s_sub_i32 s7, s7, s12
	s_add_i32 s12, s5, 1
	s_sub_i32 s13, s7, s4
	s_cmp_ge_u32 s7, s4
	s_cselect_b32 s5, s12, s5
	s_cselect_b32 s7, s13, s7
	s_add_i32 s12, s5, 1
	s_cmp_ge_u32 s7, s4
	s_cselect_b32 s4, s12, s5
	s_add_i32 s2, s2, 31
	s_xor_b32 s4, s4, s6
	s_add_i32 s5, s8, 1
	s_sub_i32 s33, s4, s6
	s_ashr_i32 s7, s2, 31
	s_add_i32 s4, s33, 7
	s_lshr_b32 s68, s5, 1
	s_lshr_b32 s5, s7, 27
	s_ashr_i32 s6, s4, 31
	s_add_i32 s2, s2, s5
	s_lshr_b32 s5, s6, 29
	s_ashr_i32 s72, s2, 5
	s_add_i32 s4, s4, s5
	s_mul_i32 s69, s68, s72
	s_ashr_i32 s2, s4, 3
	s_delay_alu instid0(SALU_CYCLE_1) | instskip(SKIP_2) | instid1(SALU_CYCLE_1)
	s_mul_i32 s70, s69, s2
	s_mov_b32 s2, 0
	s_mul_i32 s71, s70, s3
	s_mul_i32 s4, s71, s10
	s_delay_alu instid0(SALU_CYCLE_1) | instskip(SKIP_2) | instid1(SALU_CYCLE_1)
	s_ashr_i32 s5, s4, 31
	s_mul_hi_u32 s3, s4, s15
	s_mul_i32 s6, s5, s15
	s_add_i32 s3, s3, s6
	s_mul_i32 s6, s4, s15
	s_cmp_lg_u64 s[2:3], 0
	s_cbranch_scc0 .LBB9_369
; %bb.1:
	v_fmamk_f32 v2, v1, 0x4f800000, v3
	s_sub_u32 s12, 0, s14
	s_subb_u32 s13, 0, 0
	s_delay_alu instid0(VALU_DEP_1) | instskip(SKIP_2) | instid1(VALU_DEP_1)
	v_rcp_f32_e32 v2, v2
	s_waitcnt_depctr 0xfff
	v_mul_f32_e32 v2, 0x5f7ffffc, v2
	v_mul_f32_e32 v4, 0x2f800000, v2
	s_delay_alu instid0(VALU_DEP_1) | instskip(NEXT) | instid1(VALU_DEP_1)
	v_trunc_f32_e32 v4, v4
	v_fmamk_f32 v2, v4, 0xcf800000, v2
	v_cvt_u32_f32_e32 v4, v4
	s_delay_alu instid0(VALU_DEP_2) | instskip(NEXT) | instid1(VALU_DEP_2)
	v_cvt_u32_f32_e32 v2, v2
	v_readfirstlane_b32 s7, v4
	s_delay_alu instid0(VALU_DEP_2) | instskip(NEXT) | instid1(VALU_DEP_2)
	v_readfirstlane_b32 s10, v2
	s_mul_i32 s16, s12, s7
	s_delay_alu instid0(VALU_DEP_1)
	s_mul_hi_u32 s18, s12, s10
	s_mul_i32 s17, s13, s10
	s_add_i32 s16, s18, s16
	s_mul_i32 s19, s12, s10
	s_add_i32 s16, s16, s17
	s_mul_hi_u32 s18, s10, s19
	s_mul_hi_u32 s20, s7, s19
	s_mul_i32 s17, s7, s19
	s_mul_hi_u32 s19, s10, s16
	s_mul_i32 s10, s10, s16
	s_mul_hi_u32 s21, s7, s16
	s_add_u32 s10, s18, s10
	s_addc_u32 s18, 0, s19
	s_add_u32 s10, s10, s17
	s_mul_i32 s16, s7, s16
	s_addc_u32 s10, s18, s20
	s_addc_u32 s17, s21, 0
	s_add_u32 s10, s10, s16
	s_addc_u32 s16, 0, s17
	v_add_co_u32 v2, s10, v2, s10
	s_delay_alu instid0(VALU_DEP_1) | instskip(SKIP_1) | instid1(VALU_DEP_1)
	s_cmp_lg_u32 s10, 0
	s_addc_u32 s7, s7, s16
	v_readfirstlane_b32 s10, v2
	s_mul_i32 s16, s12, s7
	s_delay_alu instid0(VALU_DEP_1)
	s_mul_hi_u32 s17, s12, s10
	s_mul_i32 s13, s13, s10
	s_add_i32 s16, s17, s16
	s_mul_i32 s12, s12, s10
	s_add_i32 s16, s16, s13
	s_mul_hi_u32 s17, s7, s12
	s_mul_i32 s18, s7, s12
	s_mul_hi_u32 s12, s10, s12
	s_mul_hi_u32 s19, s10, s16
	s_mul_i32 s10, s10, s16
	s_mul_hi_u32 s13, s7, s16
	s_add_u32 s10, s12, s10
	s_addc_u32 s12, 0, s19
	s_add_u32 s10, s10, s18
	s_mul_i32 s16, s7, s16
	s_addc_u32 s10, s12, s17
	s_addc_u32 s12, s13, 0
	s_add_u32 s10, s10, s16
	s_addc_u32 s12, 0, s12
	v_add_co_u32 v2, s10, v2, s10
	s_delay_alu instid0(VALU_DEP_1) | instskip(SKIP_2) | instid1(SALU_CYCLE_1)
	s_cmp_lg_u32 s10, 0
	s_addc_u32 s7, s7, s12
	s_ashr_i32 s12, s3, 31
	s_add_u32 s16, s6, s12
	s_addc_u32 s17, s3, s12
	v_readfirstlane_b32 s3, v2
	s_mov_b32 s13, s12
	s_delay_alu instid0(SALU_CYCLE_1) | instskip(NEXT) | instid1(SALU_CYCLE_1)
	s_xor_b64 s[16:17], s[16:17], s[12:13]
	s_mul_i32 s18, s16, s7
	s_delay_alu instid0(VALU_DEP_1)
	s_mul_hi_u32 s19, s16, s3
	s_mul_hi_u32 s10, s16, s7
	;; [unrolled: 1-line block ×3, first 2 shown]
	s_mul_i32 s3, s17, s3
	s_add_u32 s18, s19, s18
	s_addc_u32 s10, 0, s10
	s_mul_hi_u32 s20, s17, s7
	s_add_u32 s3, s18, s3
	s_mul_i32 s7, s17, s7
	s_addc_u32 s3, s10, s21
	s_addc_u32 s10, s20, 0
	s_add_u32 s3, s3, s7
	s_addc_u32 s7, 0, s10
	s_mul_i32 s18, s14, s3
	s_add_u32 s10, s3, 1
	v_sub_co_u32 v2, s16, s16, s18
	s_mul_hi_u32 s18, s14, s3
	s_addc_u32 s19, s7, 0
	s_mul_i32 s20, s14, s7
	s_delay_alu instid0(VALU_DEP_1)
	v_sub_co_u32 v4, s21, v2, s14
	s_add_u32 s22, s3, 2
	s_addc_u32 s23, s7, 0
	s_add_i32 s18, s18, s20
	s_cmp_lg_u32 s16, 0
	v_readfirstlane_b32 s16, v4
	s_subb_u32 s17, s17, s18
	s_cmp_lg_u32 s21, 0
	s_subb_u32 s18, s17, 0
	s_delay_alu instid0(VALU_DEP_1) | instskip(SKIP_4) | instid1(SALU_CYCLE_1)
	s_cmp_ge_u32 s16, s14
	s_cselect_b32 s16, -1, 0
	s_cmp_eq_u32 s18, 0
	v_readfirstlane_b32 s18, v2
	s_cselect_b32 s16, s16, -1
	s_cmp_lg_u32 s16, 0
	s_cselect_b32 s10, s22, s10
	s_cselect_b32 s16, s23, s19
	s_cmp_ge_u32 s18, s14
	s_cselect_b32 s18, -1, 0
	s_cmp_eq_u32 s17, 0
	s_cselect_b32 s17, s18, -1
	s_delay_alu instid0(SALU_CYCLE_1) | instskip(SKIP_2) | instid1(SALU_CYCLE_1)
	s_cmp_lg_u32 s17, 0
	s_cselect_b32 s17, s16, s7
	s_cselect_b32 s16, s10, s3
	s_xor_b64 s[16:17], s[16:17], s[12:13]
	s_delay_alu instid0(SALU_CYCLE_1)
	s_sub_u32 s50, s16, s12
	s_load_b64 s[48:49], s[0:1], 0x74
	v_cvt_f32_u32_e32 v2, s14
	s_and_not1_b32 vcc_lo, exec_lo, s2
	s_cbranch_vccnz .LBB9_3
.LBB9_2:
	s_delay_alu instid0(VALU_DEP_1) | instskip(SKIP_3) | instid1(VALU_DEP_1)
	v_rcp_iflag_f32_e32 v4, v2
	s_sub_i32 s3, 0, s14
	s_waitcnt_depctr 0xfff
	v_mul_f32_e32 v4, 0x4f7ffffe, v4
	v_cvt_u32_f32_e32 v4, v4
	s_delay_alu instid0(VALU_DEP_1) | instskip(NEXT) | instid1(VALU_DEP_1)
	v_readfirstlane_b32 s2, v4
	s_mul_i32 s3, s3, s2
	s_delay_alu instid0(SALU_CYCLE_1) | instskip(NEXT) | instid1(SALU_CYCLE_1)
	s_mul_hi_u32 s3, s2, s3
	s_add_i32 s2, s2, s3
	s_delay_alu instid0(SALU_CYCLE_1) | instskip(NEXT) | instid1(SALU_CYCLE_1)
	s_mul_hi_u32 s2, s6, s2
	s_mul_i32 s3, s2, s14
	s_delay_alu instid0(SALU_CYCLE_1)
	s_sub_i32 s3, s6, s3
	s_add_i32 s6, s2, 1
	s_sub_i32 s7, s3, s14
	s_cmp_ge_u32 s3, s14
	s_cselect_b32 s2, s6, s2
	s_cselect_b32 s3, s7, s3
	s_add_i32 s6, s2, 1
	s_cmp_ge_u32 s3, s14
	s_cselect_b32 s50, s6, s2
.LBB9_3:
	s_add_i32 s6, s15, 1
	s_delay_alu instid0(SALU_CYCLE_1) | instskip(SKIP_4) | instid1(SALU_CYCLE_1)
	s_mul_i32 s2, s5, s6
	s_mul_hi_u32 s3, s4, s6
	s_mul_i32 s4, s4, s6
	s_add_i32 s3, s3, s2
	s_mov_b32 s2, 0
	s_cmp_lg_u64 s[2:3], 0
	s_cbranch_scc0 .LBB9_370
; %bb.4:
	v_fmamk_f32 v1, v1, 0x4f800000, v3
	s_sub_u32 s7, 0, s14
	s_subb_u32 s10, 0, 0
	s_delay_alu instid0(VALU_DEP_1) | instskip(SKIP_2) | instid1(VALU_DEP_1)
	v_rcp_f32_e32 v1, v1
	s_waitcnt_depctr 0xfff
	v_mul_f32_e32 v1, 0x5f7ffffc, v1
	v_mul_f32_e32 v3, 0x2f800000, v1
	s_delay_alu instid0(VALU_DEP_1) | instskip(NEXT) | instid1(VALU_DEP_1)
	v_trunc_f32_e32 v3, v3
	v_fmamk_f32 v1, v3, 0xcf800000, v1
	v_cvt_u32_f32_e32 v3, v3
	s_delay_alu instid0(VALU_DEP_2) | instskip(NEXT) | instid1(VALU_DEP_2)
	v_cvt_u32_f32_e32 v1, v1
	v_readfirstlane_b32 s5, v3
	s_delay_alu instid0(VALU_DEP_2) | instskip(NEXT) | instid1(VALU_DEP_2)
	v_readfirstlane_b32 s6, v1
	s_mul_i32 s12, s7, s5
	s_delay_alu instid0(VALU_DEP_1)
	s_mul_hi_u32 s16, s7, s6
	s_mul_i32 s13, s10, s6
	s_add_i32 s12, s16, s12
	s_mul_i32 s17, s7, s6
	s_add_i32 s12, s12, s13
	s_mul_hi_u32 s16, s6, s17
	s_mul_hi_u32 s18, s5, s17
	s_mul_i32 s13, s5, s17
	s_mul_hi_u32 s17, s6, s12
	s_mul_i32 s6, s6, s12
	s_mul_hi_u32 s19, s5, s12
	s_add_u32 s6, s16, s6
	s_addc_u32 s16, 0, s17
	s_add_u32 s6, s6, s13
	s_mul_i32 s12, s5, s12
	s_addc_u32 s6, s16, s18
	s_addc_u32 s13, s19, 0
	s_add_u32 s6, s6, s12
	s_addc_u32 s12, 0, s13
	v_add_co_u32 v1, s6, v1, s6
	s_delay_alu instid0(VALU_DEP_1) | instskip(SKIP_1) | instid1(VALU_DEP_1)
	s_cmp_lg_u32 s6, 0
	s_addc_u32 s5, s5, s12
	v_readfirstlane_b32 s6, v1
	s_mul_i32 s12, s7, s5
	s_delay_alu instid0(VALU_DEP_1)
	s_mul_hi_u32 s13, s7, s6
	s_mul_i32 s10, s10, s6
	s_add_i32 s12, s13, s12
	s_mul_i32 s7, s7, s6
	s_add_i32 s12, s12, s10
	s_mul_hi_u32 s13, s5, s7
	s_mul_i32 s16, s5, s7
	s_mul_hi_u32 s7, s6, s7
	s_mul_hi_u32 s17, s6, s12
	s_mul_i32 s6, s6, s12
	s_mul_hi_u32 s10, s5, s12
	s_add_u32 s6, s7, s6
	s_addc_u32 s7, 0, s17
	s_add_u32 s6, s6, s16
	s_mul_i32 s12, s5, s12
	s_addc_u32 s6, s7, s13
	s_addc_u32 s7, s10, 0
	s_add_u32 s6, s6, s12
	s_addc_u32 s7, 0, s7
	v_add_co_u32 v1, s6, v1, s6
	s_delay_alu instid0(VALU_DEP_1) | instskip(SKIP_2) | instid1(SALU_CYCLE_1)
	s_cmp_lg_u32 s6, 0
	s_addc_u32 s5, s5, s7
	s_ashr_i32 s6, s3, 31
	s_add_u32 s12, s4, s6
	s_addc_u32 s13, s3, s6
	v_readfirstlane_b32 s3, v1
	s_mov_b32 s7, s6
	s_delay_alu instid0(SALU_CYCLE_1) | instskip(NEXT) | instid1(SALU_CYCLE_1)
	s_xor_b64 s[12:13], s[12:13], s[6:7]
	s_mul_i32 s16, s12, s5
	s_delay_alu instid0(VALU_DEP_1)
	s_mul_hi_u32 s17, s12, s3
	s_mul_hi_u32 s10, s12, s5
	s_mul_hi_u32 s19, s13, s3
	s_mul_i32 s3, s13, s3
	s_add_u32 s16, s17, s16
	s_addc_u32 s10, 0, s10
	s_mul_hi_u32 s18, s13, s5
	s_add_u32 s3, s16, s3
	s_mul_i32 s5, s13, s5
	s_addc_u32 s3, s10, s19
	s_addc_u32 s10, s18, 0
	s_add_u32 s3, s3, s5
	s_addc_u32 s5, 0, s10
	s_mul_i32 s16, s14, s3
	s_add_u32 s10, s3, 1
	v_sub_co_u32 v1, s12, s12, s16
	s_mul_hi_u32 s16, s14, s3
	s_addc_u32 s17, s5, 0
	s_mul_i32 s18, s14, s5
	s_delay_alu instid0(VALU_DEP_1)
	v_sub_co_u32 v3, s19, v1, s14
	s_add_u32 s20, s3, 2
	s_addc_u32 s21, s5, 0
	s_add_i32 s16, s16, s18
	s_cmp_lg_u32 s12, 0
	v_readfirstlane_b32 s12, v3
	s_subb_u32 s13, s13, s16
	s_cmp_lg_u32 s19, 0
	s_subb_u32 s16, s13, 0
	s_delay_alu instid0(VALU_DEP_1) | instskip(SKIP_4) | instid1(SALU_CYCLE_1)
	s_cmp_ge_u32 s12, s14
	s_cselect_b32 s12, -1, 0
	s_cmp_eq_u32 s16, 0
	v_readfirstlane_b32 s16, v1
	s_cselect_b32 s12, s12, -1
	s_cmp_lg_u32 s12, 0
	s_cselect_b32 s10, s20, s10
	s_cselect_b32 s12, s21, s17
	s_cmp_ge_u32 s16, s14
	s_cselect_b32 s16, -1, 0
	s_cmp_eq_u32 s13, 0
	s_cselect_b32 s13, s16, -1
	s_delay_alu instid0(SALU_CYCLE_1) | instskip(SKIP_2) | instid1(SALU_CYCLE_1)
	s_cmp_lg_u32 s13, 0
	s_cselect_b32 s13, s12, s5
	s_cselect_b32 s12, s10, s3
	s_xor_b64 s[12:13], s[12:13], s[6:7]
	s_delay_alu instid0(SALU_CYCLE_1)
	s_sub_u32 s54, s12, s6
	s_load_b64 s[12:13], s[0:1], 0x5c
	s_and_not1_b32 vcc_lo, exec_lo, s2
	s_cbranch_vccnz .LBB9_6
.LBB9_5:
	v_rcp_iflag_f32_e32 v1, v2
	s_sub_i32 s3, 0, s14
	s_waitcnt_depctr 0xfff
	v_mul_f32_e32 v1, 0x4f7ffffe, v1
	s_delay_alu instid0(VALU_DEP_1) | instskip(NEXT) | instid1(VALU_DEP_1)
	v_cvt_u32_f32_e32 v1, v1
	v_readfirstlane_b32 s2, v1
	s_delay_alu instid0(VALU_DEP_1) | instskip(NEXT) | instid1(SALU_CYCLE_1)
	s_mul_i32 s3, s3, s2
	s_mul_hi_u32 s3, s2, s3
	s_delay_alu instid0(SALU_CYCLE_1) | instskip(NEXT) | instid1(SALU_CYCLE_1)
	s_add_i32 s2, s2, s3
	s_mul_hi_u32 s2, s4, s2
	s_delay_alu instid0(SALU_CYCLE_1) | instskip(NEXT) | instid1(SALU_CYCLE_1)
	s_mul_i32 s3, s2, s14
	s_sub_i32 s3, s4, s3
	s_add_i32 s4, s2, 1
	s_sub_i32 s5, s3, s14
	s_cmp_ge_u32 s3, s14
	s_cselect_b32 s2, s4, s2
	s_cselect_b32 s3, s5, s3
	s_add_i32 s4, s2, 1
	s_cmp_ge_u32 s3, s14
	s_cselect_b32 s54, s4, s2
.LBB9_6:
	s_abs_i32 s73, s72
	v_bfe_u32 v148, v0, 10, 10
	v_cvt_f32_u32_e32 v1, s73
	s_clause 0x6
	s_load_b512 s[16:31], s[0:1], 0x0
	s_load_b32 s2, s[0:1], 0x40
	s_load_b64 s[46:47], s[0:1], 0x8c
	s_load_b128 s[36:39], s[0:1], 0x98
	s_load_b64 s[42:43], s[0:1], 0xa8
	s_load_b64 s[52:53], s[0:1], 0xb8
	;; [unrolled: 1-line block ×3, first 2 shown]
	s_sub_i32 s3, 0, s73
	s_abs_i32 s1, s50
	v_rcp_iflag_f32_e32 v1, v1
	s_ashr_i32 s51, s11, 3
	s_waitcnt lgkmcnt(0)
	s_ashr_i32 s55, s48, 3
	s_ashr_i32 s0, s50, 31
	;; [unrolled: 1-line block ×3, first 2 shown]
	v_and_b32_e32 v108, 0x3ff, v0
	v_lshlrev_b32_e32 v217, 3, v148
	v_lshlrev_b32_e32 v215, 1, v148
	v_and_b32_e32 v218, 1, v148
	v_lshrrev_b32_e32 v161, 3, v148
	s_waitcnt_depctr 0xfff
	v_dual_mul_f32 v1, 0x4f7ffffe, v1 :: v_dual_lshlrev_b32 v216, 4, v148
	v_and_b32_e32 v157, 7, v148
	v_add_nc_u32_e32 v73, 2, v148
	s_ashr_i32 s10, s38, 2
	s_delay_alu instid0(VALU_DEP_3)
	v_cvt_u32_f32_e32 v1, v1
	s_ashr_i32 s34, s46, 2
	s_ashr_i32 s40, s53, 1
	v_cvt_f16_f32_e32 v0, s2
	v_add_nc_u32_e32 v72, 4, v148
	v_readfirstlane_b32 s75, v1
	v_add_nc_u32_e32 v71, 6, v148
	v_add_nc_u32_e32 v70, 8, v148
	v_add_nc_u32_e32 v69, 10, v148
	v_add_nc_u32_e32 v68, 12, v148
	s_mul_i32 s3, s3, s75
	v_pack_b32_f16 v152, v0, v0
	s_mul_hi_u32 s3, s75, s3
	v_add_nc_u32_e32 v67, 14, v148
	s_add_i32 s75, s75, s3
	s_mov_b32 s57, 0
	s_mul_hi_u32 s3, s1, s75
	s_delay_alu instid0(SALU_CYCLE_1) | instskip(NEXT) | instid1(SALU_CYCLE_1)
	s_mul_i32 s3, s3, s73
	s_sub_i32 s1, s1, s3
	s_delay_alu instid0(SALU_CYCLE_1) | instskip(SKIP_2) | instid1(SALU_CYCLE_1)
	s_sub_i32 s3, s1, s73
	s_cmp_ge_u32 s1, s73
	s_cselect_b32 s1, s3, s1
	s_sub_i32 s3, s1, s73
	s_cmp_ge_u32 s1, s73
	s_cselect_b32 s1, s3, s1
	s_sub_i32 s3, s54, s50
	s_xor_b32 s1, s1, s0
	s_delay_alu instid0(SALU_CYCLE_1) | instskip(NEXT) | instid1(SALU_CYCLE_1)
	s_sub_i32 s102, s1, s0
	s_add_i32 s3, s3, s102
	s_delay_alu instid0(SALU_CYCLE_1)
	s_min_i32 s92, s72, s3
	s_cmp_gt_i32 s54, s50
	s_cselect_b32 s4, -1, 0
	s_cmp_le_i32 s54, s50
	s_cselect_b32 s0, -1, 0
	s_cmp_gt_i32 s72, s3
	s_cselect_b32 s1, -1, 0
	s_delay_alu instid0(SALU_CYCLE_1) | instskip(NEXT) | instid1(SALU_CYCLE_1)
	s_or_b32 s0, s1, s0
	s_and_b32 vcc_lo, exec_lo, s0
	s_cbranch_vccz .LBB9_9
; %bb.7:
	s_and_not1_b32 vcc_lo, exec_lo, s4
	s_cbranch_vccz .LBB9_322
.LBB9_8:
	s_endpgm
.LBB9_9:
	v_dual_mov_b32 v202, 0 :: v_dual_and_b32 v1, 0x1f0, v217
	v_and_b32_e32 v20, 15, v108
	v_and_b32_e32 v9, 16, v216
	v_lshrrev_b32_e32 v162, 4, v108
	s_delay_alu instid0(VALU_DEP_4)
	v_mad_u32_u24 v163, 0xb0, v1, 0
	v_and_or_b32 v1, v108, 8, v1
	v_lshrrev_b32_e32 v25, 1, v148
	v_mad_u32_u24 v22, 0xb0, v9, 0
	v_or_b32_e32 v26, v216, v20
	v_lshlrev_b32_e32 v13, 1, v9
	v_lshrrev_b32_e32 v11, 3, v1
	v_lshlrev_b32_e32 v24, 1, v162
	v_mad_u32_u24 v169, 0xb0, v20, v22
	v_lshl_add_u32 v27, v20, 1, v22
	v_add_nc_u32_e32 v22, 1, v25
	v_mad_u32_u24 v11, 0x50, v11, 0
	v_mul_u32_u24_e32 v26, 0xb0, v26
	v_lshrrev_b32_e32 v21, 3, v108
	v_lshlrev_b32_e32 v0, 1, v108
	v_lshlrev_b32_e32 v28, 1, v22
	v_add3_u32 v170, v11, v13, v24
	v_and_b32_e32 v29, 15, v22
	v_add3_u32 v171, 0, v26, v24
	v_add_nc_u32_e32 v24, 2, v25
	v_add_nc_u32_e32 v26, 3, v25
	v_lshl_add_u32 v23, v148, 2, v21
	v_and_or_b32 v28, 0x60, v28, v29
	v_add_nc_u32_e32 v29, 4, v25
	v_lshlrev_b32_e32 v30, 1, v24
	v_and_b32_e32 v31, 15, v24
	v_lshlrev_b32_e32 v32, 1, v26
	v_and_b32_e32 v33, 15, v26
	v_and_b32_e32 v164, 30, v0
	v_mul_lo_u32 v0, s34, v23
	v_lshlrev_b32_e32 v34, 1, v29
	v_and_b32_e32 v35, 15, v29
	v_and_or_b32 v30, 0x60, v30, v31
	v_add_nc_u32_e32 v31, 5, v25
	v_and_or_b32 v32, 0x60, v32, v33
	v_add_nc_u32_e32 v33, 6, v25
	v_add_nc_u32_e32 v172, 32, v27
	;; [unrolled: 1-line block ×6, first 2 shown]
	v_and_or_b32 v34, 0x60, v34, v35
	v_add_nc_u32_e32 v35, 7, v25
	v_lshlrev_b32_e32 v36, 1, v31
	v_and_b32_e32 v37, 15, v31
	v_lshlrev_b32_e32 v38, 1, v33
	v_and_b32_e32 v39, 15, v33
	v_lshlrev_b32_e32 v6, 2, v108
	v_mul_u32_u24_e32 v177, 0xb0, v27
	v_mad_u32_u24 v27, v148, 44, v108
	s_cmp_eq_u64 s[24:25], 0
	v_add_nc_u32_e32 v2, v215, v162
	v_ashrrev_i32_e32 v1, 31, v0
	v_and_b32_e32 v181, 7, v23
	s_cselect_b32 s46, -1, 0
	s_cmp_lg_u64 s[26:27], 0
	v_lshlrev_b32_e32 v40, 1, v35
	v_and_b32_e32 v41, 15, v35
	v_and_or_b32 v36, 0x60, v36, v37
	v_add_nc_u32_e32 v37, 8, v25
	v_and_or_b32 v38, 0x60, v38, v39
	v_add_nc_u32_e32 v39, 9, v25
	s_cselect_b32 s53, -1, 0
	v_lshrrev_b32_e32 v3, 1, v108
	s_lshl_b32 s1, s34, 3
	v_and_b32_e32 v168, 28, v6
	v_lshl_add_u32 v178, v27, 2, 0
	v_mad_u32_u24 v27, 0xb0, v23, 0
	v_and_b32_e32 v179, 7, v108
	v_mul_u32_u24_e32 v5, 0x50, v2
	v_cmp_gt_u32_e64 s0, 2, v2
	v_add_nc_u32_e32 v2, s1, v0
	v_lshlrev_b64 v[111:112], 2, v[0:1]
	v_mul_lo_u32 v0, v181, s55
	v_and_or_b32 v40, 0x60, v40, v41
	v_add_nc_u32_e32 v41, 10, v25
	v_lshlrev_b32_e32 v42, 1, v37
	v_and_b32_e32 v43, 15, v37
	v_lshlrev_b32_e32 v44, 1, v39
	v_and_b32_e32 v45, 15, v39
	v_add_nc_u32_e32 v7, v216, v3
	v_lshlrev_b32_e32 v3, 1, v164
	v_and_b32_e32 v165, 4, v6
	v_lshl_add_u32 v182, v168, 2, v27
	v_lshl_add_u32 v183, v179, 2, v27
	v_mad_u32_u24 v27, v28, 44, v108
	v_mul_u32_u24_e32 v28, 0xb0, v28
	v_lshlrev_b32_e32 v46, 1, v41
	v_and_b32_e32 v47, 15, v41
	v_add_nc_u32_e32 v48, 11, v25
	v_and_or_b32 v42, 0x60, v42, v43
	v_and_or_b32 v43, 0x60, v44, v45
	v_add_nc_u32_e32 v44, 12, v25
	v_add_nc_u32_e32 v49, 13, v25
	;; [unrolled: 1-line block ×4, first 2 shown]
	v_add3_u32 v166, 0, v5, v3
	v_mad_u32_u24 v3, 0xb0, v7, 0
	v_lshlrev_b32_e32 v8, 2, v165
	v_add_nc_u32_e32 v6, s1, v2
	v_add3_u32 v119, v0, v179, 32
	v_lshrrev_b32_e32 v0, 3, v22
	scratch_store_b32 off, v28, off offset:112 ; 4-byte Folded Spill
	v_mul_u32_u24_e32 v28, 0xb0, v30
	s_lshl_b32 s56, s15, 4
	v_and_or_b32 v45, 0x60, v46, v47
	scratch_store_b32 off, v0, off offset:32 ; 4-byte Folded Spill
	s_lshl_b64 s[2:3], s[56:57], 3
	v_lshlrev_b32_e32 v46, 1, v48
	v_and_b32_e32 v47, 15, v48
	v_lshlrev_b32_e32 v50, 1, v44
	v_and_b32_e32 v52, 15, v44
	;; [unrolled: 2-line block ×4, first 2 shown]
	s_ashr_i32 s41, s40, 31
	s_ashr_i32 s35, s34, 31
	v_add3_u32 v167, v3, v8, 0x80
	v_add_nc_u32_e32 v8, s1, v6
	s_lshl_b32 s1, s10, 3
	s_ashr_i32 s11, s10, 31
	scratch_store_b32 off, v28, off offset:152 ; 4-byte Folded Spill
	v_mul_u32_u24_e32 v28, 0xb0, v32
	s_add_u32 s4, s30, s2
	s_addc_u32 s5, s31, s3
	s_abs_i32 s76, s52
	v_and_or_b32 v46, 0x60, v46, v47
	v_and_or_b32 v47, 0x60, v50, v52
	;; [unrolled: 1-line block ×4, first 2 shown]
	v_cvt_f32_u32_e32 v58, s76
	scratch_store_b32 off, v28, off offset:184 ; 4-byte Folded Spill
	v_mul_u32_u24_e32 v28, 0xb0, v34
	v_mul_lo_u32 v10, s10, v23
	s_abs_i32 s77, s71
	v_rcp_iflag_f32_e32 v58, v58
	v_add_nc_u32_e32 v21, v21, v215
	scratch_store_b32 off, v28, off offset:212 ; 4-byte Folded Spill
	v_mul_u32_u24_e32 v28, 0xb0, v36
	v_lshlrev_b32_e32 v55, 1, v51
	v_and_b32_e32 v56, 15, v51
	v_cvt_f32_u32_e32 v62, s77
	s_abs_i32 s78, s70
	s_abs_i32 s79, s69
	scratch_store_b32 off, v28, off offset:232 ; 4-byte Folded Spill
	v_mul_u32_u24_e32 v28, 0xb0, v38
	v_add_nc_u32_e32 v12, s1, v10
	v_cvt_f32_u32_e32 v63, s78
	v_cvt_f32_u32_e32 v64, s79
	v_mul_f32_e32 v58, 0x4f7ffffe, v58
	v_and_or_b32 v52, 0x60, v55, v56
	v_lshlrev_b32_e32 v54, 1, v21
	v_and_b32_e32 v55, 15, v21
	v_add_nc_u32_e32 v56, 4, v21
	v_add_nc_u32_e32 v57, 8, v21
	v_rcp_iflag_f32_e32 v62, v62
	scratch_store_b32 off, v28, off offset:252 ; 4-byte Folded Spill
	v_mul_u32_u24_e32 v28, 0xb0, v42
	v_add_nc_u32_e32 v14, s1, v12
	v_rcp_iflag_f32_e32 v63, v63
	v_rcp_iflag_f32_e32 v64, v64
	v_cvt_u32_f32_e32 v58, v58
	v_and_or_b32 v54, 0x1e0, v54, v55
	v_lshlrev_b32_e32 v55, 1, v56
	v_and_b32_e32 v59, 15, v56
	v_lshlrev_b32_e32 v60, 1, v57
	v_and_b32_e32 v61, 15, v57
	v_add_nc_u32_e32 v65, 12, v21
	scratch_store_b32 off, v28, off offset:284 ; 4-byte Folded Spill
	v_mul_u32_u24_e32 v28, 0xb0, v43
	v_add_nc_u32_e32 v16, s1, v14
	s_sub_i32 s1, 0, s76
	v_and_or_b32 v55, 0x3e0, v55, v59
	v_mul_lo_u32 v66, s1, v58
	v_and_or_b32 v59, 0x3e0, v60, v61
	v_lshlrev_b32_e32 v60, 1, v65
	v_dual_mul_f32 v62, 0x4f7ffffe, v62 :: v_dual_and_b32 v61, 15, v65
	scratch_store_b32 off, v28, off offset:304 ; 4-byte Folded Spill
	v_mul_u32_u24_e32 v28, 0xb0, v45
	v_dual_mul_f32 v63, 0x4f7ffffe, v63 :: v_dual_mul_f32 v64, 0x4f7ffffe, v64
	v_and_or_b32 v60, 0x3e0, v60, v61
	v_cvt_u32_f32_e32 v61, v62
	scratch_store_b32 off, v28, off offset:324 ; 4-byte Folded Spill
	v_mul_u32_u24_e32 v28, 0xb0, v46
	v_cvt_u32_f32_e32 v62, v63
	v_cvt_u32_f32_e32 v63, v64
	v_mul_hi_u32 v64, v58, v66
	v_readfirstlane_b32 s6, v61
	v_or_b32_e32 v61, v217, v108
	scratch_store_b32 off, v28, off offset:344 ; 4-byte Folded Spill
	v_mul_u32_u24_e32 v28, 0xb0, v47
	v_readfirstlane_b32 s7, v62
	v_and_b32_e32 v0, 7, v22
	v_lshl_add_u32 v27, v27, 2, 0
	v_add_nc_u32_e32 v176, v58, v64
	v_lshlrev_b32_e32 v58, 3, v61
	v_bfe_u32 v61, v148, 1, 4
	scratch_store_b32 off, v28, off offset:364 ; 4-byte Folded Spill
	v_mul_u32_u24_e32 v28, 0xb0, v50
	scratch_store_b64 off, v[0:1], off      ; 8-byte Folded Spill
	v_add_co_u32 v62, s4, s4, v58
	v_add_nc_u32_e32 v58, 8, v23
	v_and_or_b32 v61, v148, 32, v61
	scratch_store_b32 off, v28, off offset:384 ; 4-byte Folded Spill
	v_mul_u32_u24_e32 v28, 0xb0, v52
	v_lshrrev_b32_e32 v0, 3, v24
	v_lshrrev_b32_e32 v184, 3, v58
	v_mul_u32_u24_e32 v58, 0xb0, v61
	v_lshrrev_b32_e32 v180, 3, v23
	scratch_store_b32 off, v28, off offset:404 ; 4-byte Folded Spill
	v_mul_u32_u24_e32 v28, 0xb0, v53
	scratch_store_b32 off, v0, off offset:132 ; 4-byte Folded Spill
	v_and_b32_e32 v0, 7, v24
	v_mad_u32_u24 v23, v61, 44, v108
	v_readfirstlane_b32 s56, v63
	scratch_store_b32 off, v28, off offset:416 ; 4-byte Folded Spill
	v_mul_u32_u24_e32 v28, 0xb0, v54
	s_clause 0x1
	scratch_store_b32 off, v58, off offset:16
	scratch_store_b64 off, v[0:1], off offset:96
	v_lshrrev_b32_e32 v0, 3, v26
	v_add_co_ci_u32_e64 v63, null, s5, 0, s4
	v_lshl_add_u32 v23, v23, 2, 0
	s_sub_i32 s4, 0, s77
	scratch_store_b32 off, v0, off offset:168 ; 4-byte Folded Spill
	v_and_b32_e32 v0, 7, v26
	s_mul_i32 s4, s4, s6
	s_sub_i32 s5, 0, s79
	s_mul_hi_u32 s4, s6, s4
	v_mul_u32_u24_e32 v227, 0xb0, v20
	scratch_store_b64 off, v[0:1], off offset:136 ; 8-byte Folded Spill
	v_lshrrev_b32_e32 v0, 3, v29
	s_add_i32 s81, s6, s4
	s_sub_i32 s4, 0, s78
	v_mad_i32_i24 v228, 0xffffff52, v20, v169
	s_mul_i32 s4, s4, s7
	scratch_store_b32 off, v0, off offset:200 ; 4-byte Folded Spill
	v_and_b32_e32 v0, 7, v29
	v_lshlrev_b32_e32 v20, 2, v20
	s_mul_hi_u32 s4, s7, s4
	s_mul_i32 s5, s5, s56
	s_add_i32 s83, s7, s4
	scratch_store_b64 off, v[0:1], off offset:176 ; 8-byte Folded Spill
	v_lshrrev_b32_e32 v0, 3, v31
	s_mul_hi_u32 s4, s56, s5
	v_mul_lo_u32 v18, s10, v7
	s_add_i32 s85, s56, s4
	v_mul_lo_u32 v4, s34, v7
	scratch_store_b32 off, v0, off offset:220 ; 4-byte Folded Spill
	v_and_b32_e32 v0, 7, v31
	v_ashrrev_i32_e32 v11, 31, v10
	v_ashrrev_i32_e32 v13, 31, v12
	;; [unrolled: 1-line block ×4, first 2 shown]
	scratch_store_b64 off, v[0:1], off offset:204 ; 8-byte Folded Spill
	v_lshrrev_b32_e32 v0, 3, v33
	v_ashrrev_i32_e32 v5, 31, v4
	v_lshlrev_b64 v[102:103], 2, v[10:11]
	v_lshlrev_b64 v[98:99], 2, v[18:19]
	;; [unrolled: 1-line block ×3, first 2 shown]
	scratch_store_b32 off, v0, off offset:240 ; 4-byte Folded Spill
	v_and_b32_e32 v0, 7, v33
	v_lshlrev_b64 v[100:101], 2, v[4:5]
	v_lshlrev_b64 v[106:107], 2, v[14:15]
	v_ashrrev_i32_e32 v17, 31, v16
	v_ashrrev_i32_e32 v3, 31, v2
	scratch_store_b64 off, v[0:1], off offset:224 ; 8-byte Folded Spill
	v_lshrrev_b32_e32 v0, 3, v35
	v_ashrrev_i32_e32 v7, 31, v6
	v_lshlrev_b64 v[109:110], 2, v[16:17]
	v_lshlrev_b64 v[113:114], 2, v[2:3]
	v_ashrrev_i32_e32 v9, 31, v8
	scratch_store_b32 off, v0, off offset:260 ; 4-byte Folded Spill
	v_and_b32_e32 v0, 7, v35
	v_and_b32_e32 v153, 7, v73
	;; [unrolled: 1-line block ×3, first 2 shown]
	v_lshlrev_b64 v[115:116], 2, v[6:7]
	v_and_b32_e32 v159, 7, v71
	scratch_store_b64 off, v[0:1], off offset:244 ; 8-byte Folded Spill
	v_lshrrev_b32_e32 v0, 3, v39
	v_and_b32_e32 v135, 7, v69
	v_and_b32_e32 v97, 7, v68
	v_mad_u64_u32 v[137:138], null, v157, s55, v[108:109]
	scratch_store_b32 off, v0, off offset:292 ; 4-byte Folded Spill
	v_and_b32_e32 v0, 7, v39
	v_lshlrev_b64 v[117:118], 2, v[8:9]
	v_and_b32_e32 v230, 7, v67
	v_mad_u64_u32 v[138:139], null, v153, s55, v[108:109]
	scratch_store_b64 off, v[0:1], off offset:276 ; 8-byte Folded Spill
	v_lshrrev_b32_e32 v0, 3, v41
	v_mad_u64_u32 v[139:140], null, v155, s55, v[108:109]
	v_mad_u64_u32 v[140:141], null, v159, s55, v[108:109]
	scratch_store_b32 off, v0, off offset:312 ; 4-byte Folded Spill
	v_and_b32_e32 v0, 7, v41
	v_mad_u64_u32 v[141:142], null, v135, s55, v[108:109]
	v_mad_u64_u32 v[142:143], null, v97, s55, v[108:109]
	scratch_store_b64 off, v[0:1], off offset:296 ; 8-byte Folded Spill
	v_lshrrev_b32_e32 v0, 3, v48
	v_mad_u64_u32 v[143:144], null, v230, s55, v[108:109]
	v_cmp_eq_u32_e64 s1, 0, v218
	v_cmp_eq_u32_e64 s2, 1, v218
	scratch_store_b32 off, v0, off offset:332 ; 4-byte Folded Spill
	v_and_b32_e32 v0, 7, v48
	v_cmp_gt_u32_e64 s3, 16, v108
	v_add_nc_u32_e32 v233, 0x580, v182
	v_add_nc_u32_e32 v234, 0xb00, v182
	;; [unrolled: 1-line block ×3, first 2 shown]
	scratch_store_b64 off, v[0:1], off offset:316 ; 8-byte Folded Spill
	v_lshrrev_b32_e32 v0, 3, v44
	v_xor_b32_e32 v236, 1, v162
	v_lshrrev_b32_e32 v150, 3, v73
	v_lshrrev_b32_e32 v154, 3, v72
	;; [unrolled: 1-line block ×3, first 2 shown]
	scratch_store_b32 off, v0, off offset:352 ; 4-byte Folded Spill
	v_and_b32_e32 v0, 7, v44
	v_lshrrev_b32_e32 v160, 3, v70
	v_lshrrev_b32_e32 v120, 3, v69
	;; [unrolled: 1-line block ×4, first 2 shown]
	scratch_store_b64 off, v[0:1], off offset:336 ; 8-byte Folded Spill
	v_lshrrev_b32_e32 v0, 3, v49
	v_lshrrev_b32_e32 v231, 4, v148
	;; [unrolled: 1-line block ×3, first 2 shown]
	v_and_b32_e32 v149, 7, v21
	v_lshlrev_b32_e32 v211, 4, v179
	scratch_store_b32 off, v0, off offset:372 ; 4-byte Folded Spill
	v_and_b32_e32 v0, 7, v49
	v_mbcnt_lo_u32_b32 v200, -1, 0
	v_bfe_u32 v144, v148, 1, 3
	s_mul_i32 s38, s8, s9
	s_ashr_i32 s80, s71, 31
	scratch_store_b64 off, v[0:1], off offset:356 ; 8-byte Folded Spill
	v_lshrrev_b32_e32 v0, 3, v51
	s_ashr_i32 s82, s70, 31
	s_ashr_i32 s84, s69, 31
	s_lshl_b64 s[58:59], s[40:41], 1
	s_lshl_b64 s[60:61], s[10:11], 7
	scratch_store_b32 off, v0, off offset:392 ; 4-byte Folded Spill
	v_and_b32_e32 v0, 7, v51
	s_lshl_b64 s[62:63], s[34:35], 7
	scratch_store_b64 off, v[0:1], off offset:376 ; 8-byte Folded Spill
	v_lshrrev_b32_e32 v0, 3, v25
	scratch_store_b32 off, v0, off offset:412 ; 4-byte Folded Spill
	v_and_b32_e32 v0, 7, v25
	scratch_store_b64 off, v[0:1], off offset:396 ; 8-byte Folded Spill
	v_lshrrev_b32_e32 v0, 3, v56
	scratch_store_b32 off, v27, off offset:116 ; 4-byte Folded Spill
	v_mad_u32_u24 v27, v32, 44, v108
	scratch_store_b32 off, v0, off offset:36 ; 4-byte Folded Spill
	v_and_b32_e32 v0, 7, v56
	v_lshl_add_u32 v27, v27, 2, 0
	scratch_store_b32 off, v23, off offset:20 ; 4-byte Folded Spill
	v_mad_u32_u24 v23, v30, 44, v108
	s_clause 0x1
	scratch_store_b64 off, v[0:1], off offset:8
	scratch_store_b32 off, v27, off offset:188
	v_mad_u32_u24 v27, v36, 44, v108
	v_lshl_add_u32 v23, v23, 2, 0
	v_lshrrev_b32_e32 v0, 3, v65
	s_delay_alu instid0(VALU_DEP_3)
	v_lshl_add_u32 v27, v27, 2, 0
	scratch_store_b32 off, v0, off offset:172 ; 4-byte Folded Spill
	v_and_b32_e32 v0, 7, v65
	s_clause 0x1
	scratch_store_b32 off, v23, off offset:156
	scratch_store_b32 off, v27, off offset:236
	v_mad_u32_u24 v27, v40, 44, v108
	v_mad_u32_u24 v23, v34, 44, v108
	scratch_store_b64 off, v[0:1], off offset:144 ; 8-byte Folded Spill
	v_add_co_u32 v0, s4, s22, v20
	v_lshl_add_u32 v27, v27, 2, 0
	v_lshl_add_u32 v23, v23, 2, 0
	scratch_store_b32 off, v0, off offset:56 ; 4-byte Folded Spill
	v_add_co_ci_u32_e64 v0, null, s23, 0, s4
	scratch_store_b32 off, v27, off offset:268 ; 4-byte Folded Spill
	v_lshrrev_b32_e32 v27, 3, v37
	scratch_store_b32 off, v23, off offset:216 ; 4-byte Folded Spill
	v_mad_u32_u24 v23, v38, 44, v108
	s_clause 0x1
	scratch_store_b32 off, v0, off offset:60
	scratch_store_b32 off, v27, off offset:272
	v_mad_u32_u24 v27, v43, 44, v108
	v_lshl_add_u32 v23, v23, 2, 0
	s_delay_alu instid0(VALU_DEP_2)
	v_lshl_add_u32 v27, v27, 2, 0
	scratch_store_b32 off, v23, off offset:256 ; 4-byte Folded Spill
	v_mul_u32_u24_e32 v23, 0xb0, v40
	scratch_store_b32 off, v27, off offset:308 ; 4-byte Folded Spill
	v_mad_u32_u24 v27, v46, 44, v108
	scratch_store_b32 off, v23, off offset:264 ; 4-byte Folded Spill
	v_mad_u32_u24 v23, v42, 44, v108
	v_lshl_add_u32 v27, v27, 2, 0
	s_delay_alu instid0(VALU_DEP_2)
	v_lshl_add_u32 v23, v23, 2, 0
	scratch_store_b32 off, v27, off offset:348 ; 4-byte Folded Spill
	v_mad_u32_u24 v27, v50, 44, v108
	scratch_store_b32 off, v23, off offset:288 ; 4-byte Folded Spill
	v_mad_u32_u24 v23, v45, 44, v108
	v_lshl_add_u32 v27, v27, 2, 0
	s_delay_alu instid0(VALU_DEP_2)
	v_lshl_add_u32 v23, v23, 2, 0
	;; [unrolled: 7-line block ×3, first 2 shown]
	scratch_store_b32 off, v27, off offset:420 ; 4-byte Folded Spill
	v_mad_u32_u24 v27, v55, 44, v179
	scratch_store_b32 off, v23, off offset:368 ; 4-byte Folded Spill
	v_mad_u32_u24 v23, v52, 44, v108
	v_lshl_add_u32 v27, v27, 2, 0
	scratch_store_b64 off, v[62:63], off offset:104 ; 8-byte Folded Spill
	v_lshl_add_u32 v23, v23, 2, 0
	scratch_store_b32 off, v27, off offset:124 ; 4-byte Folded Spill
	v_lshrrev_b32_e32 v27, 3, v57
	scratch_store_b32 off, v23, off offset:408 ; 4-byte Folded Spill
	v_mad_u32_u24 v23, v54, 44, v179
	s_delay_alu instid0(VALU_DEP_1)
	v_lshl_add_u32 v23, v23, 2, 0
	s_clause 0x1
	scratch_store_b32 off, v28, off offset:24
	scratch_store_b32 off, v23, off offset:28
	v_mul_u32_u24_e32 v23, 0xb0, v55
	scratch_store_b32 off, v23, off offset:120 ; 4-byte Folded Spill
	v_mad_u32_u24 v23, v59, 44, v179
	s_delay_alu instid0(VALU_DEP_1)
	v_lshl_add_u32 v23, v23, 2, 0
	scratch_store_b32 off, v27, off offset:128 ; 4-byte Folded Spill
	v_mul_u32_u24_e32 v27, 0xb0, v59
	scratch_store_b32 off, v23, off offset:164 ; 4-byte Folded Spill
	v_mul_u32_u24_e32 v23, 0xb0, v60
	scratch_store_b32 off, v27, off offset:160 ; 4-byte Folded Spill
	v_mad_u32_u24 v27, v60, 44, v179
	scratch_store_b32 off, v23, off offset:192 ; 4-byte Folded Spill
	v_lshl_add_u32 v23, v27, 2, 0
	scratch_store_b32 off, v23, off offset:196 ; 4-byte Folded Spill
	v_and_b32_e32 v23, 1, v108
	s_delay_alu instid0(VALU_DEP_1) | instskip(NEXT) | instid1(VALU_DEP_1)
	v_lshlrev_b32_e32 v18, 4, v23
	v_add_co_u32 v19, vcc_lo, v18, v98
	v_add_co_ci_u32_e32 v23, vcc_lo, 0, v99, vcc_lo
	s_delay_alu instid0(VALU_DEP_2) | instskip(NEXT) | instid1(VALU_DEP_2)
	v_add_co_u32 v19, vcc_lo, v19, s20
	v_add_co_ci_u32_e32 v23, vcc_lo, s21, v23, vcc_lo
	s_delay_alu instid0(VALU_DEP_2)
	v_add_co_u32 v4, vcc_lo, 0x80, v19
	scratch_store_b32 off, v4, off offset:40 ; 4-byte Folded Spill
	v_add_co_ci_u32_e32 v4, vcc_lo, 0, v23, vcc_lo
	scratch_store_b32 off, v4, off offset:44 ; 4-byte Folded Spill
	v_add_co_u32 v4, vcc_lo, v18, v100
	v_add_co_ci_u32_e32 v5, vcc_lo, 0, v101, vcc_lo
	s_delay_alu instid0(VALU_DEP_2) | instskip(NEXT) | instid1(VALU_DEP_2)
	v_add_co_u32 v4, vcc_lo, v4, s18
	v_add_co_ci_u32_e32 v5, vcc_lo, s19, v5, vcc_lo
	s_delay_alu instid0(VALU_DEP_2)
	v_add_co_u32 v4, vcc_lo, 0x80, v4
	scratch_store_b32 off, v4, off offset:48 ; 4-byte Folded Spill
	v_add_co_ci_u32_e32 v4, vcc_lo, 0, v5, vcc_lo
	v_add_co_u32 v0, vcc_lo, s20, v102
	s_clause 0x1
	scratch_store_b32 off, v4, off offset:52
	scratch_store_b32 off, v0, off offset:64
	v_add_co_ci_u32_e32 v0, vcc_lo, s21, v103, vcc_lo
	scratch_store_b32 off, v0, off offset:68 ; 4-byte Folded Spill
	v_add_co_u32 v0, vcc_lo, s20, v104
	scratch_store_b32 off, v0, off offset:72 ; 4-byte Folded Spill
	v_add_co_ci_u32_e32 v0, vcc_lo, s21, v105, vcc_lo
	scratch_store_b32 off, v0, off offset:76 ; 4-byte Folded Spill
	v_add_co_u32 v0, vcc_lo, s20, v106
	scratch_store_b32 off, v0, off offset:80 ; 4-byte Folded Spill
	;; [unrolled: 4-line block ×3, first 2 shown]
	v_add_co_ci_u32_e32 v0, vcc_lo, s21, v110, vcc_lo
	v_add_co_u32 v190, vcc_lo, s18, v111
	v_add_co_ci_u32_e32 v122, vcc_lo, s19, v112, vcc_lo
	v_add_co_u32 v232, vcc_lo, s18, v113
	v_add_co_ci_u32_e32 v121, vcc_lo, s19, v114, vcc_lo
	v_add_co_u32 v188, vcc_lo, s18, v115
	v_add_co_ci_u32_e32 v216, vcc_lo, s19, v116, vcc_lo
	v_add_co_u32 v187, vcc_lo, s18, v117
	v_add_co_ci_u32_e32 v199, vcc_lo, s19, v118, vcc_lo
	scratch_store_b32 off, v0, off offset:92 ; 4-byte Folded Spill
	s_branch .LBB9_12
.LBB9_10:                               ;   in Loop: Header=BB9_12 Depth=1
	s_or_b32 exec_lo, exec_lo, s6
	s_waitcnt_vscnt null, 0x0
	s_barrier
.LBB9_11:                               ;   in Loop: Header=BB9_12 Depth=1
	s_add_i32 s4, s50, s72
	s_mov_b32 s102, 0
	s_abs_i32 s5, s4
	s_waitcnt_vscnt null, 0x0
	buffer_gl0_inv
	s_mul_hi_u32 s6, s5, s75
	s_delay_alu instid0(SALU_CYCLE_1) | instskip(NEXT) | instid1(SALU_CYCLE_1)
	s_mul_i32 s6, s6, s73
	s_sub_i32 s5, s5, s6
	s_ashr_i32 s6, s4, 31
	s_sub_i32 s7, s5, s73
	s_cmp_ge_u32 s5, s73
	s_cselect_b32 s5, s7, s5
	s_delay_alu instid0(SALU_CYCLE_1) | instskip(SKIP_2) | instid1(SALU_CYCLE_1)
	s_sub_i32 s7, s5, s73
	s_cmp_ge_u32 s5, s73
	s_cselect_b32 s5, s7, s5
	s_xor_b32 s5, s5, s6
	s_delay_alu instid0(SALU_CYCLE_1) | instskip(NEXT) | instid1(SALU_CYCLE_1)
	s_sub_i32 s5, s6, s5
	s_add_i32 s50, s4, s5
	s_delay_alu instid0(SALU_CYCLE_1) | instskip(NEXT) | instid1(SALU_CYCLE_1)
	s_sub_i32 s5, s54, s50
	s_min_i32 s92, s72, s5
	s_cmp_gt_i32 s54, s50
	s_cselect_b32 s4, -1, 0
	s_cmp_le_i32 s72, s5
	s_cselect_b32 s5, -1, 0
	s_delay_alu instid0(SALU_CYCLE_1) | instskip(NEXT) | instid1(SALU_CYCLE_1)
	s_and_b32 s5, s5, s4
	s_and_b32 vcc_lo, exec_lo, s5
	s_cbranch_vccz .LBB9_321
.LBB9_12:                               ; =>This Loop Header: Depth=1
                                        ;     Child Loop BB9_213 Depth 2
                                        ;     Child Loop BB9_58 Depth 2
	s_abs_i32 s4, s50
	s_ashr_i32 s6, s50, 31
	s_mul_hi_u32 s5, s4, s81
	s_xor_b32 s6, s6, s80
	s_mul_i32 s7, s5, s77
	s_delay_alu instid0(SALU_CYCLE_1)
	s_sub_i32 s4, s4, s7
	s_add_i32 s7, s5, 1
	s_sub_i32 s41, s4, s77
	s_cmp_ge_u32 s4, s77
	s_cselect_b32 s5, s7, s5
	s_cselect_b32 s4, s41, s4
	s_add_i32 s7, s5, 1
	s_cmp_ge_u32 s4, s77
	s_cselect_b32 s4, s7, s5
	s_delay_alu instid0(SALU_CYCLE_1) | instskip(NEXT) | instid1(SALU_CYCLE_1)
	s_xor_b32 s4, s4, s6
	s_sub_i32 s4, s4, s6
	s_delay_alu instid0(SALU_CYCLE_1) | instskip(NEXT) | instid1(SALU_CYCLE_1)
	s_mul_i32 s5, s4, s71
	s_sub_i32 s6, s50, s5
	s_delay_alu instid0(SALU_CYCLE_1) | instskip(SKIP_4) | instid1(SALU_CYCLE_1)
	s_abs_i32 s5, s6
	s_ashr_i32 s41, s6, 31
	s_mul_hi_u32 s7, s5, s83
	s_xor_b32 s41, s41, s82
	s_mul_i32 s56, s7, s78
	s_sub_i32 s5, s5, s56
	s_add_i32 s56, s7, 1
	s_sub_i32 s59, s5, s78
	s_cmp_ge_u32 s5, s78
	s_cselect_b32 s7, s56, s7
	s_cselect_b32 s5, s59, s5
	s_add_i32 s56, s7, 1
	s_cmp_ge_u32 s5, s78
	s_cselect_b32 s5, s56, s7
	s_delay_alu instid0(SALU_CYCLE_1) | instskip(NEXT) | instid1(SALU_CYCLE_1)
	s_xor_b32 s5, s5, s41
	s_sub_i32 s5, s5, s41
	s_delay_alu instid0(SALU_CYCLE_1) | instskip(NEXT) | instid1(SALU_CYCLE_1)
	s_mul_i32 s7, s5, s70
	s_sub_i32 s7, s6, s7
	s_delay_alu instid0(SALU_CYCLE_1) | instskip(SKIP_4) | instid1(SALU_CYCLE_1)
	s_abs_i32 s6, s7
	s_ashr_i32 s56, s7, 31
	s_mul_hi_u32 s41, s6, s85
	s_xor_b32 s56, s56, s84
	s_mul_i32 s59, s41, s79
	s_sub_i32 s6, s6, s59
	s_add_i32 s59, s41, 1
	s_sub_i32 s64, s6, s79
	s_cmp_ge_u32 s6, s79
	s_cselect_b32 s41, s59, s41
	s_cselect_b32 s6, s64, s6
	s_add_i32 s59, s41, 1
	s_cmp_ge_u32 s6, s79
	s_cselect_b32 s6, s59, s41
	s_delay_alu instid0(SALU_CYCLE_1) | instskip(NEXT) | instid1(SALU_CYCLE_1)
	s_xor_b32 s6, s6, s56
	s_sub_i32 s6, s6, s56
	s_delay_alu instid0(SALU_CYCLE_1) | instskip(NEXT) | instid1(SALU_CYCLE_1)
	s_mul_i32 s41, s6, s69
	s_sub_i32 s7, s7, s41
	s_delay_alu instid0(SALU_CYCLE_1) | instskip(SKIP_4) | instid1(SALU_CYCLE_1)
	s_abs_i32 s41, s7
	s_ashr_i32 s7, s7, 31
	s_mul_hi_u32 s56, s41, s75
	s_xor_b32 s7, s7, s74
	s_mul_i32 s59, s56, s73
	s_sub_i32 s41, s41, s59
	s_add_i32 s59, s56, 1
	s_sub_i32 s64, s41, s73
	s_cmp_ge_u32 s41, s73
	s_cselect_b32 s56, s59, s56
	s_cselect_b32 s41, s64, s41
	s_add_i32 s59, s56, 1
	s_cmp_ge_u32 s41, s73
	s_cselect_b32 s41, s59, s56
	s_and_not1_b32 vcc_lo, exec_lo, s53
	s_xor_b32 s41, s41, s7
	s_delay_alu instid0(SALU_CYCLE_1)
	s_sub_i32 s89, s41, s7
	s_cbranch_vccnz .LBB9_14
; %bb.13:                               ;   in Loop: Header=BB9_12 Depth=1
	s_mul_i32 s7, s4, s68
	s_delay_alu instid0(SALU_CYCLE_1) | instskip(NEXT) | instid1(SALU_CYCLE_1)
	s_add_i32 s64, s89, s7
	s_ashr_i32 s65, s64, 31
	s_delay_alu instid0(SALU_CYCLE_1) | instskip(NEXT) | instid1(SALU_CYCLE_1)
	s_lshl_b64 s[64:65], s[64:65], 2
	s_add_u32 s64, s26, s64
	s_addc_u32 s65, s27, s65
	global_load_b32 v0, v202, s[64:65]
	s_waitcnt vmcnt(0)
	v_readfirstlane_b32 s7, v0
	s_delay_alu instid0(VALU_DEP_1) | instskip(NEXT) | instid1(SALU_CYCLE_1)
	s_ashr_i32 s41, s7, 31
	s_lshr_b32 s41, s41, 27
	s_delay_alu instid0(SALU_CYCLE_1) | instskip(NEXT) | instid1(SALU_CYCLE_1)
	s_add_i32 s7, s7, s41
	s_ashr_i32 s7, s7, 5
	s_delay_alu instid0(SALU_CYCLE_1)
	s_min_i32 s92, s92, s7
.LBB9_14:                               ;   in Loop: Header=BB9_12 Depth=1
	s_mul_i32 s7, s5, s33
	s_lshl_b32 s86, s6, 3
	s_mul_i32 s41, s4, s49
	s_add_i32 s6, s86, s7
	s_ashr_i32 s7, s41, 31
	s_mul_i32 s56, s6, s48
	s_add_u32 s41, s16, s41
	s_addc_u32 s7, s17, s7
	s_ashr_i32 s59, s56, 31
	s_add_u32 s100, s41, s56
	s_addc_u32 s101, s7, s59
	s_mul_i32 s7, s4, s37
	s_mul_hi_u32 s41, s4, s36
	s_ashr_i32 s66, s4, 31
	s_add_i32 s7, s41, s7
	s_mul_i32 s41, s66, s36
	s_mul_i32 s93, s4, s36
	s_add_i32 s94, s7, s41
	s_mul_i32 s95, s5, s47
	s_add_u32 s7, s18, s93
	s_addc_u32 s41, s19, s94
	s_ashr_i32 s96, s95, 31
	s_add_u32 s90, s7, s95
	s_addc_u32 s91, s41, s96
	s_abs_i32 s7, s4
	s_mul_i32 s67, s4, s43
	v_mul_hi_u32 v0, s7, v176
	s_mul_hi_u32 s87, s4, s42
	s_mul_i32 s97, s4, s42
	v_or_b32_e32 v198, s86, v157
	s_delay_alu instid0(VALU_DEP_2) | instskip(NEXT) | instid1(VALU_DEP_1)
	v_mul_lo_u32 v0, v0, s76
	v_sub_nc_u32_e32 v0, s7, v0
	s_mul_i32 s7, s38, s4
	s_mul_i32 s4, s66, s42
	s_add_i32 s7, s6, s7
	s_delay_alu instid0(VALU_DEP_1) | instskip(SKIP_2) | instid1(SALU_CYCLE_1)
	v_subrev_nc_u32_e32 v1, s76, v0
	v_cmp_le_u32_e32 vcc_lo, s76, v0
	s_mul_i32 s56, s7, 40
	s_lshl_b64 s[64:65], s[56:57], 3
	s_mul_i32 s56, s5, s39
	v_cndmask_b32_e32 v0, v0, v1, vcc_lo
	s_add_u32 s41, s28, s64
	s_addc_u32 s59, s29, s65
	s_add_i32 s7, s87, s67
	s_delay_alu instid0(VALU_DEP_1)
	v_subrev_nc_u32_e32 v1, s76, v0
	v_cmp_le_u32_e32 vcc_lo, s76, v0
	s_add_i32 s98, s7, s4
	s_add_u32 s4, s20, s97
	s_addc_u32 s5, s21, s98
	s_ashr_i32 s99, s56, 31
	v_cndmask_b32_e32 v0, v0, v1, vcc_lo
	s_add_u32 s87, s4, s56
	s_addc_u32 s88, s5, s99
	s_ashr_i32 s7, s6, 31
	s_delay_alu instid0(VALU_DEP_1) | instskip(SKIP_1) | instid1(SALU_CYCLE_1)
	v_xor_b32_e32 v0, s66, v0
	s_lshl_b64 s[4:5], s[6:7], 2
	s_add_u32 s4, s24, s4
	s_addc_u32 s5, s25, s5
	s_delay_alu instid0(VALU_DEP_1)
	v_subrev_nc_u32_e32 v0, s66, v0
	s_and_b32 s6, s46, exec_lo
	s_cselect_b32 s65, 0, s5
	s_cselect_b32 s64, 0, s4
	s_cmp_lg_u32 s102, 0
	v_ashrrev_i32_e32 v1, 31, v0
	v_mul_lo_u32 v2, v0, s45
	v_mul_hi_u32 v3, v0, s44
	v_mul_lo_u32 v145, v0, s44
	s_delay_alu instid0(VALU_DEP_4) | instskip(NEXT) | instid1(VALU_DEP_3)
	v_mul_lo_u32 v1, v1, s44
	v_add_nc_u32_e32 v0, v3, v2
	s_delay_alu instid0(VALU_DEP_3) | instskip(NEXT) | instid1(VALU_DEP_2)
	v_add_co_u32 v201, vcc_lo, s22, v145
	v_add_nc_u32_e32 v146, v0, v1
	s_delay_alu instid0(VALU_DEP_1)
	v_add_co_ci_u32_e32 v197, vcc_lo, s23, v146, vcc_lo
	v_cmp_gt_i32_e32 vcc_lo, s33, v198
	s_cbranch_scc0 .LBB9_60
; %bb.15:                               ;   in Loop: Header=BB9_12 Depth=1
	s_lshl_b32 s103, s89, 1
	s_xor_b32 s5, vcc_lo, -1
	v_add_nc_u32_e32 v1, s103, v161
	s_delay_alu instid0(VALU_DEP_1) | instskip(NEXT) | instid1(VALU_DEP_1)
	v_cmp_le_i32_e64 s4, s8, v1
	s_or_b32 s4, s4, s5
	s_delay_alu instid0(SALU_CYCLE_1) | instskip(NEXT) | instid1(SALU_CYCLE_1)
	s_and_saveexec_b32 s6, s4
	s_xor_b32 s4, exec_lo, s6
	s_cbranch_execz .LBB9_17
; %bb.16:                               ;   in Loop: Header=BB9_12 Depth=1
	ds_store_b32 v178, v202
                                        ; implicit-def: $vgpr1
.LBB9_17:                               ;   in Loop: Header=BB9_12 Depth=1
	s_and_not1_saveexec_b32 s4, s4
	s_cbranch_execz .LBB9_19
; %bb.18:                               ;   in Loop: Header=BB9_12 Depth=1
	v_mad_u64_u32 v[2:3], null, v1, s51, v[137:138]
	s_delay_alu instid0(VALU_DEP_1) | instskip(NEXT) | instid1(VALU_DEP_1)
	v_ashrrev_i32_e32 v3, 31, v2
	v_lshlrev_b64 v[0:1], 3, v[2:3]
	s_delay_alu instid0(VALU_DEP_1) | instskip(NEXT) | instid1(VALU_DEP_2)
	v_add_co_u32 v0, vcc_lo, s100, v0
	v_add_co_ci_u32_e32 v1, vcc_lo, s101, v1, vcc_lo
	global_load_b64 v[0:1], v[0:1], off
	s_waitcnt vmcnt(0)
	v_cvt_f16_f32_e32 v0, v0
	v_cvt_f16_f32_e32 v1, v1
	s_delay_alu instid0(VALU_DEP_1) | instskip(NEXT) | instid1(VALU_DEP_1)
	v_pack_b32_f16 v0, v0, v1
	v_pk_mul_f16 v0, v152, v0
	ds_store_b32 v178, v0
.LBB9_19:                               ;   in Loop: Header=BB9_12 Depth=1
	s_or_b32 exec_lo, exec_lo, s4
	v_add_nc_u32_e32 v1, s103, v150
	v_or_b32_e32 v0, s86, v153
	s_delay_alu instid0(VALU_DEP_2) | instskip(NEXT) | instid1(VALU_DEP_2)
	v_cmp_le_i32_e32 vcc_lo, s8, v1
	v_cmp_le_i32_e64 s4, s33, v0
	s_delay_alu instid0(VALU_DEP_1) | instskip(NEXT) | instid1(SALU_CYCLE_1)
	s_or_b32 s4, vcc_lo, s4
	s_and_saveexec_b32 s6, s4
	s_delay_alu instid0(SALU_CYCLE_1)
	s_xor_b32 s4, exec_lo, s6
	s_cbranch_execz .LBB9_21
; %bb.20:                               ;   in Loop: Header=BB9_12 Depth=1
	ds_store_b32 v178, v202 offset:352
                                        ; implicit-def: $vgpr1
.LBB9_21:                               ;   in Loop: Header=BB9_12 Depth=1
	s_and_not1_saveexec_b32 s4, s4
	s_cbranch_execz .LBB9_23
; %bb.22:                               ;   in Loop: Header=BB9_12 Depth=1
	v_mad_u64_u32 v[2:3], null, v1, s51, v[138:139]
	s_delay_alu instid0(VALU_DEP_1) | instskip(NEXT) | instid1(VALU_DEP_1)
	v_ashrrev_i32_e32 v3, 31, v2
	v_lshlrev_b64 v[0:1], 3, v[2:3]
	s_delay_alu instid0(VALU_DEP_1) | instskip(NEXT) | instid1(VALU_DEP_2)
	v_add_co_u32 v0, vcc_lo, s100, v0
	v_add_co_ci_u32_e32 v1, vcc_lo, s101, v1, vcc_lo
	global_load_b64 v[0:1], v[0:1], off
	s_waitcnt vmcnt(0)
	v_cvt_f16_f32_e32 v0, v0
	v_cvt_f16_f32_e32 v1, v1
	s_delay_alu instid0(VALU_DEP_1) | instskip(NEXT) | instid1(VALU_DEP_1)
	v_pack_b32_f16 v0, v0, v1
	v_pk_mul_f16 v0, v152, v0
	ds_store_b32 v178, v0 offset:352
.LBB9_23:                               ;   in Loop: Header=BB9_12 Depth=1
	s_or_b32 exec_lo, exec_lo, s4
	v_add_nc_u32_e32 v1, s103, v154
	v_or_b32_e32 v0, s86, v155
	s_delay_alu instid0(VALU_DEP_2) | instskip(NEXT) | instid1(VALU_DEP_2)
	v_cmp_le_i32_e32 vcc_lo, s8, v1
	v_cmp_le_i32_e64 s4, s33, v0
	s_delay_alu instid0(VALU_DEP_1) | instskip(NEXT) | instid1(SALU_CYCLE_1)
	s_or_b32 s4, vcc_lo, s4
	s_and_saveexec_b32 s6, s4
	s_delay_alu instid0(SALU_CYCLE_1)
	s_xor_b32 s4, exec_lo, s6
	s_cbranch_execz .LBB9_25
; %bb.24:                               ;   in Loop: Header=BB9_12 Depth=1
	ds_store_b32 v178, v202 offset:704
                                        ; implicit-def: $vgpr1
.LBB9_25:                               ;   in Loop: Header=BB9_12 Depth=1
	s_and_not1_saveexec_b32 s4, s4
	s_cbranch_execz .LBB9_27
; %bb.26:                               ;   in Loop: Header=BB9_12 Depth=1
	v_mad_u64_u32 v[2:3], null, v1, s51, v[139:140]
	s_delay_alu instid0(VALU_DEP_1) | instskip(NEXT) | instid1(VALU_DEP_1)
	v_ashrrev_i32_e32 v3, 31, v2
	v_lshlrev_b64 v[0:1], 3, v[2:3]
	s_delay_alu instid0(VALU_DEP_1) | instskip(NEXT) | instid1(VALU_DEP_2)
	v_add_co_u32 v0, vcc_lo, s100, v0
	v_add_co_ci_u32_e32 v1, vcc_lo, s101, v1, vcc_lo
	global_load_b64 v[0:1], v[0:1], off
	s_waitcnt vmcnt(0)
	v_cvt_f16_f32_e32 v0, v0
	v_cvt_f16_f32_e32 v1, v1
	s_delay_alu instid0(VALU_DEP_1) | instskip(NEXT) | instid1(VALU_DEP_1)
	v_pack_b32_f16 v0, v0, v1
	v_pk_mul_f16 v0, v152, v0
	ds_store_b32 v178, v0 offset:704
.LBB9_27:                               ;   in Loop: Header=BB9_12 Depth=1
	;; [unrolled: 35-line block ×3, first 2 shown]
	s_or_b32 exec_lo, exec_lo, s4
	v_add_nc_u32_e32 v1, s103, v160
	s_delay_alu instid0(VALU_DEP_1) | instskip(SKIP_1) | instid1(SALU_CYCLE_1)
	v_cmp_le_i32_e32 vcc_lo, s8, v1
	s_or_b32 s4, vcc_lo, s5
	s_and_saveexec_b32 s5, s4
	s_delay_alu instid0(SALU_CYCLE_1)
	s_xor_b32 s4, exec_lo, s5
	s_cbranch_execz .LBB9_33
; %bb.32:                               ;   in Loop: Header=BB9_12 Depth=1
	ds_store_b32 v178, v202 offset:1408
                                        ; implicit-def: $vgpr1
.LBB9_33:                               ;   in Loop: Header=BB9_12 Depth=1
	s_and_not1_saveexec_b32 s4, s4
	s_cbranch_execz .LBB9_35
; %bb.34:                               ;   in Loop: Header=BB9_12 Depth=1
	v_mad_u64_u32 v[2:3], null, v1, s51, v[137:138]
	s_delay_alu instid0(VALU_DEP_1) | instskip(NEXT) | instid1(VALU_DEP_1)
	v_ashrrev_i32_e32 v3, 31, v2
	v_lshlrev_b64 v[0:1], 3, v[2:3]
	s_delay_alu instid0(VALU_DEP_1) | instskip(NEXT) | instid1(VALU_DEP_2)
	v_add_co_u32 v0, vcc_lo, s100, v0
	v_add_co_ci_u32_e32 v1, vcc_lo, s101, v1, vcc_lo
	global_load_b64 v[0:1], v[0:1], off
	s_waitcnt vmcnt(0)
	v_cvt_f16_f32_e32 v0, v0
	v_cvt_f16_f32_e32 v1, v1
	s_delay_alu instid0(VALU_DEP_1) | instskip(NEXT) | instid1(VALU_DEP_1)
	v_pack_b32_f16 v0, v0, v1
	v_pk_mul_f16 v0, v152, v0
	ds_store_b32 v178, v0 offset:1408
.LBB9_35:                               ;   in Loop: Header=BB9_12 Depth=1
	s_or_b32 exec_lo, exec_lo, s4
	v_add_nc_u32_e32 v1, s103, v120
	v_or_b32_e32 v0, s86, v135
	s_delay_alu instid0(VALU_DEP_2) | instskip(NEXT) | instid1(VALU_DEP_2)
	v_cmp_le_i32_e32 vcc_lo, s8, v1
	v_cmp_le_i32_e64 s4, s33, v0
	s_delay_alu instid0(VALU_DEP_1) | instskip(NEXT) | instid1(SALU_CYCLE_1)
	s_or_b32 s4, vcc_lo, s4
	s_and_saveexec_b32 s5, s4
	s_delay_alu instid0(SALU_CYCLE_1)
	s_xor_b32 s4, exec_lo, s5
	s_cbranch_execz .LBB9_37
; %bb.36:                               ;   in Loop: Header=BB9_12 Depth=1
	ds_store_b32 v178, v202 offset:1760
                                        ; implicit-def: $vgpr1
.LBB9_37:                               ;   in Loop: Header=BB9_12 Depth=1
	s_and_not1_saveexec_b32 s4, s4
	s_cbranch_execz .LBB9_39
; %bb.38:                               ;   in Loop: Header=BB9_12 Depth=1
	v_mad_u64_u32 v[2:3], null, v1, s51, v[141:142]
	s_delay_alu instid0(VALU_DEP_1) | instskip(NEXT) | instid1(VALU_DEP_1)
	v_ashrrev_i32_e32 v3, 31, v2
	v_lshlrev_b64 v[0:1], 3, v[2:3]
	s_delay_alu instid0(VALU_DEP_1) | instskip(NEXT) | instid1(VALU_DEP_2)
	v_add_co_u32 v0, vcc_lo, s100, v0
	v_add_co_ci_u32_e32 v1, vcc_lo, s101, v1, vcc_lo
	global_load_b64 v[0:1], v[0:1], off
	s_waitcnt vmcnt(0)
	v_cvt_f16_f32_e32 v0, v0
	v_cvt_f16_f32_e32 v1, v1
	s_delay_alu instid0(VALU_DEP_1) | instskip(NEXT) | instid1(VALU_DEP_1)
	v_pack_b32_f16 v0, v0, v1
	v_pk_mul_f16 v0, v152, v0
	ds_store_b32 v178, v0 offset:1760
.LBB9_39:                               ;   in Loop: Header=BB9_12 Depth=1
	s_or_b32 exec_lo, exec_lo, s4
	v_add_nc_u32_e32 v1, s103, v96
	v_or_b32_e32 v0, s86, v97
	s_delay_alu instid0(VALU_DEP_2) | instskip(NEXT) | instid1(VALU_DEP_2)
	v_cmp_le_i32_e32 vcc_lo, s8, v1
	v_cmp_le_i32_e64 s4, s33, v0
	s_delay_alu instid0(VALU_DEP_1) | instskip(NEXT) | instid1(SALU_CYCLE_1)
	;; [unrolled: 35-line block ×3, first 2 shown]
	s_or_b32 s4, vcc_lo, s4
	s_and_saveexec_b32 s5, s4
	s_delay_alu instid0(SALU_CYCLE_1)
	s_xor_b32 s4, exec_lo, s5
	s_cbranch_execz .LBB9_45
; %bb.44:                               ;   in Loop: Header=BB9_12 Depth=1
	ds_store_b32 v178, v202 offset:2464
                                        ; implicit-def: $vgpr1
.LBB9_45:                               ;   in Loop: Header=BB9_12 Depth=1
	s_and_not1_saveexec_b32 s4, s4
	s_cbranch_execz .LBB9_47
; %bb.46:                               ;   in Loop: Header=BB9_12 Depth=1
	v_mad_u64_u32 v[2:3], null, v1, s51, v[143:144]
	s_delay_alu instid0(VALU_DEP_1) | instskip(NEXT) | instid1(VALU_DEP_1)
	v_ashrrev_i32_e32 v3, 31, v2
	v_lshlrev_b64 v[0:1], 3, v[2:3]
	s_delay_alu instid0(VALU_DEP_1) | instskip(NEXT) | instid1(VALU_DEP_2)
	v_add_co_u32 v0, vcc_lo, s100, v0
	v_add_co_ci_u32_e32 v1, vcc_lo, s101, v1, vcc_lo
	global_load_b64 v[0:1], v[0:1], off
	s_waitcnt vmcnt(0)
	v_cvt_f16_f32_e32 v0, v0
	v_cvt_f16_f32_e32 v1, v1
	s_delay_alu instid0(VALU_DEP_1) | instskip(NEXT) | instid1(VALU_DEP_1)
	v_pack_b32_f16 v0, v0, v1
	v_pk_mul_f16 v0, v152, v0
	ds_store_b32 v178, v0 offset:2464
.LBB9_47:                               ;   in Loop: Header=BB9_12 Depth=1
	s_or_b32 exec_lo, exec_lo, s4
	v_or_b32_e32 v0, s86, v181
	v_add_nc_u32_e32 v1, s103, v180
	s_delay_alu instid0(VALU_DEP_2) | instskip(NEXT) | instid1(VALU_DEP_2)
	v_cmp_gt_i32_e32 vcc_lo, s33, v0
	v_cmp_le_i32_e64 s4, s8, v1
	s_xor_b32 s5, vcc_lo, -1
	s_delay_alu instid0(VALU_DEP_1) | instid1(SALU_CYCLE_1)
	s_or_b32 s4, s4, s5
	s_delay_alu instid0(SALU_CYCLE_1) | instskip(NEXT) | instid1(SALU_CYCLE_1)
	s_and_saveexec_b32 s6, s4
	s_xor_b32 s4, exec_lo, s6
	s_cbranch_execz .LBB9_49
; %bb.48:                               ;   in Loop: Header=BB9_12 Depth=1
	ds_store_b32 v183, v202 offset:128
                                        ; implicit-def: $vgpr1
.LBB9_49:                               ;   in Loop: Header=BB9_12 Depth=1
	s_and_not1_saveexec_b32 s4, s4
	s_cbranch_execz .LBB9_51
; %bb.50:                               ;   in Loop: Header=BB9_12 Depth=1
	v_mad_u64_u32 v[2:3], null, v1, s51, v[119:120]
	s_delay_alu instid0(VALU_DEP_1) | instskip(NEXT) | instid1(VALU_DEP_1)
	v_ashrrev_i32_e32 v3, 31, v2
	v_lshlrev_b64 v[0:1], 3, v[2:3]
	s_delay_alu instid0(VALU_DEP_1) | instskip(NEXT) | instid1(VALU_DEP_2)
	v_add_co_u32 v0, vcc_lo, s100, v0
	v_add_co_ci_u32_e32 v1, vcc_lo, s101, v1, vcc_lo
	global_load_b64 v[0:1], v[0:1], off
	s_waitcnt vmcnt(0)
	v_cvt_f16_f32_e32 v0, v0
	v_cvt_f16_f32_e32 v1, v1
	s_delay_alu instid0(VALU_DEP_1) | instskip(NEXT) | instid1(VALU_DEP_1)
	v_pack_b32_f16 v0, v0, v1
	v_pk_mul_f16 v0, v152, v0
	ds_store_b32 v183, v0 offset:128
.LBB9_51:                               ;   in Loop: Header=BB9_12 Depth=1
	s_or_b32 exec_lo, exec_lo, s4
	v_add_nc_u32_e32 v1, s103, v184
	s_delay_alu instid0(VALU_DEP_1) | instskip(SKIP_1) | instid1(SALU_CYCLE_1)
	v_cmp_le_i32_e32 vcc_lo, s8, v1
	s_or_b32 s4, vcc_lo, s5
	s_and_saveexec_b32 s5, s4
	s_delay_alu instid0(SALU_CYCLE_1)
	s_xor_b32 s4, exec_lo, s5
	s_cbranch_execz .LBB9_53
; %bb.52:                               ;   in Loop: Header=BB9_12 Depth=1
	ds_store_b32 v183, v202 offset:1536
                                        ; implicit-def: $vgpr1
.LBB9_53:                               ;   in Loop: Header=BB9_12 Depth=1
	s_and_not1_saveexec_b32 s4, s4
	s_cbranch_execz .LBB9_55
; %bb.54:                               ;   in Loop: Header=BB9_12 Depth=1
	v_mad_u64_u32 v[2:3], null, v1, s51, v[119:120]
	s_delay_alu instid0(VALU_DEP_1) | instskip(NEXT) | instid1(VALU_DEP_1)
	v_ashrrev_i32_e32 v3, 31, v2
	v_lshlrev_b64 v[0:1], 3, v[2:3]
	s_delay_alu instid0(VALU_DEP_1) | instskip(NEXT) | instid1(VALU_DEP_2)
	v_add_co_u32 v0, vcc_lo, s100, v0
	v_add_co_ci_u32_e32 v1, vcc_lo, s101, v1, vcc_lo
	global_load_b64 v[0:1], v[0:1], off
	s_waitcnt vmcnt(0)
	v_cvt_f16_f32_e32 v0, v0
	v_cvt_f16_f32_e32 v1, v1
	s_delay_alu instid0(VALU_DEP_1) | instskip(NEXT) | instid1(VALU_DEP_1)
	v_pack_b32_f16 v0, v0, v1
	v_pk_mul_f16 v0, v152, v0
	ds_store_b32 v183, v0 offset:1536
.LBB9_55:                               ;   in Loop: Header=BB9_12 Depth=1
	s_or_b32 exec_lo, exec_lo, s4
	v_dual_mov_b32 v15, 0 :: v_dual_add_nc_u32 v0, v163, v227
	s_waitcnt lgkmcnt(0)
	s_waitcnt_vscnt null, 0x0
	s_barrier
	buffer_gl0_inv
	ds_load_b128 v[56:59], v0
	ds_load_b128 v[60:63], v0 offset:16
	ds_load_b128 v[48:51], v0 offset:32
	;; [unrolled: 1-line block ×9, first 2 shown]
	v_mov_b32_e32 v191, 0xfeffffff
	s_add_i32 s104, s92, -1
	s_waitcnt lgkmcnt(0)
	s_cmp_le_i32 s104, s102
	s_barrier
	buffer_gl0_inv
	s_cbranch_scc1 .LBB9_61
; %bb.56:                               ;   in Loop: Header=BB9_12 Depth=1
	v_dual_mov_b32 v215, 0 :: v_dual_add_nc_u32 v0, s89, v148
	v_lshlrev_b32_e32 v2, 1, v164
	v_mov_b32_e32 v40, 0
	v_mov_b32_e32 v16, 0
	s_delay_alu instid0(VALU_DEP_4) | instskip(SKIP_3) | instid1(VALU_DEP_4)
	v_lshl_add_u32 v0, v0, 1, v162
	v_mov_b32_e32 v37, v215
	v_dual_mov_b32 v33, v215 :: v_dual_mov_b32 v24, 0
	v_mov_b32_e32 v39, v215
	v_mul_hi_u32 v1, s12, v0
	v_dual_mov_b32 v32, 0 :: v_dual_mov_b32 v35, v215
	v_dual_mov_b32 v36, v215 :: v_dual_mov_b32 v123, 0xfeffffff
	v_mov_b32_e32 v38, v215
	v_dual_mov_b32 v41, v215 :: v_dual_mov_b32 v8, 0
	v_dual_mov_b32 v42, v215 :: v_dual_add_nc_u32 v1, v0, v1
	v_mov_b32_e32 v43, v215
	v_mov_b32_e32 v44, v215
	;; [unrolled: 1-line block ×3, first 2 shown]
	s_delay_alu instid0(VALU_DEP_4)
	v_lshrrev_b32_e32 v1, s13, v1
	v_mov_b32_e32 v46, v215
	v_mov_b32_e32 v47, v215
	;; [unrolled: 1-line block ×4, first 2 shown]
	v_mul_lo_u32 v1, v1, s8
	v_mov_b32_e32 v19, v215
	v_mov_b32_e32 v20, v215
	;; [unrolled: 1-line block ×7, first 2 shown]
	v_sub_nc_u32_e32 v3, v0, v1
	v_mov_b32_e32 v27, v215
	v_mov_b32_e32 v28, v215
	;; [unrolled: 1-line block ×4, first 2 shown]
	v_mad_i64_i32 v[0:1], null, v3, s40, 0
	v_mov_b32_e32 v31, v215
	v_mov_b32_e32 v9, v215
	;; [unrolled: 1-line block ×6, first 2 shown]
	v_lshlrev_b64 v[0:1], 1, v[0:1]
	v_mov_b32_e32 v14, v215
	v_mov_b32_e32 v15, v215
	s_lshl_b32 s66, s102, 5
	s_delay_alu instid0(VALU_DEP_3) | instskip(NEXT) | instid1(VALU_DEP_4)
	v_add_co_u32 v0, vcc_lo, v201, v0
	v_add_co_ci_u32_e32 v1, vcc_lo, v197, v1, vcc_lo
	s_delay_alu instid0(VALU_DEP_2) | instskip(SKIP_1) | instid1(VALU_DEP_3)
	v_add_co_u32 v124, vcc_lo, v0, v2
	v_xor_b32_e32 v0, 16, v200
	v_add_co_ci_u32_e32 v126, vcc_lo, 0, v1, vcc_lo
	s_delay_alu instid0(VALU_DEP_2) | instskip(NEXT) | instid1(VALU_DEP_1)
	v_cmp_gt_i32_e64 s4, 32, v0
	v_cndmask_b32_e64 v0, v200, v0, s4
	s_delay_alu instid0(VALU_DEP_1)
	v_dual_mov_b32 v34, v215 :: v_dual_lshlrev_b32 v125, 2, v0
	s_ashr_i32 s67, s66, 31
	s_and_saveexec_b32 s4, s0
	s_cbranch_execz .LBB9_58
.LBB9_57:                               ;   in Loop: Header=BB9_12 Depth=1
	s_lshl_b64 s[6:7], s[66:67], 1
	s_delay_alu instid0(SALU_CYCLE_1)
	v_add_co_u32 v0, vcc_lo, v124, s6
	v_add_co_ci_u32_e32 v1, vcc_lo, s7, v126, vcc_lo
	global_load_b32 v0, v[0:1], off
	s_waitcnt vmcnt(0)
	ds_store_b32 v166, v0 offset:5632
.LBB9_58:                               ;   Parent Loop BB9_12 Depth=1
                                        ; =>  This Inner Loop Header: Depth=2
	s_or_b32 exec_lo, exec_lo, s4
	s_mul_hi_i32 s5, s66, s34
	s_mul_i32 s4, s66, s34
	v_dual_mov_b32 v203, v202 :: v_dual_lshlrev_b32 v88, 2, v165
	s_lshl_b64 s[4:5], s[4:5], 2
	v_dual_mov_b32 v205, v202 :: v_dual_lshlrev_b32 v136, 2, v168
	s_add_u32 s4, s90, s4
	s_addc_u32 s5, s91, s5
	v_add_co_u32 v0, vcc_lo, s4, v100
	v_add_co_ci_u32_e32 v2, vcc_lo, s5, v101, vcc_lo
	v_mov_b32_e32 v204, v202
	s_delay_alu instid0(VALU_DEP_3) | instskip(NEXT) | instid1(VALU_DEP_3)
	v_add_co_u32 v1, vcc_lo, v0, v88
	v_add_co_ci_u32_e32 v2, vcc_lo, 0, v2, vcc_lo
	v_add_co_u32 v0, vcc_lo, s4, v111
	v_add_co_ci_u32_e32 v3, vcc_lo, s5, v112, vcc_lo
	v_mov_b32_e32 v206, v202
	s_delay_alu instid0(VALU_DEP_3) | instskip(NEXT) | instid1(VALU_DEP_3)
	v_add_co_u32 v4, vcc_lo, v0, v136
	v_add_co_ci_u32_e32 v5, vcc_lo, 0, v3, vcc_lo
	s_clause 0x1
	global_load_b128 v[0:3], v[1:2], off offset:128
	global_load_b128 v[4:7], v[4:5], off
	v_mov_b32_e32 v207, v202
	v_mov_b32_e32 v208, v202
	;; [unrolled: 1-line block ×3, first 2 shown]
	v_dual_mov_b32 v127, v202 :: v_dual_mov_b32 v128, v203
	v_dual_mov_b32 v129, v204 :: v_dual_mov_b32 v130, v205
	v_dual_mov_b32 v131, v206 :: v_dual_mov_b32 v132, v207
	s_delay_alu instid0(VALU_DEP_4) | instskip(SKIP_4) | instid1(VALU_DEP_2)
	v_dual_mov_b32 v133, v208 :: v_dual_mov_b32 v134, v209
	s_waitcnt vmcnt(1)
	ds_store_b128 v167, v[0:3]
	v_add_co_u32 v0, vcc_lo, s4, v113
	v_add_co_ci_u32_e32 v1, vcc_lo, s5, v114, vcc_lo
	v_add_co_u32 v0, vcc_lo, v0, v136
	s_delay_alu instid0(VALU_DEP_2) | instskip(SKIP_2) | instid1(VALU_DEP_2)
	v_add_co_ci_u32_e32 v1, vcc_lo, 0, v1, vcc_lo
	v_add_co_u32 v2, vcc_lo, s4, v115
	v_add_co_ci_u32_e32 v3, vcc_lo, s5, v116, vcc_lo
	v_add_co_u32 v89, vcc_lo, v2, v136
	s_delay_alu instid0(VALU_DEP_2)
	v_add_co_ci_u32_e32 v90, vcc_lo, 0, v3, vcc_lo
	s_clause 0x1
	global_load_b128 v[0:3], v[0:1], off
	global_load_b128 v[89:92], v[89:90], off
	s_waitcnt vmcnt(2)
	ds_store_b128 v182, v[4:7]
	s_waitcnt vmcnt(1)
	ds_store_b128 v233, v[0:3]
	v_add_co_u32 v0, vcc_lo, s4, v117
	v_add_co_ci_u32_e32 v1, vcc_lo, s5, v118, vcc_lo
	s_mul_hi_i32 s5, s66, s10
	s_delay_alu instid0(VALU_DEP_2) | instskip(NEXT) | instid1(VALU_DEP_2)
	v_add_co_u32 v0, vcc_lo, v0, v136
	v_add_co_ci_u32_e32 v1, vcc_lo, 0, v1, vcc_lo
	s_mul_i32 s4, s66, s10
	s_delay_alu instid0(SALU_CYCLE_1)
	s_lshl_b64 s[6:7], s[4:5], 2
	global_load_b128 v[0:3], v[0:1], off
	s_add_u32 s5, s87, s6
	s_addc_u32 s4, s88, s7
	v_cmp_eq_u32_e64 s6, 1, v162
	s_add_i32 s102, s102, 1
	s_add_i32 s66, s66, 32
	s_cmp_lt_i32 s102, s104
	s_waitcnt vmcnt(1)
	ds_store_b128 v234, v[89:92]
	s_waitcnt vmcnt(0)
	ds_store_b128 v235, v[0:3]
	s_waitcnt lgkmcnt(0)
	s_barrier
	buffer_gl0_inv
	ds_load_b128 v[0:3], v169
	ds_load_b128 v[4:7], v169 offset:16
	s_waitcnt lgkmcnt(0)
	v_wmma_f32_16x16x16_f16 v[127:134], v[0:7], v[56:63], v[127:134]
	ds_load_b128 v[0:3], v169 offset:32
	ds_load_b128 v[4:7], v169 offset:48
	s_waitcnt lgkmcnt(0)
	v_wmma_f32_16x16x16_f16 v[127:134], v[0:7], v[48:55], v[127:134]
	ds_load_b128 v[0:3], v169 offset:64
	;; [unrolled: 4-line block ×4, first 2 shown]
	ds_load_b128 v[4:7], v169 offset:144
	s_waitcnt lgkmcnt(0)
	s_barrier
	buffer_gl0_inv
	v_wmma_f32_16x16x16_f16 v[127:134], v[0:7], v[80:87], v[127:134]
	ds_load_u16 v0, v170 offset:5632
	ds_load_u16 v1, v170 offset:5636
	;; [unrolled: 1-line block ×8, first 2 shown]
	s_waitcnt lgkmcnt(7)
	v_cvt_f32_f16_e32 v0, v0
	s_waitcnt lgkmcnt(6)
	v_cvt_f32_f16_e32 v1, v1
	;; [unrolled: 2-line block ×8, first 2 shown]
	v_dual_add_f32 v185, v130, v3 :: v_dual_add_f32 v6, v131, v4
	v_add_co_u32 v4, vcc_lo, s5, v98
	v_add_f32_e32 v3, v132, v5
	v_add_co_ci_u32_e32 v5, vcc_lo, s4, v99, vcc_lo
	s_delay_alu instid0(VALU_DEP_3) | instskip(SKIP_1) | instid1(VALU_DEP_3)
	v_add_co_u32 v4, vcc_lo, v4, v88
	v_add_f32_e32 v147, v128, v1
	v_add_co_ci_u32_e32 v5, vcc_lo, 0, v5, vcc_lo
	v_add_f32_e32 v156, v129, v2
	v_dual_add_f32 v2, v133, v89 :: v_dual_add_f32 v1, v134, v7
	v_add_co_u32 v7, vcc_lo, s5, v102
	v_add_co_ci_u32_e32 v88, vcc_lo, s4, v103, vcc_lo
	v_add_f32_e32 v0, v127, v0
	s_delay_alu instid0(VALU_DEP_3) | instskip(NEXT) | instid1(VALU_DEP_3)
	v_add_co_u32 v92, vcc_lo, v7, v136
	v_add_co_ci_u32_e32 v93, vcc_lo, 0, v88, vcc_lo
	s_clause 0x1
	global_load_b128 v[88:91], v[4:5], off offset:128
	global_load_b128 v[92:95], v[92:93], off
	v_add_co_u32 v4, vcc_lo, s5, v104
	v_add_co_ci_u32_e32 v5, vcc_lo, s4, v105, vcc_lo
	s_delay_alu instid0(VALU_DEP_2) | instskip(NEXT) | instid1(VALU_DEP_2)
	v_add_co_u32 v4, vcc_lo, v4, v136
	v_add_co_ci_u32_e32 v5, vcc_lo, 0, v5, vcc_lo
	v_add_co_u32 v7, vcc_lo, s5, v106
	s_waitcnt vmcnt(1)
	ds_store_b128 v167, v[88:91]
	v_add_co_ci_u32_e32 v88, vcc_lo, s4, v107, vcc_lo
	v_add_co_u32 v127, vcc_lo, v7, v136
	v_add_f32_e32 v7, 0x40051340, v185
	s_delay_alu instid0(VALU_DEP_3)
	v_add_co_ci_u32_e32 v128, vcc_lo, 0, v88, vcc_lo
	s_clause 0x1
	global_load_b128 v[88:91], v[4:5], off
	global_load_b128 v[127:130], v[127:128], off
	v_add_co_u32 v4, vcc_lo, s5, v109
	v_add_co_ci_u32_e32 v5, vcc_lo, s4, v110, vcc_lo
	s_waitcnt vmcnt(2)
	ds_store_b128 v182, v[92:95]
	s_waitcnt vmcnt(1)
	ds_store_b128 v233, v[88:91]
	v_add_co_u32 v4, vcc_lo, v4, v136
	v_add_co_ci_u32_e32 v5, vcc_lo, 0, v5, vcc_lo
	v_cmp_eq_u32_e64 s5, 0, v162
	global_load_b128 v[88:91], v[4:5], off
	v_dual_add_f32 v4, 0x40051340, v0 :: v_dual_add_f32 v5, 0x40051340, v147
	s_waitcnt vmcnt(1)
	ds_store_b128 v234, v[127:130]
	s_waitcnt vmcnt(0)
	ds_store_b128 v235, v[88:91]
	v_max3_f32 v4, v123, v4, v5
	v_add_f32_e32 v5, 0x40051340, v156
	s_waitcnt lgkmcnt(0)
	s_barrier
	buffer_gl0_inv
	v_max3_f32 v4, v4, v5, v7
	v_add_f32_e32 v5, 0x40051340, v6
	v_add_f32_e32 v7, 0x40051340, v3
	s_delay_alu instid0(VALU_DEP_1) | instskip(SKIP_2) | instid1(VALU_DEP_1)
	v_max3_f32 v4, v4, v5, v7
	v_add_f32_e32 v5, 0x40051340, v2
	v_add_f32_e32 v7, 0x40051340, v1
	v_max3_f32 v4, v4, v5, v7
	ds_bpermute_b32 v5, v125, v4
	s_waitcnt lgkmcnt(0)
	v_max_f32_e32 v5, v5, v5
	s_delay_alu instid0(VALU_DEP_1) | instskip(NEXT) | instid1(VALU_DEP_1)
	v_max_f32_e32 v191, v4, v5
	v_sub_f32_e32 v4, v147, v191
	s_delay_alu instid0(VALU_DEP_1) | instskip(SKIP_1) | instid1(VALU_DEP_2)
	v_dual_sub_f32 v0, v0, v191 :: v_dual_mul_f32 v5, 0x3fb8aa3b, v4
	v_cmp_ngt_f32_e32 vcc_lo, 0xc2ce8ed0, v4
	v_cmp_ngt_f32_e64 s4, 0xc2ce8ed0, v0
	s_delay_alu instid0(VALU_DEP_3) | instskip(SKIP_1) | instid1(VALU_DEP_2)
	v_fma_f32 v7, 0x3fb8aa3b, v4, -v5
	v_rndne_f32_e32 v88, v5
	v_fmac_f32_e32 v7, 0x32a5705f, v4
	s_delay_alu instid0(VALU_DEP_2) | instskip(SKIP_1) | instid1(VALU_DEP_2)
	v_sub_f32_e32 v5, v5, v88
	v_cvt_i32_f32_e32 v88, v88
	v_add_f32_e32 v5, v5, v7
	v_mul_f32_e32 v7, 0x3fb8aa3b, v0
	s_delay_alu instid0(VALU_DEP_2) | instskip(NEXT) | instid1(VALU_DEP_1)
	v_exp_f32_e32 v5, v5
	v_fma_f32 v89, 0x3fb8aa3b, v0, -v7
	v_rndne_f32_e32 v90, v7
	s_delay_alu instid0(VALU_DEP_1) | instskip(SKIP_3) | instid1(VALU_DEP_2)
	v_sub_f32_e32 v7, v7, v90
	s_waitcnt_depctr 0xfff
	v_ldexp_f32 v5, v5, v88
	v_cvt_i32_f32_e32 v88, v90
	v_cndmask_b32_e32 v5, 0, v5, vcc_lo
	v_cmp_nlt_f32_e32 vcc_lo, 0x42b17218, v4
	s_delay_alu instid0(VALU_DEP_2) | instskip(SKIP_2) | instid1(VALU_DEP_1)
	v_cndmask_b32_e32 v5, 0x7f800000, v5, vcc_lo
	v_cmp_eq_u32_e32 vcc_lo, 1, v236
	v_fmac_f32_e32 v89, 0x32a5705f, v0
	v_add_f32_e32 v7, v7, v89
	s_delay_alu instid0(VALU_DEP_1)
	v_exp_f32_e32 v7, v7
	s_waitcnt_depctr 0xfff
	v_ldexp_f32 v7, v7, v88
	ds_bpermute_b32 v88, v125, v5
	v_cndmask_b32_e64 v4, 0, v7, s4
	v_cmp_nlt_f32_e64 s4, 0x42b17218, v0
	s_delay_alu instid0(VALU_DEP_1)
	v_cndmask_b32_e64 v4, 0x7f800000, v4, s4
	v_cmp_eq_u32_e64 s4, 0, v236
	ds_bpermute_b32 v0, v125, v4
	s_waitcnt lgkmcnt(0)
	v_cndmask_b32_e32 v7, v4, v0, vcc_lo
	v_cndmask_b32_e64 v0, v4, v0, s4
	s_delay_alu instid0(VALU_DEP_1) | instskip(SKIP_1) | instid1(VALU_DEP_2)
	v_cndmask_b32_e64 v89, v0, v5, s5
	v_cvt_f16_f32_e32 v0, v0
	v_cndmask_b32_e64 v90, v89, v88, s4
	v_cndmask_b32_e64 v89, v7, v5, s6
	v_cvt_f16_f32_e32 v7, v7
	s_delay_alu instid0(VALU_DEP_2) | instskip(NEXT) | instid1(VALU_DEP_2)
	v_cndmask_b32_e32 v91, v89, v88, vcc_lo
	v_pack_b32_f16 v88, v0, v7
	v_sub_f32_e32 v0, v156, v191
	v_cvt_f16_f32_e32 v89, v90
	s_delay_alu instid0(VALU_DEP_4) | instskip(NEXT) | instid1(VALU_DEP_3)
	v_cvt_f16_f32_e32 v92, v91
	v_mul_f32_e32 v7, 0x3fb8aa3b, v0
	v_cmp_ngt_f32_e64 s7, 0xc2ce8ed0, v0
	s_delay_alu instid0(VALU_DEP_3) | instskip(NEXT) | instid1(VALU_DEP_3)
	v_pack_b32_f16 v89, v89, v92
	v_fma_f32 v92, 0x3fb8aa3b, v0, -v7
	v_rndne_f32_e32 v93, v7
	s_delay_alu instid0(VALU_DEP_1) | instskip(NEXT) | instid1(VALU_DEP_1)
	v_dual_fmac_f32 v92, 0x32a5705f, v0 :: v_dual_sub_f32 v7, v7, v93
	v_add_f32_e32 v7, v7, v92
	v_cvt_i32_f32_e32 v92, v93
	s_delay_alu instid0(VALU_DEP_2) | instskip(SKIP_2) | instid1(VALU_DEP_1)
	v_exp_f32_e32 v7, v7
	s_waitcnt_depctr 0xfff
	v_ldexp_f32 v7, v7, v92
	v_cndmask_b32_e64 v7, 0, v7, s7
	v_cmp_nlt_f32_e64 s7, 0x42b17218, v0
	s_delay_alu instid0(VALU_DEP_1) | instskip(NEXT) | instid1(VALU_DEP_1)
	v_cndmask_b32_e64 v7, 0x7f800000, v7, s7
	v_cndmask_b32_e64 v0, v91, v7, s6
	ds_bpermute_b32 v91, v125, v7
	v_cndmask_b32_e64 v90, v90, v7, s5
	s_waitcnt lgkmcnt(0)
	s_delay_alu instid0(VALU_DEP_1) | instskip(SKIP_1) | instid1(VALU_DEP_2)
	v_cndmask_b32_e64 v92, v90, v91, s4
	v_cndmask_b32_e32 v0, v0, v91, vcc_lo
	v_cvt_f16_f32_e32 v90, v92
	s_delay_alu instid0(VALU_DEP_2) | instskip(NEXT) | instid1(VALU_DEP_1)
	v_cvt_f16_f32_e32 v91, v0
	v_pack_b32_f16 v90, v90, v91
	v_sub_f32_e32 v91, v185, v191
	s_delay_alu instid0(VALU_DEP_1) | instskip(SKIP_1) | instid1(VALU_DEP_2)
	v_mul_f32_e32 v93, 0x3fb8aa3b, v91
	v_cmp_ngt_f32_e64 s7, 0xc2ce8ed0, v91
	v_fma_f32 v94, 0x3fb8aa3b, v91, -v93
	v_rndne_f32_e32 v95, v93
	s_delay_alu instid0(VALU_DEP_2) | instskip(NEXT) | instid1(VALU_DEP_2)
	v_fmac_f32_e32 v94, 0x32a5705f, v91
	v_sub_f32_e32 v93, v93, v95
	v_sub_f32_e32 v6, v6, v191
	;; [unrolled: 1-line block ×5, first 2 shown]
	v_add_f32_e32 v93, v93, v94
	v_cvt_i32_f32_e32 v94, v95
	s_delay_alu instid0(VALU_DEP_2) | instskip(SKIP_2) | instid1(VALU_DEP_1)
	v_exp_f32_e32 v93, v93
	s_waitcnt_depctr 0xfff
	v_ldexp_f32 v93, v93, v94
	v_cndmask_b32_e64 v93, 0, v93, s7
	v_cmp_nlt_f32_e64 s7, 0x42b17218, v91
	s_delay_alu instid0(VALU_DEP_1) | instskip(SKIP_1) | instid1(VALU_DEP_2)
	v_cndmask_b32_e64 v192, 0x7f800000, v93, s7
	v_cmp_ngt_f32_e64 s7, 0xc2ce8ed0, v6
	v_cndmask_b32_e64 v91, v92, v192, s5
	ds_bpermute_b32 v92, v125, v192
	v_cndmask_b32_e64 v0, v0, v192, s6
	s_waitcnt lgkmcnt(0)
	v_cndmask_b32_e64 v93, v91, v92, s4
	s_delay_alu instid0(VALU_DEP_2) | instskip(NEXT) | instid1(VALU_DEP_2)
	v_cndmask_b32_e32 v0, v0, v92, vcc_lo
	v_cvt_f16_f32_e32 v91, v93
	s_delay_alu instid0(VALU_DEP_2) | instskip(NEXT) | instid1(VALU_DEP_1)
	v_cvt_f16_f32_e32 v92, v0
	v_pack_b32_f16 v91, v91, v92
	v_mul_f32_e32 v92, 0x3fb8aa3b, v6
	s_delay_alu instid0(VALU_DEP_1) | instskip(SKIP_1) | instid1(VALU_DEP_2)
	v_fma_f32 v94, 0x3fb8aa3b, v6, -v92
	v_rndne_f32_e32 v95, v92
	v_fmac_f32_e32 v94, 0x32a5705f, v6
	s_delay_alu instid0(VALU_DEP_2) | instskip(NEXT) | instid1(VALU_DEP_1)
	v_sub_f32_e32 v92, v92, v95
	v_add_f32_e32 v92, v92, v94
	v_cvt_i32_f32_e32 v94, v95
	s_delay_alu instid0(VALU_DEP_2) | instskip(SKIP_2) | instid1(VALU_DEP_1)
	v_exp_f32_e32 v92, v92
	s_waitcnt_depctr 0xfff
	v_ldexp_f32 v92, v92, v94
	v_cndmask_b32_e64 v92, 0, v92, s7
	v_cmp_nlt_f32_e64 s7, 0x42b17218, v6
	s_delay_alu instid0(VALU_DEP_1) | instskip(SKIP_1) | instid1(VALU_DEP_2)
	v_cndmask_b32_e64 v6, 0x7f800000, v92, s7
	v_cmp_ngt_f32_e64 s7, 0xc2ce8ed0, v3
	v_cndmask_b32_e64 v92, v93, v6, s5
	ds_bpermute_b32 v93, v125, v6
	v_cndmask_b32_e64 v0, v0, v6, s6
	s_waitcnt lgkmcnt(0)
	v_cndmask_b32_e64 v94, v92, v93, s4
	s_delay_alu instid0(VALU_DEP_2) | instskip(NEXT) | instid1(VALU_DEP_2)
	v_cndmask_b32_e32 v0, v0, v93, vcc_lo
	v_cvt_f16_f32_e32 v92, v94
	s_delay_alu instid0(VALU_DEP_2) | instskip(NEXT) | instid1(VALU_DEP_1)
	v_cvt_f16_f32_e32 v93, v0
	v_pack_b32_f16 v92, v92, v93
	v_mul_f32_e32 v93, 0x3fb8aa3b, v3
	s_delay_alu instid0(VALU_DEP_1) | instskip(SKIP_1) | instid1(VALU_DEP_2)
	v_fma_f32 v95, 0x3fb8aa3b, v3, -v93
	v_rndne_f32_e32 v127, v93
	v_fmac_f32_e32 v95, 0x32a5705f, v3
	s_delay_alu instid0(VALU_DEP_2) | instskip(NEXT) | instid1(VALU_DEP_1)
	v_sub_f32_e32 v93, v93, v127
	v_add_f32_e32 v93, v93, v95
	v_cvt_i32_f32_e32 v95, v127
	s_delay_alu instid0(VALU_DEP_2) | instskip(SKIP_2) | instid1(VALU_DEP_1)
	v_exp_f32_e32 v93, v93
	s_waitcnt_depctr 0xfff
	v_ldexp_f32 v93, v93, v95
	v_cndmask_b32_e64 v93, 0, v93, s7
	v_cmp_nlt_f32_e64 s7, 0x42b17218, v3
	s_delay_alu instid0(VALU_DEP_1) | instskip(SKIP_1) | instid1(VALU_DEP_2)
	v_cndmask_b32_e64 v3, 0x7f800000, v93, s7
	v_cmp_ngt_f32_e64 s7, 0xc2ce8ed0, v2
	v_cndmask_b32_e64 v93, v94, v3, s5
	ds_bpermute_b32 v94, v125, v3
	v_cndmask_b32_e64 v0, v0, v3, s6
	s_waitcnt lgkmcnt(0)
	v_cndmask_b32_e64 v95, v93, v94, s4
	s_delay_alu instid0(VALU_DEP_2) | instskip(NEXT) | instid1(VALU_DEP_2)
	v_cndmask_b32_e32 v0, v0, v94, vcc_lo
	v_cvt_f16_f32_e32 v93, v95
	s_delay_alu instid0(VALU_DEP_2) | instskip(NEXT) | instid1(VALU_DEP_1)
	v_cvt_f16_f32_e32 v94, v0
	v_pack_b32_f16 v93, v93, v94
	v_mul_f32_e32 v94, 0x3fb8aa3b, v2
	s_delay_alu instid0(VALU_DEP_1) | instskip(SKIP_1) | instid1(VALU_DEP_1)
	v_fma_f32 v127, 0x3fb8aa3b, v2, -v94
	v_rndne_f32_e32 v128, v94
	v_dual_fmac_f32 v127, 0x32a5705f, v2 :: v_dual_sub_f32 v94, v94, v128
	v_add_f32_e32 v4, v4, v5
	s_delay_alu instid0(VALU_DEP_2) | instskip(SKIP_1) | instid1(VALU_DEP_3)
	v_add_f32_e32 v94, v94, v127
	v_cvt_i32_f32_e32 v127, v128
	v_add_f32_e32 v4, v7, v4
	s_delay_alu instid0(VALU_DEP_3) | instskip(NEXT) | instid1(VALU_DEP_1)
	v_exp_f32_e32 v94, v94
	v_add_f32_e32 v4, v192, v4
	s_delay_alu instid0(VALU_DEP_1) | instskip(SKIP_3) | instid1(VALU_DEP_2)
	v_add_f32_e32 v4, v6, v4
	s_waitcnt_depctr 0xfff
	v_ldexp_f32 v94, v94, v127
	v_add_f32_e32 v3, v3, v4
	v_cndmask_b32_e64 v94, 0, v94, s7
	v_cmp_nlt_f32_e64 s7, 0x42b17218, v2
	s_delay_alu instid0(VALU_DEP_1) | instskip(SKIP_1) | instid1(VALU_DEP_2)
	v_cndmask_b32_e64 v2, 0x7f800000, v94, s7
	v_cmp_ngt_f32_e64 s7, 0xc2ce8ed0, v1
	v_cndmask_b32_e64 v94, v95, v2, s5
	ds_bpermute_b32 v95, v125, v2
	v_cndmask_b32_e64 v0, v0, v2, s6
	v_add_f32_e32 v2, v2, v3
	s_waitcnt lgkmcnt(0)
	v_cndmask_b32_e64 v127, v94, v95, s4
	s_delay_alu instid0(VALU_DEP_3) | instskip(NEXT) | instid1(VALU_DEP_2)
	v_cndmask_b32_e32 v0, v0, v95, vcc_lo
	v_cvt_f16_f32_e32 v94, v127
	s_delay_alu instid0(VALU_DEP_2) | instskip(NEXT) | instid1(VALU_DEP_1)
	v_cvt_f16_f32_e32 v95, v0
	v_pack_b32_f16 v94, v94, v95
	v_mul_f32_e32 v95, 0x3fb8aa3b, v1
	s_delay_alu instid0(VALU_DEP_1) | instskip(SKIP_1) | instid1(VALU_DEP_2)
	v_fma_f32 v128, 0x3fb8aa3b, v1, -v95
	v_rndne_f32_e32 v129, v95
	v_fmac_f32_e32 v128, 0x32a5705f, v1
	s_delay_alu instid0(VALU_DEP_2) | instskip(NEXT) | instid1(VALU_DEP_1)
	v_sub_f32_e32 v95, v95, v129
	v_add_f32_e32 v95, v95, v128
	v_cvt_i32_f32_e32 v128, v129
	s_delay_alu instid0(VALU_DEP_2) | instskip(SKIP_2) | instid1(VALU_DEP_1)
	v_exp_f32_e32 v95, v95
	s_waitcnt_depctr 0xfff
	v_ldexp_f32 v95, v95, v128
	v_cndmask_b32_e64 v95, 0, v95, s7
	v_cmp_nlt_f32_e64 s7, 0x42b17218, v1
	s_delay_alu instid0(VALU_DEP_1) | instskip(NEXT) | instid1(VALU_DEP_1)
	v_cndmask_b32_e64 v1, 0x7f800000, v95, s7
	v_cndmask_b32_e64 v95, v127, v1, s5
	ds_bpermute_b32 v127, v125, v1
	v_cndmask_b32_e64 v0, v0, v1, s6
	s_waitcnt lgkmcnt(0)
	v_cndmask_b32_e64 v95, v95, v127, s4
	s_delay_alu instid0(VALU_DEP_2) | instskip(NEXT) | instid1(VALU_DEP_2)
	v_cndmask_b32_e32 v0, v0, v127, vcc_lo
	v_cvt_f16_f32_e32 v95, v95
	s_delay_alu instid0(VALU_DEP_2) | instskip(NEXT) | instid1(VALU_DEP_1)
	v_cvt_f16_f32_e32 v0, v0
	v_pack_b32_f16 v95, v95, v0
	v_sub_f32_e32 v0, v123, v191
	s_delay_alu instid0(VALU_DEP_1) | instskip(SKIP_1) | instid1(VALU_DEP_2)
	v_mul_f32_e32 v123, 0x3fb8aa3b, v0
	v_cmp_ngt_f32_e32 vcc_lo, 0xc2ce8ed0, v0
	v_fma_f32 v127, 0x3fb8aa3b, v0, -v123
	v_rndne_f32_e32 v128, v123
	s_delay_alu instid0(VALU_DEP_2) | instskip(NEXT) | instid1(VALU_DEP_2)
	v_fmac_f32_e32 v127, 0x32a5705f, v0
	v_sub_f32_e32 v123, v123, v128
	s_delay_alu instid0(VALU_DEP_1) | instskip(SKIP_1) | instid1(VALU_DEP_2)
	v_add_f32_e32 v123, v123, v127
	v_cvt_i32_f32_e32 v127, v128
	v_exp_f32_e32 v123, v123
	s_waitcnt_depctr 0xfff
	v_ldexp_f32 v123, v123, v127
	ds_load_u16 v133, v228 offset:2112
	ds_load_u16 v134, v228 offset:2464
	;; [unrolled: 1-line block ×26, first 2 shown]
	ds_load_u16 v127, v228
	ds_load_u16 v203, v228 offset:32
	ds_load_u16 v217, v228 offset:64
	;; [unrolled: 1-line block ×12, first 2 shown]
	s_waitcnt lgkmcnt(32)
	ds_load_u16_d16_hi v205, v228 offset:912
	s_waitcnt lgkmcnt(32)
	ds_load_u16_d16_hi v206, v228 offset:1264
	;; [unrolled: 2-line block ×5, first 2 shown]
	ds_load_u16_d16_hi v130, v228 offset:1232
	ds_load_u16_d16_hi v131, v228 offset:1584
	;; [unrolled: 1-line block ×3, first 2 shown]
	s_waitcnt lgkmcnt(22)
	ds_load_u16_d16_hi v209, v228 offset:2320
	ds_load_u16_d16_hi v243, v228 offset:2384
	;; [unrolled: 1-line block ×3, first 2 shown]
	s_waitcnt lgkmcnt(19)
	ds_load_u16_d16_hi v249, v228 offset:1712
	ds_load_u16_d16_hi v132, v228 offset:1936
	;; [unrolled: 1-line block ×5, first 2 shown]
	s_waitcnt lgkmcnt(20)
	ds_load_u16_d16_hi v251, v228 offset:2416
	ds_load_u16_d16_hi v134, v228 offset:2640
	;; [unrolled: 1-line block ×7, first 2 shown]
	ds_load_u16 v245, v228 offset:128
	ds_load_u16_d16_hi v127, v228 offset:176
	ds_load_u16_d16_hi v128, v228 offset:528
	s_waitcnt lgkmcnt(26)
	ds_load_u16_d16_hi v129, v228 offset:880
	v_cndmask_b32_e32 v123, 0, v123, vcc_lo
	v_cmp_nlt_f32_e32 vcc_lo, 0x42b17218, v0
	ds_load_u16_d16_hi v219, v228 offset:944
	ds_load_u16_d16_hi v220, v228 offset:1296
	;; [unrolled: 1-line block ×12, first 2 shown]
	s_waitcnt lgkmcnt(15)
	ds_load_u16_d16_hi v245, v228 offset:304
	ds_load_u16_d16_hi v241, v228 offset:1680
	v_cndmask_b32_e32 v123, 0x7f800000, v123, vcc_lo
	v_cmp_le_f32_e32 vcc_lo, 0xc1a00000, v0
	s_waitcnt lgkmcnt(0)
	s_barrier
	buffer_gl0_inv
	v_cndmask_b32_e32 v0, 0, v123, vcc_lo
	s_delay_alu instid0(VALU_DEP_1)
	v_mul_f32_e32 v28, v28, v0
	v_mul_f32_e32 v40, v40, v0
	;; [unrolled: 1-line block ×40, first 2 shown]
	v_wmma_f32_16x16x16_f16 v[40:47], v[127:134], v[88:95], v[40:47]
	v_wmma_f32_16x16x16_f16 v[32:39], v[203:210], v[88:95], v[32:39]
	;; [unrolled: 1-line block ×5, first 2 shown]
	v_add_f32_e32 v88, v1, v2
	s_delay_alu instid0(VALU_DEP_1)
	v_fmac_f32_e32 v88, v215, v0
	s_cbranch_scc0 .LBB9_62
; %bb.59:                               ;   in Loop: Header=BB9_58 Depth=2
	s_delay_alu instid0(VALU_DEP_1)
	v_mov_b32_e32 v215, v88
	v_mov_b32_e32 v123, v191
	s_ashr_i32 s67, s66, 31
	s_and_saveexec_b32 s4, s0
	s_cbranch_execnz .LBB9_57
	s_branch .LBB9_58
.LBB9_60:                               ;   in Loop: Header=BB9_12 Depth=1
	s_cbranch_execz .LBB9_11
	s_branch .LBB9_170
.LBB9_61:                               ;   in Loop: Header=BB9_12 Depth=1
	v_mov_b32_e32 v14, v15
	v_mov_b32_e32 v13, v15
	;; [unrolled: 1-line block ×40, first 2 shown]
.LBB9_62:                               ;   in Loop: Header=BB9_12 Depth=1
	s_lshl_b32 s4, s102, 5
	s_delay_alu instid0(SALU_CYCLE_1)
	s_ashr_i32 s5, s4, 31
	s_and_saveexec_b32 s6, s0
	s_cbranch_execz .LBB9_64
; %bb.63:                               ;   in Loop: Header=BB9_12 Depth=1
	v_add_nc_u32_e32 v0, s89, v148
	s_lshl_b64 s[66:67], s[4:5], 1
	v_lshlrev_b32_e32 v4, 1, v164
	s_delay_alu instid0(VALU_DEP_2) | instskip(NEXT) | instid1(VALU_DEP_1)
	v_lshl_or_b32 v0, v0, 1, v162
	v_mul_hi_u32 v1, s12, v0
	s_delay_alu instid0(VALU_DEP_1) | instskip(NEXT) | instid1(VALU_DEP_1)
	v_add_nc_u32_e32 v1, v0, v1
	v_lshrrev_b32_e32 v1, s13, v1
	s_delay_alu instid0(VALU_DEP_1) | instskip(NEXT) | instid1(VALU_DEP_1)
	v_mul_lo_u32 v1, v1, s8
	v_sub_nc_u32_e32 v2, v0, v1
	s_delay_alu instid0(VALU_DEP_1) | instskip(SKIP_2) | instid1(VALU_DEP_3)
	v_mad_i64_i32 v[0:1], null, v2, s40, 0
	v_add_co_u32 v2, vcc_lo, v201, s66
	v_add_co_ci_u32_e32 v3, vcc_lo, s67, v197, vcc_lo
	v_lshlrev_b64 v[0:1], 1, v[0:1]
	s_delay_alu instid0(VALU_DEP_1) | instskip(NEXT) | instid1(VALU_DEP_2)
	v_add_co_u32 v0, vcc_lo, v2, v0
	v_add_co_ci_u32_e32 v1, vcc_lo, v3, v1, vcc_lo
	s_delay_alu instid0(VALU_DEP_2) | instskip(NEXT) | instid1(VALU_DEP_2)
	v_add_co_u32 v0, vcc_lo, v0, v4
	v_add_co_ci_u32_e32 v1, vcc_lo, 0, v1, vcc_lo
	global_load_b32 v0, v[0:1], off
	s_waitcnt vmcnt(0)
	ds_store_b32 v166, v0 offset:5632
.LBB9_64:                               ;   in Loop: Header=BB9_12 Depth=1
	s_or_b32 exec_lo, exec_lo, s6
	s_mul_hi_i32 s7, s4, s34
	s_mul_i32 s6, s4, s34
	v_dual_mov_b32 v204, v202 :: v_dual_lshlrev_b32 v89, 2, v165
	s_lshl_b64 s[6:7], s[6:7], 2
	v_dual_mov_b32 v203, v202 :: v_dual_lshlrev_b32 v90, 2, v168
	s_add_u32 s5, s90, s6
	s_addc_u32 s6, s91, s7
	v_add_co_u32 v0, vcc_lo, s5, v100
	v_add_co_ci_u32_e32 v2, vcc_lo, s6, v101, vcc_lo
	v_mov_b32_e32 v205, v202
	s_delay_alu instid0(VALU_DEP_3) | instskip(NEXT) | instid1(VALU_DEP_3)
	v_add_co_u32 v1, vcc_lo, v0, v89
	v_add_co_ci_u32_e32 v2, vcc_lo, 0, v2, vcc_lo
	v_add_co_u32 v0, vcc_lo, s5, v111
	v_add_co_ci_u32_e32 v3, vcc_lo, s6, v112, vcc_lo
	v_mov_b32_e32 v206, v202
	s_delay_alu instid0(VALU_DEP_3) | instskip(NEXT) | instid1(VALU_DEP_3)
	v_add_co_u32 v4, vcc_lo, v0, v90
	v_add_co_ci_u32_e32 v5, vcc_lo, 0, v3, vcc_lo
	s_clause 0x1
	global_load_b128 v[0:3], v[1:2], off offset:128
	global_load_b128 v[4:7], v[4:5], off
	v_mov_b32_e32 v207, v202
	v_mov_b32_e32 v208, v202
	;; [unrolled: 1-line block ×3, first 2 shown]
	v_dual_mov_b32 v123, v202 :: v_dual_mov_b32 v124, v203
	v_dual_mov_b32 v125, v204 :: v_dual_mov_b32 v126, v205
	;; [unrolled: 1-line block ×3, first 2 shown]
	s_delay_alu instid0(VALU_DEP_4) | instskip(SKIP_4) | instid1(VALU_DEP_2)
	v_dual_mov_b32 v129, v208 :: v_dual_mov_b32 v130, v209
	s_waitcnt vmcnt(1)
	ds_store_b128 v167, v[0:3]
	v_add_co_u32 v0, vcc_lo, s5, v113
	v_add_co_ci_u32_e32 v1, vcc_lo, s6, v114, vcc_lo
	v_add_co_u32 v0, vcc_lo, v0, v90
	s_delay_alu instid0(VALU_DEP_2) | instskip(SKIP_2) | instid1(VALU_DEP_2)
	v_add_co_ci_u32_e32 v1, vcc_lo, 0, v1, vcc_lo
	v_add_co_u32 v2, vcc_lo, s5, v115
	v_add_co_ci_u32_e32 v3, vcc_lo, s6, v116, vcc_lo
	v_add_co_u32 v91, vcc_lo, v2, v90
	s_delay_alu instid0(VALU_DEP_2)
	v_add_co_ci_u32_e32 v92, vcc_lo, 0, v3, vcc_lo
	s_clause 0x1
	global_load_b128 v[0:3], v[0:1], off
	global_load_b128 v[91:94], v[91:92], off
	s_waitcnt vmcnt(2)
	ds_store_b128 v182, v[4:7]
	s_waitcnt vmcnt(1)
	ds_store_b128 v233, v[0:3]
	v_add_co_u32 v0, vcc_lo, s5, v117
	v_add_co_ci_u32_e32 v1, vcc_lo, s6, v118, vcc_lo
	s_mul_hi_i32 s5, s4, s10
	s_delay_alu instid0(VALU_DEP_2) | instskip(NEXT) | instid1(VALU_DEP_2)
	v_add_co_u32 v0, vcc_lo, v0, v90
	v_add_co_ci_u32_e32 v1, vcc_lo, 0, v1, vcc_lo
	s_mul_i32 s4, s4, s10
	v_cmp_eq_u32_e64 s6, 1, v162
	s_lshl_b64 s[4:5], s[4:5], 2
	global_load_b128 v[0:3], v[0:1], off
	s_add_u32 s4, s87, s4
	s_addc_u32 s5, s88, s5
	s_cmp_lg_u64 s[64:65], 0
	s_waitcnt vmcnt(1)
	ds_store_b128 v234, v[91:94]
	s_waitcnt vmcnt(0)
	ds_store_b128 v235, v[0:3]
	s_waitcnt lgkmcnt(0)
	s_barrier
	buffer_gl0_inv
	ds_load_b128 v[0:3], v169
	ds_load_b128 v[4:7], v169 offset:16
	s_waitcnt lgkmcnt(0)
	v_wmma_f32_16x16x16_f16 v[123:130], v[0:7], v[56:63], v[123:130]
	ds_load_b128 v[0:3], v169 offset:32
	ds_load_b128 v[4:7], v169 offset:48
	s_waitcnt lgkmcnt(0)
	v_wmma_f32_16x16x16_f16 v[123:130], v[0:7], v[48:55], v[123:130]
	ds_load_b128 v[0:3], v169 offset:64
	;; [unrolled: 4-line block ×4, first 2 shown]
	ds_load_b128 v[4:7], v169 offset:144
	s_waitcnt lgkmcnt(0)
	s_barrier
	buffer_gl0_inv
	v_wmma_f32_16x16x16_f16 v[123:130], v[0:7], v[80:87], v[123:130]
	ds_load_u16 v0, v170 offset:5632
	ds_load_u16 v1, v170 offset:5636
	;; [unrolled: 1-line block ×8, first 2 shown]
	s_waitcnt lgkmcnt(7)
	v_cvt_f32_f16_e32 v0, v0
	s_waitcnt lgkmcnt(6)
	v_cvt_f32_f16_e32 v1, v1
	;; [unrolled: 2-line block ×5, first 2 shown]
	v_dual_add_f32 v64, v123, v0 :: v_dual_add_f32 v65, v124, v1
	s_waitcnt lgkmcnt(2)
	v_cvt_f32_f16_e32 v5, v5
	v_dual_add_f32 v63, v125, v2 :: v_dual_add_f32 v62, v126, v3
	v_add_f32_e32 v61, v127, v4
	v_dual_add_f32 v0, 0x40051340, v64 :: v_dual_add_f32 v1, 0x40051340, v65
	s_waitcnt lgkmcnt(1)
	v_cvt_f32_f16_e32 v6, v6
	v_add_f32_e32 v2, 0x40051340, v62
	s_waitcnt lgkmcnt(0)
	v_cvt_f32_f16_e32 v7, v7
	v_add_f32_e32 v60, v128, v5
	v_max3_f32 v0, v191, v0, v1
	v_add_f32_e32 v1, 0x40051340, v63
	s_delay_alu instid0(VALU_DEP_4) | instskip(NEXT) | instid1(VALU_DEP_2)
	v_dual_add_f32 v59, v129, v6 :: v_dual_add_f32 v58, v130, v7
	v_max3_f32 v0, v0, v1, v2
	v_dual_add_f32 v1, 0x40051340, v61 :: v_dual_add_f32 v2, 0x40051340, v60
	s_delay_alu instid0(VALU_DEP_1) | instskip(NEXT) | instid1(VALU_DEP_4)
	v_max3_f32 v0, v0, v1, v2
	v_dual_add_f32 v2, 0x40051340, v58 :: v_dual_add_f32 v1, 0x40051340, v59
	s_delay_alu instid0(VALU_DEP_1) | instskip(SKIP_1) | instid1(VALU_DEP_1)
	v_max3_f32 v0, v0, v1, v2
	v_xor_b32_e32 v1, 16, v200
	v_cmp_gt_i32_e32 vcc_lo, 32, v1
	v_cndmask_b32_e32 v1, v200, v1, vcc_lo
	s_delay_alu instid0(VALU_DEP_1) | instskip(SKIP_3) | instid1(VALU_DEP_1)
	v_lshlrev_b32_e32 v56, 2, v1
	ds_bpermute_b32 v1, v56, v0
	s_waitcnt lgkmcnt(0)
	v_max_f32_e32 v1, v1, v1
	v_max_f32_e32 v57, v0, v1
	s_delay_alu instid0(VALU_DEP_1) | instskip(NEXT) | instid1(VALU_DEP_1)
	v_sub_f32_e32 v0, v191, v57
	v_mul_f32_e32 v1, 0x3fb8aa3b, v0
	v_cmp_ngt_f32_e32 vcc_lo, 0xc2ce8ed0, v0
	s_delay_alu instid0(VALU_DEP_2) | instskip(SKIP_1) | instid1(VALU_DEP_1)
	v_fma_f32 v2, 0x3fb8aa3b, v0, -v1
	v_rndne_f32_e32 v3, v1
	v_dual_fmac_f32 v2, 0x32a5705f, v0 :: v_dual_sub_f32 v1, v1, v3
	s_delay_alu instid0(VALU_DEP_1) | instskip(SKIP_1) | instid1(VALU_DEP_2)
	v_add_f32_e32 v1, v1, v2
	v_cvt_i32_f32_e32 v2, v3
	v_exp_f32_e32 v1, v1
	s_waitcnt_depctr 0xfff
	v_ldexp_f32 v1, v1, v2
	s_delay_alu instid0(VALU_DEP_1) | instskip(SKIP_1) | instid1(VALU_DEP_2)
	v_cndmask_b32_e32 v1, 0, v1, vcc_lo
	v_cmp_nlt_f32_e32 vcc_lo, 0x42b17218, v0
	v_cndmask_b32_e32 v1, 0x7f800000, v1, vcc_lo
	v_cmp_le_f32_e32 vcc_lo, 0xc1a00000, v0
	s_delay_alu instid0(VALU_DEP_2) | instskip(SKIP_1) | instid1(VALU_DEP_2)
	v_cndmask_b32_e32 v66, 0, v1, vcc_lo
	v_add_co_u32 v0, vcc_lo, s4, v98
	v_mul_f32_e32 v3, v10, v66
	v_add_co_ci_u32_e32 v10, vcc_lo, s5, v99, vcc_lo
	v_mul_f32_e32 v2, v9, v66
	s_delay_alu instid0(VALU_DEP_4) | instskip(NEXT) | instid1(VALU_DEP_3)
	v_add_co_u32 v9, vcc_lo, v0, v89
	v_add_co_ci_u32_e32 v10, vcc_lo, 0, v10, vcc_lo
	v_add_co_u32 v0, vcc_lo, s4, v102
	v_mul_f32_e32 v4, v11, v66
	v_add_co_ci_u32_e32 v11, vcc_lo, s5, v103, vcc_lo
	v_mul_f32_e32 v6, v13, v66
	s_delay_alu instid0(VALU_DEP_4) | instskip(SKIP_1) | instid1(VALU_DEP_4)
	v_add_co_u32 v13, vcc_lo, v0, v90
	v_mul_f32_e32 v7, v14, v66
	v_add_co_ci_u32_e32 v14, vcc_lo, 0, v11, vcc_lo
	v_mul_f32_e32 v48, v40, v66
	v_mul_f32_e32 v50, v42, v66
	;; [unrolled: 1-line block ×17, first 2 shown]
	s_clause 0x1
	global_load_b128 v[9:12], v[9:10], off offset:128
	global_load_b128 v[24:27], v[13:14], off
	v_add_co_u32 v0, vcc_lo, s4, v104
	v_mul_f32_e32 v52, v44, v66
	v_mul_f32_e32 v53, v45, v66
	;; [unrolled: 1-line block ×16, first 2 shown]
	s_waitcnt vmcnt(1)
	ds_store_b128 v167, v[9:12]
	v_add_co_ci_u32_e32 v10, vcc_lo, s5, v105, vcc_lo
	v_add_co_u32 v9, vcc_lo, v0, v90
	s_delay_alu instid0(VALU_DEP_2) | instskip(SKIP_2) | instid1(VALU_DEP_2)
	v_add_co_ci_u32_e32 v10, vcc_lo, 0, v10, vcc_lo
	v_add_co_u32 v0, vcc_lo, s4, v106
	v_add_co_ci_u32_e32 v11, vcc_lo, s5, v107, vcc_lo
	v_add_co_u32 v13, vcc_lo, v0, v90
	s_delay_alu instid0(VALU_DEP_2)
	v_add_co_ci_u32_e32 v14, vcc_lo, 0, v11, vcc_lo
	s_clause 0x1
	global_load_b128 v[9:12], v[9:10], off
	global_load_b128 v[28:31], v[13:14], off
	v_add_co_u32 v0, vcc_lo, s4, v109
	s_waitcnt vmcnt(2)
	ds_store_b128 v182, v[24:27]
	s_waitcnt vmcnt(1)
	ds_store_b128 v233, v[9:12]
	v_add_co_ci_u32_e32 v10, vcc_lo, s5, v110, vcc_lo
	v_add_co_u32 v9, vcc_lo, v0, v90
	v_sub_f32_e32 v0, v65, v57
	s_delay_alu instid0(VALU_DEP_3) | instskip(SKIP_1) | instid1(VALU_DEP_3)
	v_add_co_ci_u32_e32 v10, vcc_lo, 0, v10, vcc_lo
	v_cmp_eq_u32_e64 s5, 0, v162
	v_cmp_ngt_f32_e32 vcc_lo, 0xc2ce8ed0, v0
	global_load_b128 v[9:12], v[9:10], off
	s_waitcnt vmcnt(1)
	ds_store_b128 v234, v[28:31]
	s_waitcnt vmcnt(0)
	ds_store_b128 v235, v[9:12]
	v_mul_f32_e32 v9, 0x3fb8aa3b, v0
	s_waitcnt lgkmcnt(0)
	s_barrier
	buffer_gl0_inv
	v_fma_f32 v10, 0x3fb8aa3b, v0, -v9
	v_rndne_f32_e32 v11, v9
	s_delay_alu instid0(VALU_DEP_1) | instskip(SKIP_1) | instid1(VALU_DEP_2)
	v_dual_fmac_f32 v10, 0x32a5705f, v0 :: v_dual_sub_f32 v9, v9, v11
	v_cvt_i32_f32_e32 v11, v11
	v_dual_add_f32 v9, v9, v10 :: v_dual_sub_f32 v10, v64, v57
	s_delay_alu instid0(VALU_DEP_1) | instskip(NEXT) | instid1(VALU_DEP_1)
	v_exp_f32_e32 v9, v9
	v_mul_f32_e32 v12, 0x3fb8aa3b, v10
	v_cmp_ngt_f32_e64 s4, 0xc2ce8ed0, v10
	s_delay_alu instid0(VALU_DEP_2) | instskip(SKIP_4) | instid1(VALU_DEP_2)
	v_fma_f32 v13, 0x3fb8aa3b, v10, -v12
	v_rndne_f32_e32 v14, v12
	s_waitcnt_depctr 0xfff
	v_ldexp_f32 v9, v9, v11
	v_fmac_f32_e32 v13, 0x32a5705f, v10
	v_dual_sub_f32 v12, v12, v14 :: v_dual_cndmask_b32 v9, 0, v9
	v_cmp_nlt_f32_e32 vcc_lo, 0x42b17218, v0
	s_delay_alu instid0(VALU_DEP_2) | instskip(NEXT) | instid1(VALU_DEP_3)
	v_add_f32_e32 v12, v12, v13
	v_cndmask_b32_e32 v9, 0x7f800000, v9, vcc_lo
	s_delay_alu instid0(VALU_DEP_2)
	v_exp_f32_e32 v11, v12
	v_cvt_i32_f32_e32 v12, v14
	v_cmp_eq_u32_e32 vcc_lo, 0, v236
	s_waitcnt_depctr 0xfff
	v_ldexp_f32 v11, v11, v12
	ds_bpermute_b32 v12, v56, v9
	v_cndmask_b32_e64 v0, 0, v11, s4
	v_cmp_nlt_f32_e64 s4, 0x42b17218, v10
	s_delay_alu instid0(VALU_DEP_1)
	v_cndmask_b32_e64 v0, 0x7f800000, v0, s4
	v_cmp_eq_u32_e64 s4, 1, v236
	ds_bpermute_b32 v10, v56, v0
	s_waitcnt lgkmcnt(0)
	v_cndmask_b32_e64 v11, v0, v10, s4
	v_cndmask_b32_e32 v10, v0, v10, vcc_lo
	v_add_f32_e32 v0, v0, v9
	v_mul_f32_e32 v1, v8, v66
	v_mul_f32_e32 v8, v15, v66
	v_cndmask_b32_e64 v14, v11, v9, s6
	v_cndmask_b32_e64 v13, v10, v9, s5
	v_cvt_f16_f32_e32 v10, v10
	v_cvt_f16_f32_e32 v11, v11
	s_delay_alu instid0(VALU_DEP_3) | instskip(SKIP_1) | instid1(VALU_DEP_3)
	v_cndmask_b32_e32 v13, v13, v12, vcc_lo
	v_cndmask_b32_e64 v12, v14, v12, s4
	v_pack_b32_f16 v24, v10, v11
	v_sub_f32_e32 v10, v63, v57
	s_delay_alu instid0(VALU_DEP_4) | instskip(NEXT) | instid1(VALU_DEP_4)
	v_cvt_f16_f32_e32 v14, v13
	v_cvt_f16_f32_e32 v15, v12
	s_delay_alu instid0(VALU_DEP_3) | instskip(SKIP_1) | instid1(VALU_DEP_3)
	v_mul_f32_e32 v11, 0x3fb8aa3b, v10
	v_cmp_ngt_f32_e64 s7, 0xc2ce8ed0, v10
	v_pack_b32_f16 v25, v14, v15
	s_delay_alu instid0(VALU_DEP_3) | instskip(SKIP_1) | instid1(VALU_DEP_1)
	v_fma_f32 v14, 0x3fb8aa3b, v10, -v11
	v_rndne_f32_e32 v15, v11
	v_dual_fmac_f32 v14, 0x32a5705f, v10 :: v_dual_sub_f32 v11, v11, v15
	s_delay_alu instid0(VALU_DEP_1) | instskip(SKIP_1) | instid1(VALU_DEP_2)
	v_add_f32_e32 v11, v11, v14
	v_cvt_i32_f32_e32 v14, v15
	v_exp_f32_e32 v11, v11
	s_waitcnt_depctr 0xfff
	v_ldexp_f32 v11, v11, v14
	s_delay_alu instid0(VALU_DEP_1) | instskip(SKIP_1) | instid1(VALU_DEP_1)
	v_cndmask_b32_e64 v11, 0, v11, s7
	v_cmp_nlt_f32_e64 s7, 0x42b17218, v10
	v_cndmask_b32_e64 v10, 0x7f800000, v11, s7
	s_delay_alu instid0(VALU_DEP_1)
	v_cndmask_b32_e64 v11, v12, v10, s6
	v_cndmask_b32_e64 v12, v13, v10, s5
	ds_bpermute_b32 v13, v56, v10
	v_add_f32_e32 v0, v10, v0
	s_waitcnt lgkmcnt(0)
	v_cndmask_b32_e32 v12, v12, v13, vcc_lo
	v_cndmask_b32_e64 v11, v11, v13, s4
	s_delay_alu instid0(VALU_DEP_2) | instskip(NEXT) | instid1(VALU_DEP_2)
	v_cvt_f16_f32_e32 v13, v12
	v_cvt_f16_f32_e32 v14, v11
	s_delay_alu instid0(VALU_DEP_1) | instskip(SKIP_1) | instid1(VALU_DEP_1)
	v_pack_b32_f16 v26, v13, v14
	v_sub_f32_e32 v13, v62, v57
	v_mul_f32_e32 v14, 0x3fb8aa3b, v13
	v_cmp_ngt_f32_e64 s7, 0xc2ce8ed0, v13
	s_delay_alu instid0(VALU_DEP_2) | instskip(SKIP_1) | instid1(VALU_DEP_1)
	v_fma_f32 v15, 0x3fb8aa3b, v13, -v14
	v_rndne_f32_e32 v27, v14
	v_dual_fmac_f32 v15, 0x32a5705f, v13 :: v_dual_sub_f32 v14, v14, v27
	s_delay_alu instid0(VALU_DEP_1) | instskip(SKIP_1) | instid1(VALU_DEP_2)
	v_add_f32_e32 v14, v14, v15
	v_cvt_i32_f32_e32 v15, v27
	v_exp_f32_e32 v14, v14
	s_waitcnt_depctr 0xfff
	v_ldexp_f32 v14, v14, v15
	s_delay_alu instid0(VALU_DEP_1) | instskip(SKIP_1) | instid1(VALU_DEP_1)
	v_cndmask_b32_e64 v14, 0, v14, s7
	v_cmp_nlt_f32_e64 s7, 0x42b17218, v13
	v_cndmask_b32_e64 v13, 0x7f800000, v14, s7
	ds_bpermute_b32 v14, v56, v13
	v_cndmask_b32_e64 v11, v11, v13, s6
	v_cndmask_b32_e64 v12, v12, v13, s5
	v_add_f32_e32 v0, v13, v0
	s_waitcnt lgkmcnt(0)
	s_delay_alu instid0(VALU_DEP_2) | instskip(SKIP_1) | instid1(VALU_DEP_2)
	v_cndmask_b32_e32 v12, v12, v14, vcc_lo
	v_cndmask_b32_e64 v11, v11, v14, s4
	v_cvt_f16_f32_e32 v14, v12
	s_delay_alu instid0(VALU_DEP_2) | instskip(NEXT) | instid1(VALU_DEP_1)
	v_cvt_f16_f32_e32 v15, v11
	v_pack_b32_f16 v27, v14, v15
	v_sub_f32_e32 v14, v61, v57
	s_delay_alu instid0(VALU_DEP_1) | instskip(SKIP_1) | instid1(VALU_DEP_2)
	v_mul_f32_e32 v15, 0x3fb8aa3b, v14
	v_cmp_ngt_f32_e64 s7, 0xc2ce8ed0, v14
	v_fma_f32 v28, 0x3fb8aa3b, v14, -v15
	v_rndne_f32_e32 v29, v15
	s_delay_alu instid0(VALU_DEP_1) | instskip(NEXT) | instid1(VALU_DEP_1)
	v_dual_fmac_f32 v28, 0x32a5705f, v14 :: v_dual_sub_f32 v15, v15, v29
	v_add_f32_e32 v15, v15, v28
	v_cvt_i32_f32_e32 v28, v29
	s_delay_alu instid0(VALU_DEP_2) | instskip(SKIP_2) | instid1(VALU_DEP_1)
	v_exp_f32_e32 v15, v15
	s_waitcnt_depctr 0xfff
	v_ldexp_f32 v15, v15, v28
	v_cndmask_b32_e64 v15, 0, v15, s7
	v_cmp_nlt_f32_e64 s7, 0x42b17218, v14
	s_delay_alu instid0(VALU_DEP_1)
	v_cndmask_b32_e64 v14, 0x7f800000, v15, s7
	ds_bpermute_b32 v15, v56, v14
	v_cndmask_b32_e64 v11, v11, v14, s6
	v_cndmask_b32_e64 v12, v12, v14, s5
	v_add_f32_e32 v0, v14, v0
	s_waitcnt lgkmcnt(0)
	s_delay_alu instid0(VALU_DEP_2) | instskip(SKIP_1) | instid1(VALU_DEP_2)
	v_cndmask_b32_e32 v12, v12, v15, vcc_lo
	v_cndmask_b32_e64 v11, v11, v15, s4
	v_cvt_f16_f32_e32 v15, v12
	s_delay_alu instid0(VALU_DEP_2) | instskip(NEXT) | instid1(VALU_DEP_1)
	v_cvt_f16_f32_e32 v28, v11
	v_pack_b32_f16 v28, v15, v28
	v_sub_f32_e32 v15, v60, v57
	s_delay_alu instid0(VALU_DEP_1) | instskip(SKIP_1) | instid1(VALU_DEP_2)
	v_mul_f32_e32 v29, 0x3fb8aa3b, v15
	v_cmp_ngt_f32_e64 s7, 0xc2ce8ed0, v15
	v_fma_f32 v30, 0x3fb8aa3b, v15, -v29
	v_rndne_f32_e32 v31, v29
	s_delay_alu instid0(VALU_DEP_2) | instskip(NEXT) | instid1(VALU_DEP_2)
	v_fmac_f32_e32 v30, 0x32a5705f, v15
	v_sub_f32_e32 v29, v29, v31
	s_delay_alu instid0(VALU_DEP_1) | instskip(SKIP_1) | instid1(VALU_DEP_2)
	v_add_f32_e32 v29, v29, v30
	v_cvt_i32_f32_e32 v30, v31
	v_exp_f32_e32 v29, v29
	s_waitcnt_depctr 0xfff
	v_ldexp_f32 v29, v29, v30
	s_delay_alu instid0(VALU_DEP_1) | instskip(SKIP_1) | instid1(VALU_DEP_1)
	v_cndmask_b32_e64 v29, 0, v29, s7
	v_cmp_nlt_f32_e64 s7, 0x42b17218, v15
	v_cndmask_b32_e64 v15, 0x7f800000, v29, s7
	ds_bpermute_b32 v29, v56, v15
	v_cndmask_b32_e64 v11, v11, v15, s6
	v_cndmask_b32_e64 v12, v12, v15, s5
	v_add_f32_e32 v0, v15, v0
	s_waitcnt lgkmcnt(0)
	s_delay_alu instid0(VALU_DEP_2) | instskip(SKIP_1) | instid1(VALU_DEP_2)
	v_cndmask_b32_e32 v12, v12, v29, vcc_lo
	v_cndmask_b32_e64 v11, v11, v29, s4
	v_cvt_f16_f32_e32 v29, v12
	s_delay_alu instid0(VALU_DEP_2) | instskip(NEXT) | instid1(VALU_DEP_1)
	v_cvt_f16_f32_e32 v30, v11
	v_pack_b32_f16 v29, v29, v30
	v_sub_f32_e32 v30, v59, v57
	s_delay_alu instid0(VALU_DEP_1) | instskip(SKIP_1) | instid1(VALU_DEP_2)
	v_mul_f32_e32 v31, 0x3fb8aa3b, v30
	v_cmp_ngt_f32_e64 s7, 0xc2ce8ed0, v30
	v_fma_f32 v59, 0x3fb8aa3b, v30, -v31
	v_rndne_f32_e32 v60, v31
	s_delay_alu instid0(VALU_DEP_2) | instskip(NEXT) | instid1(VALU_DEP_2)
	v_fmac_f32_e32 v59, 0x32a5705f, v30
	v_sub_f32_e32 v31, v31, v60
	s_delay_alu instid0(VALU_DEP_1) | instskip(SKIP_1) | instid1(VALU_DEP_2)
	v_add_f32_e32 v31, v31, v59
	v_cvt_i32_f32_e32 v59, v60
	v_exp_f32_e32 v31, v31
	s_waitcnt_depctr 0xfff
	v_ldexp_f32 v31, v31, v59
	s_delay_alu instid0(VALU_DEP_1) | instskip(SKIP_1) | instid1(VALU_DEP_1)
	v_cndmask_b32_e64 v31, 0, v31, s7
	v_cmp_nlt_f32_e64 s7, 0x42b17218, v30
	v_cndmask_b32_e64 v83, 0x7f800000, v31, s7
	ds_bpermute_b32 v30, v56, v83
	v_cndmask_b32_e64 v11, v11, v83, s6
	v_cndmask_b32_e64 v12, v12, v83, s5
	v_add_f32_e32 v0, v83, v0
	s_waitcnt lgkmcnt(0)
	s_delay_alu instid0(VALU_DEP_2) | instskip(SKIP_1) | instid1(VALU_DEP_2)
	v_cndmask_b32_e32 v12, v12, v30, vcc_lo
	v_cndmask_b32_e64 v11, v11, v30, s4
	v_cvt_f16_f32_e32 v30, v12
	s_delay_alu instid0(VALU_DEP_2) | instskip(NEXT) | instid1(VALU_DEP_1)
	v_cvt_f16_f32_e32 v31, v11
	v_pack_b32_f16 v30, v30, v31
	v_sub_f32_e32 v31, v58, v57
	s_delay_alu instid0(VALU_DEP_1) | instskip(SKIP_1) | instid1(VALU_DEP_2)
	v_mul_f32_e32 v58, 0x3fb8aa3b, v31
	v_cmp_ngt_f32_e64 s7, 0xc2ce8ed0, v31
	v_fma_f32 v59, 0x3fb8aa3b, v31, -v58
	v_rndne_f32_e32 v60, v58
	s_delay_alu instid0(VALU_DEP_1) | instskip(NEXT) | instid1(VALU_DEP_1)
	v_dual_fmac_f32 v59, 0x32a5705f, v31 :: v_dual_sub_f32 v58, v58, v60
	v_add_f32_e32 v58, v58, v59
	v_cvt_i32_f32_e32 v59, v60
	s_delay_alu instid0(VALU_DEP_2) | instskip(SKIP_2) | instid1(VALU_DEP_1)
	v_exp_f32_e32 v58, v58
	s_waitcnt_depctr 0xfff
	v_ldexp_f32 v58, v58, v59
	v_cndmask_b32_e64 v58, 0, v58, s7
	v_cmp_nlt_f32_e64 s7, 0x42b17218, v31
	s_delay_alu instid0(VALU_DEP_1)
	v_cndmask_b32_e64 v84, 0x7f800000, v58, s7
	ds_load_u16 v64, v228 offset:2112
	ds_load_u16 v65, v228 offset:2464
	;; [unrolled: 1-line block ×26, first 2 shown]
	ds_load_u16 v58, v228
	ds_load_u16 v67, v228 offset:32
	ds_load_u16 v75, v228 offset:64
	;; [unrolled: 1-line block ×12, first 2 shown]
	s_waitcnt lgkmcnt(30)
	ds_load_u16_d16_hi v72, v228 offset:1968
	s_waitcnt lgkmcnt(25)
	ds_load_u16_d16_hi v74, v228 offset:2672
	;; [unrolled: 2-line block ×5, first 2 shown]
	ds_load_u16_d16_hi v64, v228 offset:2288
	ds_load_u16_d16_hi v81, v228 offset:2352
	s_waitcnt lgkmcnt(15)
	ds_load_u16_d16_hi v209, v228 offset:2416
	ds_load_u16_d16_hi v65, v228 offset:2640
	;; [unrolled: 1-line block ×13, first 2 shown]
	s_waitcnt lgkmcnt(23)
	ds_load_u16_d16_hi v207, v228 offset:1712
	s_waitcnt lgkmcnt(21)
	ds_load_u16_d16_hi v63, v228 offset:1936
	ds_load_u16_d16_hi v80, v228 offset:2000
	;; [unrolled: 1-line block ×5, first 2 shown]
	ds_load_u16 v203, v228 offset:128
	ds_load_u16_d16_hi v58, v228 offset:176
	ds_load_u16_d16_hi v67, v228 offset:208
	;; [unrolled: 1-line block ×12, first 2 shown]
	v_add_f32_e32 v0, v84, v0
	ds_bpermute_b32 v31, v56, v84
	v_cndmask_b32_e64 v11, v11, v84, s6
	v_cndmask_b32_e64 v12, v12, v84, s5
	ds_load_u16_d16_hi v127, v228 offset:1680
	v_fmac_f32_e32 v0, v88, v66
	s_waitcnt lgkmcnt(14)
	ds_load_u16_d16_hi v203, v228 offset:304
	s_waitcnt lgkmcnt(0)
	s_barrier
	ds_bpermute_b32 v9, v56, v0
	s_waitcnt lgkmcnt(0)
	buffer_gl0_inv
	v_cndmask_b32_e32 v12, v12, v31, vcc_lo
	v_cndmask_b32_e64 v11, v11, v31, s4
	s_cselect_b32 s4, -1, 0
	s_delay_alu instid0(SALU_CYCLE_1) | instskip(NEXT) | instid1(VALU_DEP_2)
	s_and_b32 s5, s1, s4
	v_cvt_f16_f32_e32 v12, v12
	s_delay_alu instid0(VALU_DEP_2) | instskip(SKIP_1) | instid1(VALU_DEP_2)
	v_cvt_f16_f32_e32 v11, v11
	v_add_f32_e32 v9, v0, v9
	v_pack_b32_f16 v31, v12, v11
	s_delay_alu instid0(VALU_DEP_1)
	v_wmma_f32_16x16x16_f16 v[48:55], v[58:65], v[24:31], v[48:55]
	v_wmma_f32_16x16x16_f16 v[40:47], v[67:74], v[24:31], v[40:47]
	;; [unrolled: 1-line block ×5, first 2 shown]
	s_and_saveexec_b32 s4, s5
	s_cbranch_execz .LBB9_66
; %bb.65:                               ;   in Loop: Header=BB9_12 Depth=1
	v_lshlrev_b32_e32 v0, 2, v179
	global_load_b32 v0, v0, s[64:65]
	s_waitcnt vmcnt(0)
	v_dual_max_f32 v10, v57, v57 :: v_dual_max_f32 v11, v0, v0
	s_delay_alu instid0(VALU_DEP_1) | instskip(NEXT) | instid1(VALU_DEP_1)
	v_max_f32_e32 v10, v10, v11
	v_sub_f32_e32 v0, v0, v10
	s_delay_alu instid0(VALU_DEP_1) | instskip(SKIP_2) | instid1(VALU_DEP_3)
	v_mul_f32_e32 v15, 0x3fb8aa3b, v0
	v_sub_f32_e32 v11, v57, v10
	v_mov_b32_e32 v57, v10
	v_rndne_f32_e32 v25, v15
	s_delay_alu instid0(VALU_DEP_3) | instskip(SKIP_1) | instid1(VALU_DEP_2)
	v_mul_f32_e32 v12, 0x3fb8aa3b, v11
	v_cmp_ngt_f32_e32 vcc_lo, 0xc2ce8ed0, v11
	v_fma_f32 v13, 0x3fb8aa3b, v11, -v12
	v_rndne_f32_e32 v14, v12
	s_delay_alu instid0(VALU_DEP_2) | instskip(SKIP_1) | instid1(VALU_DEP_1)
	v_fmac_f32_e32 v13, 0x32a5705f, v11
	v_fma_f32 v24, 0x3fb8aa3b, v0, -v15
	v_fmac_f32_e32 v24, 0x32a5705f, v0
	s_delay_alu instid0(VALU_DEP_4) | instskip(SKIP_1) | instid1(VALU_DEP_2)
	v_sub_f32_e32 v12, v12, v14
	v_cvt_i32_f32_e32 v14, v14
	v_add_f32_e32 v12, v12, v13
	v_sub_f32_e32 v13, v15, v25
	s_delay_alu instid0(VALU_DEP_2) | instskip(NEXT) | instid1(VALU_DEP_1)
	v_exp_f32_e32 v12, v12
	v_add_f32_e32 v13, v13, v24
	s_delay_alu instid0(VALU_DEP_1) | instskip(SKIP_3) | instid1(VALU_DEP_2)
	v_exp_f32_e32 v13, v13
	s_waitcnt_depctr 0xfff
	v_ldexp_f32 v12, v12, v14
	v_cvt_i32_f32_e32 v14, v25
	v_cndmask_b32_e32 v12, 0, v12, vcc_lo
	v_cmp_nlt_f32_e32 vcc_lo, 0x42b17218, v11
	s_delay_alu instid0(VALU_DEP_3) | instskip(NEXT) | instid1(VALU_DEP_3)
	v_ldexp_f32 v13, v13, v14
	v_cndmask_b32_e32 v12, 0x7f800000, v12, vcc_lo
	v_cmp_ngt_f32_e32 vcc_lo, 0xc2ce8ed0, v0
	s_delay_alu instid0(VALU_DEP_3) | instskip(SKIP_1) | instid1(VALU_DEP_4)
	v_cndmask_b32_e32 v13, 0, v13, vcc_lo
	v_cmp_le_f32_e32 vcc_lo, 0xc1a00000, v11
	v_cndmask_b32_e32 v11, 0, v12, vcc_lo
	v_cmp_nlt_f32_e32 vcc_lo, 0x42b17218, v0
	s_delay_alu instid0(VALU_DEP_2)
	v_dual_mul_f32 v53, v53, v11 :: v_dual_cndmask_b32 v0, 0x7f800000, v13
	v_mul_f32_e32 v55, v55, v11
	v_mul_f32_e32 v48, v48, v11
	;; [unrolled: 1-line block ×4, first 2 shown]
	v_fmac_f32_e32 v0, v9, v11
	v_mul_f32_e32 v50, v50, v11
	v_mul_f32_e32 v52, v52, v11
	;; [unrolled: 1-line block ×4, first 2 shown]
	v_mov_b32_e32 v9, v0
	v_mul_f32_e32 v41, v41, v11
	v_mul_f32_e32 v42, v42, v11
	;; [unrolled: 1-line block ×31, first 2 shown]
.LBB9_66:                               ;   in Loop: Header=BB9_12 Depth=1
	s_or_b32 exec_lo, exec_lo, s4
	s_and_saveexec_b32 s4, s3
	s_cbranch_execz .LBB9_68
; %bb.67:                               ;   in Loop: Header=BB9_12 Depth=1
	v_add_nc_u32_e32 v0, 0, v177
	ds_store_2addr_b32 v0, v57, v9 offset0:40 offset1:41
.LBB9_68:                               ;   in Loop: Header=BB9_12 Depth=1
	s_or_b32 exec_lo, exec_lo, s4
	s_waitcnt lgkmcnt(0)
	s_barrier
	buffer_gl0_inv
	s_and_saveexec_b32 s4, s2
	s_delay_alu instid0(SALU_CYCLE_1)
	s_xor_b32 s4, exec_lo, s4
	s_cbranch_execz .LBB9_70
; %bb.69:                               ;   in Loop: Header=BB9_12 Depth=1
	s_barrier
	buffer_gl0_inv
                                        ; implicit-def: $vgpr56
.LBB9_70:                               ;   in Loop: Header=BB9_12 Depth=1
	s_and_not1_saveexec_b32 s4, s4
	s_cbranch_execz .LBB9_74
; %bb.71:                               ;   in Loop: Header=BB9_12 Depth=1
	v_add_nc_u32_e32 v0, 0, v177
	ds_load_b64 v[11:12], v0 offset:160
	s_waitcnt lgkmcnt(0)
	s_barrier
	buffer_gl0_inv
	ds_bpermute_b32 v9, v56, v11
	s_waitcnt lgkmcnt(0)
	v_dual_max_f32 v10, v11, v11 :: v_dual_max_f32 v9, v9, v9
	s_delay_alu instid0(VALU_DEP_1) | instskip(NEXT) | instid1(VALU_DEP_1)
	v_max_f32_e32 v9, v10, v9
	v_sub_f32_e32 v10, v11, v9
	s_delay_alu instid0(VALU_DEP_1) | instskip(SKIP_1) | instid1(VALU_DEP_2)
	v_mul_f32_e32 v11, 0x3fb8aa3b, v10
	v_cmp_ngt_f32_e32 vcc_lo, 0xc2ce8ed0, v10
	v_fma_f32 v13, 0x3fb8aa3b, v10, -v11
	v_rndne_f32_e32 v14, v11
	s_delay_alu instid0(VALU_DEP_2) | instskip(NEXT) | instid1(VALU_DEP_2)
	v_fmac_f32_e32 v13, 0x32a5705f, v10
	v_sub_f32_e32 v11, v11, v14
	s_delay_alu instid0(VALU_DEP_1) | instskip(SKIP_1) | instid1(VALU_DEP_2)
	v_add_f32_e32 v11, v11, v13
	v_cvt_i32_f32_e32 v13, v14
	v_exp_f32_e32 v11, v11
	s_waitcnt_depctr 0xfff
	v_ldexp_f32 v11, v11, v13
	s_delay_alu instid0(VALU_DEP_1) | instskip(SKIP_1) | instid1(VALU_DEP_2)
	v_cndmask_b32_e32 v11, 0, v11, vcc_lo
	v_cmp_nlt_f32_e32 vcc_lo, 0x42b17218, v10
	v_cndmask_b32_e32 v10, 0x7f800000, v11, vcc_lo
	s_delay_alu instid0(VALU_DEP_1)
	v_mul_f32_e32 v11, v12, v10
	ds_bpermute_b32 v11, v56, v11
	s_waitcnt lgkmcnt(0)
	v_fmac_f32_e32 v11, v12, v10
	ds_store_b64 v0, v[10:11] offset:160
	s_and_saveexec_b32 s5, s3
	s_cbranch_execz .LBB9_73
; %bb.72:                               ;   in Loop: Header=BB9_12 Depth=1
	v_mov_b32_e32 v10, v11
	scratch_load_b64 v[11:12], off, off offset:104 ; 8-byte Folded Reload
	s_waitcnt vmcnt(0)
	global_store_b64 v[11:12], v[9:10], off
.LBB9_73:                               ;   in Loop: Header=BB9_12 Depth=1
	s_or_b32 exec_lo, exec_lo, s5
.LBB9_74:                               ;   in Loop: Header=BB9_12 Depth=1
	s_delay_alu instid0(SALU_CYCLE_1)
	s_or_b32 exec_lo, exec_lo, s4
	v_cvt_f16_f32_e32 v0, v48
	v_cvt_f16_f32_e32 v9, v49
	;; [unrolled: 1-line block ×8, first 2 shown]
	ds_store_b16 v171, v0
	ds_store_b16 v171, v9 offset:4
	ds_store_b16 v171, v10 offset:8
	ds_store_b16 v171, v11 offset:12
	ds_store_b16 v171, v12 offset:16
	ds_store_b16 v171, v13 offset:20
	ds_store_b16 v171, v14 offset:24
	ds_store_b16 v171, v15 offset:28
	v_cvt_f16_f32_e32 v0, v40
	v_cvt_f16_f32_e32 v9, v41
	v_cvt_f16_f32_e32 v10, v42
	v_cvt_f16_f32_e32 v11, v43
	v_cvt_f16_f32_e32 v12, v44
	v_cvt_f16_f32_e32 v13, v45
	v_cvt_f16_f32_e32 v14, v46
	v_cvt_f16_f32_e32 v15, v47
	ds_store_b16 v171, v0 offset:32
	ds_store_b16 v171, v9 offset:36
	ds_store_b16 v171, v10 offset:40
	ds_store_b16 v171, v11 offset:44
	ds_store_b16 v171, v12 offset:48
	ds_store_b16 v171, v13 offset:52
	ds_store_b16 v171, v14 offset:56
	ds_store_b16 v171, v15 offset:60
	v_cvt_f16_f32_e32 v0, v32
	v_cvt_f16_f32_e32 v9, v33
	v_cvt_f16_f32_e32 v10, v34
	v_cvt_f16_f32_e32 v11, v35
	v_cvt_f16_f32_e32 v12, v36
	v_cvt_f16_f32_e32 v13, v37
	v_cvt_f16_f32_e32 v14, v38
	v_cvt_f16_f32_e32 v15, v39
	ds_store_b16 v171, v0 offset:64
	;; [unrolled: 16-line block ×4, first 2 shown]
	ds_store_b16 v171, v1 offset:132
	ds_store_b16 v171, v2 offset:136
	ds_store_b16 v171, v3 offset:140
	ds_store_b16 v171, v4 offset:144
	ds_store_b16 v171, v5 offset:148
	ds_store_b16 v171, v6 offset:152
	ds_store_b16 v171, v7 offset:156
	s_waitcnt lgkmcnt(0)
	s_waitcnt_vscnt null, 0x0
	s_barrier
	buffer_gl0_inv
	s_and_saveexec_b32 s6, s1
	s_cbranch_execz .LBB9_169
; %bb.75:                               ;   in Loop: Header=BB9_12 Depth=1
	v_dual_mov_b32 v1, 0x47 :: v_dual_add_nc_u32 v2, s103, v231
	v_or_b32_e32 v0, s86, v144
	s_delay_alu instid0(VALU_DEP_2) | instskip(NEXT) | instid1(VALU_DEP_2)
	v_cmp_gt_i32_e64 s4, s8, v2
	v_cmp_gt_i32_e32 vcc_lo, s33, v0
	s_delay_alu instid0(VALU_DEP_2) | instskip(NEXT) | instid1(SALU_CYCLE_1)
	s_and_b32 s4, s4, vcc_lo
	s_and_saveexec_b32 s5, s4
	s_cbranch_execz .LBB9_77
; %bb.76:                               ;   in Loop: Header=BB9_12 Depth=1
	scratch_load_b32 v0, off, off offset:16 ; 4-byte Folded Reload
	v_mad_u64_u32 v[5:6], null, v2, s9, v[144:145]
	s_delay_alu instid0(VALU_DEP_1) | instskip(NEXT) | instid1(VALU_DEP_1)
	v_mad_u64_u32 v[6:7], null, v5, 40, v[108:109]
	v_ashrrev_i32_e32 v7, 31, v6
	s_waitcnt vmcnt(0)
	v_add_nc_u32_e32 v0, 0, v0
	s_delay_alu instid0(VALU_DEP_1)
	v_add_nc_u32_e32 v3, 0xa0, v0
	scratch_load_b32 v0, off, off offset:20 ; 4-byte Folded Reload
	s_waitcnt vmcnt(0)
	ds_load_2addr_stride64_b32 v[0:1], v0 offset1:11
	ds_load_2addr_stride64_b32 v[3:4], v3 offset1:11
	s_waitcnt lgkmcnt(0)
	v_fma_mix_f32 v5, v3, v0, 0 op_sel_hi:[0,1,0]
	v_fma_mix_f32 v0, v3, v0, 0 op_sel:[0,1,0] op_sel_hi:[0,1,0]
	v_lshlrev_b64 v[2:3], 3, v[6:7]
	s_delay_alu instid0(VALU_DEP_3) | instskip(NEXT) | instid1(VALU_DEP_3)
	v_fma_mix_f32 v5, v4, v1, v5 op_sel_hi:[0,1,0]
	v_fma_mix_f32 v6, v4, v1, v0 op_sel:[0,1,0] op_sel_hi:[0,1,0]
	v_mov_b32_e32 v1, 0
	s_delay_alu instid0(VALU_DEP_4) | instskip(NEXT) | instid1(VALU_DEP_1)
	v_add_co_u32 v2, s4, s41, v2
	v_add_co_ci_u32_e64 v3, s4, s59, v3, s4
	global_store_b64 v[2:3], v[5:6], off
.LBB9_77:                               ;   in Loop: Header=BB9_12 Depth=1
	s_or_b32 exec_lo, exec_lo, s5
	s_mov_b32 s5, -1
	s_mov_b32 s7, exec_lo
	v_cmpx_gt_i32_e32 0x47, v1
; %bb.78:                               ;   in Loop: Header=BB9_12 Depth=1
	v_cmp_eq_u32_e64 s4, 0, v1
	s_delay_alu instid0(VALU_DEP_1)
	s_or_not1_b32 s5, s4, exec_lo
; %bb.79:                               ;   in Loop: Header=BB9_12 Depth=1
	s_or_b32 exec_lo, exec_lo, s7
	s_and_saveexec_b32 s7, s5
	s_cbranch_execz .LBB9_152
; %bb.80:                               ;   in Loop: Header=BB9_12 Depth=1
	scratch_load_b32 v0, off, off offset:32 ; 4-byte Folded Reload
	s_waitcnt vmcnt(0)
	v_add_nc_u32_e32 v2, s103, v0
	scratch_load_b64 v[0:1], off, off       ; 8-byte Folded Reload
	s_waitcnt vmcnt(0)
	v_mov_b32_e32 v1, 0x47
	v_cmp_gt_i32_e64 s4, s8, v2
	v_or_b32_e32 v0, s86, v0
	s_delay_alu instid0(VALU_DEP_1) | instskip(NEXT) | instid1(VALU_DEP_1)
	v_cmp_gt_i32_e64 s5, s33, v0
	s_and_b32 s4, s4, s5
	s_delay_alu instid0(SALU_CYCLE_1)
	s_and_saveexec_b32 s5, s4
	s_cbranch_execz .LBB9_82
; %bb.81:                               ;   in Loop: Header=BB9_12 Depth=1
	scratch_load_b32 v0, off, off offset:112 ; 4-byte Folded Reload
	s_waitcnt vmcnt(0)
	v_add_nc_u32_e32 v0, 0, v0
	s_delay_alu instid0(VALU_DEP_1)
	v_add_nc_u32_e32 v3, 0xa0, v0
	scratch_load_b32 v0, off, off offset:116 ; 4-byte Folded Reload
	s_waitcnt vmcnt(0)
	ds_load_2addr_stride64_b32 v[0:1], v0 offset1:11
	ds_load_2addr_stride64_b32 v[3:4], v3 offset1:11
	scratch_load_b64 v[7:8], off, off       ; 8-byte Folded Reload
	s_waitcnt vmcnt(0)
	v_mad_u64_u32 v[5:6], null, v2, s9, v[7:8]
	s_delay_alu instid0(VALU_DEP_1) | instskip(SKIP_3) | instid1(VALU_DEP_2)
	v_mad_u64_u32 v[6:7], null, v5, 40, v[108:109]
	s_waitcnt lgkmcnt(0)
	v_fma_mix_f32 v5, v3, v0, 0 op_sel_hi:[0,1,0]
	v_fma_mix_f32 v0, v3, v0, 0 op_sel:[0,1,0] op_sel_hi:[0,1,0]
	v_fma_mix_f32 v5, v4, v1, v5 op_sel_hi:[0,1,0]
	s_delay_alu instid0(VALU_DEP_4) | instskip(NEXT) | instid1(VALU_DEP_1)
	v_ashrrev_i32_e32 v7, 31, v6
	v_lshlrev_b64 v[2:3], 3, v[6:7]
	s_delay_alu instid0(VALU_DEP_4) | instskip(SKIP_1) | instid1(VALU_DEP_3)
	v_fma_mix_f32 v6, v4, v1, v0 op_sel:[0,1,0] op_sel_hi:[0,1,0]
	v_mov_b32_e32 v1, 0
	v_add_co_u32 v2, s4, s41, v2
	s_delay_alu instid0(VALU_DEP_1)
	v_add_co_ci_u32_e64 v3, s4, s59, v3, s4
	global_store_b64 v[2:3], v[5:6], off
.LBB9_82:                               ;   in Loop: Header=BB9_12 Depth=1
	s_or_b32 exec_lo, exec_lo, s5
	s_mov_b32 s5, -1
	s_mov_b32 s66, exec_lo
	v_cmpx_gt_i32_e32 0x47, v1
; %bb.83:                               ;   in Loop: Header=BB9_12 Depth=1
	v_cmp_eq_u32_e64 s4, 0, v1
	s_delay_alu instid0(VALU_DEP_1)
	s_or_not1_b32 s5, s4, exec_lo
; %bb.84:                               ;   in Loop: Header=BB9_12 Depth=1
	s_or_b32 exec_lo, exec_lo, s66
	s_delay_alu instid0(SALU_CYCLE_1)
	s_and_b32 exec_lo, exec_lo, s5
	s_cbranch_execz .LBB9_152
; %bb.85:                               ;   in Loop: Header=BB9_12 Depth=1
	scratch_load_b32 v0, off, off offset:132 ; 4-byte Folded Reload
	s_waitcnt vmcnt(0)
	v_add_nc_u32_e32 v2, s103, v0
	scratch_load_b64 v[0:1], off, off offset:96 ; 8-byte Folded Reload
	s_waitcnt vmcnt(0)
	v_mov_b32_e32 v1, 0x47
	v_cmp_gt_i32_e64 s4, s8, v2
	v_or_b32_e32 v0, s86, v0
	s_delay_alu instid0(VALU_DEP_1) | instskip(NEXT) | instid1(VALU_DEP_1)
	v_cmp_gt_i32_e64 s5, s33, v0
	s_and_b32 s4, s4, s5
	s_delay_alu instid0(SALU_CYCLE_1)
	s_and_saveexec_b32 s5, s4
	s_cbranch_execz .LBB9_87
; %bb.86:                               ;   in Loop: Header=BB9_12 Depth=1
	scratch_load_b32 v0, off, off offset:152 ; 4-byte Folded Reload
	s_waitcnt vmcnt(0)
	v_add_nc_u32_e32 v0, 0, v0
	s_delay_alu instid0(VALU_DEP_1)
	v_add_nc_u32_e32 v3, 0xa0, v0
	scratch_load_b32 v0, off, off offset:156 ; 4-byte Folded Reload
	s_waitcnt vmcnt(0)
	ds_load_2addr_stride64_b32 v[0:1], v0 offset1:11
	ds_load_2addr_stride64_b32 v[3:4], v3 offset1:11
	scratch_load_b64 v[7:8], off, off offset:96 ; 8-byte Folded Reload
	s_waitcnt vmcnt(0)
	v_mad_u64_u32 v[5:6], null, v2, s9, v[7:8]
	s_delay_alu instid0(VALU_DEP_1) | instskip(SKIP_3) | instid1(VALU_DEP_2)
	v_mad_u64_u32 v[6:7], null, v5, 40, v[108:109]
	s_waitcnt lgkmcnt(0)
	v_fma_mix_f32 v5, v3, v0, 0 op_sel_hi:[0,1,0]
	v_fma_mix_f32 v0, v3, v0, 0 op_sel:[0,1,0] op_sel_hi:[0,1,0]
	v_fma_mix_f32 v5, v4, v1, v5 op_sel_hi:[0,1,0]
	s_delay_alu instid0(VALU_DEP_4) | instskip(NEXT) | instid1(VALU_DEP_1)
	v_ashrrev_i32_e32 v7, 31, v6
	v_lshlrev_b64 v[2:3], 3, v[6:7]
	s_delay_alu instid0(VALU_DEP_4) | instskip(SKIP_1) | instid1(VALU_DEP_3)
	v_fma_mix_f32 v6, v4, v1, v0 op_sel:[0,1,0] op_sel_hi:[0,1,0]
	v_mov_b32_e32 v1, 0
	v_add_co_u32 v2, s4, s41, v2
	s_delay_alu instid0(VALU_DEP_1)
	v_add_co_ci_u32_e64 v3, s4, s59, v3, s4
	global_store_b64 v[2:3], v[5:6], off
.LBB9_87:                               ;   in Loop: Header=BB9_12 Depth=1
	s_or_b32 exec_lo, exec_lo, s5
	s_mov_b32 s5, -1
	s_mov_b32 s66, exec_lo
	v_cmpx_gt_i32_e32 0x47, v1
; %bb.88:                               ;   in Loop: Header=BB9_12 Depth=1
	v_cmp_eq_u32_e64 s4, 0, v1
	s_delay_alu instid0(VALU_DEP_1)
	s_or_not1_b32 s5, s4, exec_lo
; %bb.89:                               ;   in Loop: Header=BB9_12 Depth=1
	s_or_b32 exec_lo, exec_lo, s66
	s_delay_alu instid0(SALU_CYCLE_1)
	s_and_b32 exec_lo, exec_lo, s5
	s_cbranch_execz .LBB9_152
; %bb.90:                               ;   in Loop: Header=BB9_12 Depth=1
	scratch_load_b32 v0, off, off offset:168 ; 4-byte Folded Reload
	s_waitcnt vmcnt(0)
	v_add_nc_u32_e32 v2, s103, v0
	scratch_load_b64 v[0:1], off, off offset:136 ; 8-byte Folded Reload
	s_waitcnt vmcnt(0)
	v_mov_b32_e32 v1, 0x47
	v_cmp_gt_i32_e64 s4, s8, v2
	v_or_b32_e32 v0, s86, v0
	s_delay_alu instid0(VALU_DEP_1) | instskip(NEXT) | instid1(VALU_DEP_1)
	v_cmp_gt_i32_e64 s5, s33, v0
	s_and_b32 s4, s4, s5
	s_delay_alu instid0(SALU_CYCLE_1)
	s_and_saveexec_b32 s5, s4
	s_cbranch_execz .LBB9_92
; %bb.91:                               ;   in Loop: Header=BB9_12 Depth=1
	scratch_load_b32 v0, off, off offset:184 ; 4-byte Folded Reload
	s_waitcnt vmcnt(0)
	v_add_nc_u32_e32 v0, 0, v0
	s_delay_alu instid0(VALU_DEP_1)
	v_add_nc_u32_e32 v3, 0xa0, v0
	scratch_load_b32 v0, off, off offset:188 ; 4-byte Folded Reload
	s_waitcnt vmcnt(0)
	ds_load_2addr_stride64_b32 v[0:1], v0 offset1:11
	ds_load_2addr_stride64_b32 v[3:4], v3 offset1:11
	scratch_load_b64 v[7:8], off, off offset:136 ; 8-byte Folded Reload
	s_waitcnt vmcnt(0)
	v_mad_u64_u32 v[5:6], null, v2, s9, v[7:8]
	s_delay_alu instid0(VALU_DEP_1) | instskip(SKIP_3) | instid1(VALU_DEP_2)
	v_mad_u64_u32 v[6:7], null, v5, 40, v[108:109]
	s_waitcnt lgkmcnt(0)
	v_fma_mix_f32 v5, v3, v0, 0 op_sel_hi:[0,1,0]
	v_fma_mix_f32 v0, v3, v0, 0 op_sel:[0,1,0] op_sel_hi:[0,1,0]
	v_fma_mix_f32 v5, v4, v1, v5 op_sel_hi:[0,1,0]
	s_delay_alu instid0(VALU_DEP_4) | instskip(NEXT) | instid1(VALU_DEP_1)
	v_ashrrev_i32_e32 v7, 31, v6
	v_lshlrev_b64 v[2:3], 3, v[6:7]
	s_delay_alu instid0(VALU_DEP_4) | instskip(SKIP_1) | instid1(VALU_DEP_3)
	v_fma_mix_f32 v6, v4, v1, v0 op_sel:[0,1,0] op_sel_hi:[0,1,0]
	v_mov_b32_e32 v1, 0
	v_add_co_u32 v2, s4, s41, v2
	s_delay_alu instid0(VALU_DEP_1)
	v_add_co_ci_u32_e64 v3, s4, s59, v3, s4
	global_store_b64 v[2:3], v[5:6], off
.LBB9_92:                               ;   in Loop: Header=BB9_12 Depth=1
	;; [unrolled: 58-line block ×3, first 2 shown]
	s_or_b32 exec_lo, exec_lo, s5
	s_mov_b32 s5, -1
	s_mov_b32 s66, exec_lo
	v_cmpx_gt_i32_e32 0x47, v1
; %bb.98:                               ;   in Loop: Header=BB9_12 Depth=1
	v_cmp_eq_u32_e64 s4, 0, v1
	s_delay_alu instid0(VALU_DEP_1)
	s_or_not1_b32 s5, s4, exec_lo
; %bb.99:                               ;   in Loop: Header=BB9_12 Depth=1
	s_or_b32 exec_lo, exec_lo, s66
	s_delay_alu instid0(SALU_CYCLE_1)
	s_and_b32 exec_lo, exec_lo, s5
	s_cbranch_execz .LBB9_152
; %bb.100:                              ;   in Loop: Header=BB9_12 Depth=1
	scratch_load_b32 v0, off, off offset:220 ; 4-byte Folded Reload
	s_waitcnt vmcnt(0)
	v_add_nc_u32_e32 v2, s103, v0
	scratch_load_b64 v[0:1], off, off offset:204 ; 8-byte Folded Reload
	s_waitcnt vmcnt(0)
	v_mov_b32_e32 v1, 0x47
	v_cmp_gt_i32_e64 s4, s8, v2
	v_or_b32_e32 v0, s86, v0
	s_delay_alu instid0(VALU_DEP_1) | instskip(NEXT) | instid1(VALU_DEP_1)
	v_cmp_gt_i32_e64 s5, s33, v0
	s_and_b32 s4, s4, s5
	s_delay_alu instid0(SALU_CYCLE_1)
	s_and_saveexec_b32 s5, s4
	s_cbranch_execz .LBB9_102
; %bb.101:                              ;   in Loop: Header=BB9_12 Depth=1
	scratch_load_b32 v0, off, off offset:232 ; 4-byte Folded Reload
	s_waitcnt vmcnt(0)
	v_add_nc_u32_e32 v0, 0, v0
	s_delay_alu instid0(VALU_DEP_1)
	v_add_nc_u32_e32 v3, 0xa0, v0
	scratch_load_b32 v0, off, off offset:236 ; 4-byte Folded Reload
	s_waitcnt vmcnt(0)
	ds_load_2addr_stride64_b32 v[0:1], v0 offset1:11
	ds_load_2addr_stride64_b32 v[3:4], v3 offset1:11
	scratch_load_b64 v[7:8], off, off offset:204 ; 8-byte Folded Reload
	s_waitcnt vmcnt(0)
	v_mad_u64_u32 v[5:6], null, v2, s9, v[7:8]
	s_delay_alu instid0(VALU_DEP_1) | instskip(SKIP_3) | instid1(VALU_DEP_2)
	v_mad_u64_u32 v[6:7], null, v5, 40, v[108:109]
	s_waitcnt lgkmcnt(0)
	v_fma_mix_f32 v5, v3, v0, 0 op_sel_hi:[0,1,0]
	v_fma_mix_f32 v0, v3, v0, 0 op_sel:[0,1,0] op_sel_hi:[0,1,0]
	v_fma_mix_f32 v5, v4, v1, v5 op_sel_hi:[0,1,0]
	s_delay_alu instid0(VALU_DEP_4) | instskip(NEXT) | instid1(VALU_DEP_1)
	v_ashrrev_i32_e32 v7, 31, v6
	v_lshlrev_b64 v[2:3], 3, v[6:7]
	s_delay_alu instid0(VALU_DEP_4) | instskip(SKIP_1) | instid1(VALU_DEP_3)
	v_fma_mix_f32 v6, v4, v1, v0 op_sel:[0,1,0] op_sel_hi:[0,1,0]
	v_mov_b32_e32 v1, 0
	v_add_co_u32 v2, s4, s41, v2
	s_delay_alu instid0(VALU_DEP_1)
	v_add_co_ci_u32_e64 v3, s4, s59, v3, s4
	global_store_b64 v[2:3], v[5:6], off
.LBB9_102:                              ;   in Loop: Header=BB9_12 Depth=1
	s_or_b32 exec_lo, exec_lo, s5
	s_mov_b32 s5, -1
	s_mov_b32 s66, exec_lo
	v_cmpx_gt_i32_e32 0x47, v1
; %bb.103:                              ;   in Loop: Header=BB9_12 Depth=1
	v_cmp_eq_u32_e64 s4, 0, v1
	s_delay_alu instid0(VALU_DEP_1)
	s_or_not1_b32 s5, s4, exec_lo
; %bb.104:                              ;   in Loop: Header=BB9_12 Depth=1
	s_or_b32 exec_lo, exec_lo, s66
	s_delay_alu instid0(SALU_CYCLE_1)
	s_and_b32 exec_lo, exec_lo, s5
	s_cbranch_execz .LBB9_152
; %bb.105:                              ;   in Loop: Header=BB9_12 Depth=1
	scratch_load_b32 v0, off, off offset:240 ; 4-byte Folded Reload
	s_waitcnt vmcnt(0)
	v_add_nc_u32_e32 v2, s103, v0
	scratch_load_b64 v[0:1], off, off offset:224 ; 8-byte Folded Reload
	s_waitcnt vmcnt(0)
	v_mov_b32_e32 v1, 0x47
	v_cmp_gt_i32_e64 s4, s8, v2
	v_or_b32_e32 v0, s86, v0
	s_delay_alu instid0(VALU_DEP_1) | instskip(NEXT) | instid1(VALU_DEP_1)
	v_cmp_gt_i32_e64 s5, s33, v0
	s_and_b32 s4, s4, s5
	s_delay_alu instid0(SALU_CYCLE_1)
	s_and_saveexec_b32 s5, s4
	s_cbranch_execz .LBB9_107
; %bb.106:                              ;   in Loop: Header=BB9_12 Depth=1
	scratch_load_b32 v0, off, off offset:252 ; 4-byte Folded Reload
	s_waitcnt vmcnt(0)
	v_add_nc_u32_e32 v0, 0, v0
	s_delay_alu instid0(VALU_DEP_1)
	v_add_nc_u32_e32 v3, 0xa0, v0
	scratch_load_b32 v0, off, off offset:256 ; 4-byte Folded Reload
	s_waitcnt vmcnt(0)
	ds_load_2addr_stride64_b32 v[0:1], v0 offset1:11
	ds_load_2addr_stride64_b32 v[3:4], v3 offset1:11
	scratch_load_b64 v[7:8], off, off offset:224 ; 8-byte Folded Reload
	s_waitcnt vmcnt(0)
	v_mad_u64_u32 v[5:6], null, v2, s9, v[7:8]
	s_delay_alu instid0(VALU_DEP_1) | instskip(SKIP_3) | instid1(VALU_DEP_2)
	v_mad_u64_u32 v[6:7], null, v5, 40, v[108:109]
	s_waitcnt lgkmcnt(0)
	v_fma_mix_f32 v5, v3, v0, 0 op_sel_hi:[0,1,0]
	v_fma_mix_f32 v0, v3, v0, 0 op_sel:[0,1,0] op_sel_hi:[0,1,0]
	v_fma_mix_f32 v5, v4, v1, v5 op_sel_hi:[0,1,0]
	s_delay_alu instid0(VALU_DEP_4) | instskip(NEXT) | instid1(VALU_DEP_1)
	v_ashrrev_i32_e32 v7, 31, v6
	v_lshlrev_b64 v[2:3], 3, v[6:7]
	s_delay_alu instid0(VALU_DEP_4) | instskip(SKIP_1) | instid1(VALU_DEP_3)
	v_fma_mix_f32 v6, v4, v1, v0 op_sel:[0,1,0] op_sel_hi:[0,1,0]
	v_mov_b32_e32 v1, 0
	v_add_co_u32 v2, s4, s41, v2
	s_delay_alu instid0(VALU_DEP_1)
	v_add_co_ci_u32_e64 v3, s4, s59, v3, s4
	global_store_b64 v[2:3], v[5:6], off
.LBB9_107:                              ;   in Loop: Header=BB9_12 Depth=1
	s_or_b32 exec_lo, exec_lo, s5
	s_mov_b32 s5, -1
	s_mov_b32 s66, exec_lo
	v_cmpx_gt_i32_e32 0x47, v1
; %bb.108:                              ;   in Loop: Header=BB9_12 Depth=1
	v_cmp_eq_u32_e64 s4, 0, v1
	s_delay_alu instid0(VALU_DEP_1)
	s_or_not1_b32 s5, s4, exec_lo
; %bb.109:                              ;   in Loop: Header=BB9_12 Depth=1
	;; [unrolled: 58-line block ×3, first 2 shown]
	s_or_b32 exec_lo, exec_lo, s66
	s_delay_alu instid0(SALU_CYCLE_1)
	s_and_b32 exec_lo, exec_lo, s5
	s_cbranch_execz .LBB9_152
; %bb.115:                              ;   in Loop: Header=BB9_12 Depth=1
	scratch_load_b32 v0, off, off offset:272 ; 4-byte Folded Reload
	s_waitcnt vmcnt(0)
	v_dual_mov_b32 v1, 0x47 :: v_dual_add_nc_u32 v2, s103, v0
	s_delay_alu instid0(VALU_DEP_1) | instskip(NEXT) | instid1(VALU_DEP_1)
	v_cmp_gt_i32_e64 s4, s8, v2
	s_and_b32 s5, s4, vcc_lo
	s_delay_alu instid0(SALU_CYCLE_1)
	s_and_saveexec_b32 s4, s5
	s_cbranch_execz .LBB9_117
; %bb.116:                              ;   in Loop: Header=BB9_12 Depth=1
	scratch_load_b32 v0, off, off offset:284 ; 4-byte Folded Reload
	v_mad_u64_u32 v[5:6], null, v2, s9, v[144:145]
	s_delay_alu instid0(VALU_DEP_1) | instskip(NEXT) | instid1(VALU_DEP_1)
	v_mad_u64_u32 v[6:7], null, v5, 40, v[108:109]
	v_ashrrev_i32_e32 v7, 31, v6
	s_waitcnt vmcnt(0)
	v_add_nc_u32_e32 v0, 0, v0
	s_delay_alu instid0(VALU_DEP_1)
	v_add_nc_u32_e32 v3, 0xa0, v0
	scratch_load_b32 v0, off, off offset:288 ; 4-byte Folded Reload
	s_waitcnt vmcnt(0)
	ds_load_2addr_stride64_b32 v[0:1], v0 offset1:11
	ds_load_2addr_stride64_b32 v[3:4], v3 offset1:11
	s_waitcnt lgkmcnt(0)
	v_fma_mix_f32 v5, v3, v0, 0 op_sel_hi:[0,1,0]
	v_fma_mix_f32 v0, v3, v0, 0 op_sel:[0,1,0] op_sel_hi:[0,1,0]
	v_lshlrev_b64 v[2:3], 3, v[6:7]
	s_delay_alu instid0(VALU_DEP_3) | instskip(NEXT) | instid1(VALU_DEP_3)
	v_fma_mix_f32 v5, v4, v1, v5 op_sel_hi:[0,1,0]
	v_fma_mix_f32 v6, v4, v1, v0 op_sel:[0,1,0] op_sel_hi:[0,1,0]
	v_mov_b32_e32 v1, 0
	s_delay_alu instid0(VALU_DEP_4)
	v_add_co_u32 v2, vcc_lo, s41, v2
	v_add_co_ci_u32_e32 v3, vcc_lo, s59, v3, vcc_lo
	global_store_b64 v[2:3], v[5:6], off
.LBB9_117:                              ;   in Loop: Header=BB9_12 Depth=1
	s_or_b32 exec_lo, exec_lo, s4
	s_mov_b32 s4, -1
	s_mov_b32 s5, exec_lo
	v_cmpx_gt_i32_e32 0x47, v1
; %bb.118:                              ;   in Loop: Header=BB9_12 Depth=1
	v_cmp_eq_u32_e32 vcc_lo, 0, v1
	s_or_not1_b32 s4, vcc_lo, exec_lo
; %bb.119:                              ;   in Loop: Header=BB9_12 Depth=1
	s_or_b32 exec_lo, exec_lo, s5
	s_delay_alu instid0(SALU_CYCLE_1)
	s_and_b32 exec_lo, exec_lo, s4
	s_cbranch_execz .LBB9_152
; %bb.120:                              ;   in Loop: Header=BB9_12 Depth=1
	scratch_load_b32 v0, off, off offset:292 ; 4-byte Folded Reload
	s_waitcnt vmcnt(0)
	v_add_nc_u32_e32 v2, s103, v0
	scratch_load_b64 v[0:1], off, off offset:276 ; 8-byte Folded Reload
	s_waitcnt vmcnt(0)
	v_mov_b32_e32 v1, 0x47
	v_cmp_gt_i32_e32 vcc_lo, s8, v2
	v_or_b32_e32 v0, s86, v0
	s_delay_alu instid0(VALU_DEP_1) | instskip(NEXT) | instid1(VALU_DEP_1)
	v_cmp_gt_i32_e64 s4, s33, v0
	s_and_b32 s5, vcc_lo, s4
	s_delay_alu instid0(SALU_CYCLE_1)
	s_and_saveexec_b32 s4, s5
	s_cbranch_execz .LBB9_122
; %bb.121:                              ;   in Loop: Header=BB9_12 Depth=1
	scratch_load_b32 v0, off, off offset:304 ; 4-byte Folded Reload
	s_waitcnt vmcnt(0)
	v_add_nc_u32_e32 v0, 0, v0
	s_delay_alu instid0(VALU_DEP_1)
	v_add_nc_u32_e32 v3, 0xa0, v0
	scratch_load_b32 v0, off, off offset:308 ; 4-byte Folded Reload
	s_waitcnt vmcnt(0)
	ds_load_2addr_stride64_b32 v[0:1], v0 offset1:11
	ds_load_2addr_stride64_b32 v[3:4], v3 offset1:11
	scratch_load_b64 v[7:8], off, off offset:276 ; 8-byte Folded Reload
	s_waitcnt vmcnt(0)
	v_mad_u64_u32 v[5:6], null, v2, s9, v[7:8]
	s_delay_alu instid0(VALU_DEP_1) | instskip(SKIP_3) | instid1(VALU_DEP_2)
	v_mad_u64_u32 v[6:7], null, v5, 40, v[108:109]
	s_waitcnt lgkmcnt(0)
	v_fma_mix_f32 v5, v3, v0, 0 op_sel_hi:[0,1,0]
	v_fma_mix_f32 v0, v3, v0, 0 op_sel:[0,1,0] op_sel_hi:[0,1,0]
	v_fma_mix_f32 v5, v4, v1, v5 op_sel_hi:[0,1,0]
	s_delay_alu instid0(VALU_DEP_4) | instskip(NEXT) | instid1(VALU_DEP_1)
	v_ashrrev_i32_e32 v7, 31, v6
	v_lshlrev_b64 v[2:3], 3, v[6:7]
	s_delay_alu instid0(VALU_DEP_4) | instskip(SKIP_1) | instid1(VALU_DEP_3)
	v_fma_mix_f32 v6, v4, v1, v0 op_sel:[0,1,0] op_sel_hi:[0,1,0]
	v_mov_b32_e32 v1, 0
	v_add_co_u32 v2, vcc_lo, s41, v2
	s_delay_alu instid0(VALU_DEP_4)
	v_add_co_ci_u32_e32 v3, vcc_lo, s59, v3, vcc_lo
	global_store_b64 v[2:3], v[5:6], off
.LBB9_122:                              ;   in Loop: Header=BB9_12 Depth=1
	s_or_b32 exec_lo, exec_lo, s4
	s_mov_b32 s4, -1
	s_mov_b32 s5, exec_lo
	v_cmpx_gt_i32_e32 0x47, v1
; %bb.123:                              ;   in Loop: Header=BB9_12 Depth=1
	v_cmp_eq_u32_e32 vcc_lo, 0, v1
	s_or_not1_b32 s4, vcc_lo, exec_lo
; %bb.124:                              ;   in Loop: Header=BB9_12 Depth=1
	s_or_b32 exec_lo, exec_lo, s5
	s_delay_alu instid0(SALU_CYCLE_1)
	s_and_b32 exec_lo, exec_lo, s4
	s_cbranch_execz .LBB9_152
; %bb.125:                              ;   in Loop: Header=BB9_12 Depth=1
	scratch_load_b32 v0, off, off offset:312 ; 4-byte Folded Reload
	s_waitcnt vmcnt(0)
	v_add_nc_u32_e32 v2, s103, v0
	scratch_load_b64 v[0:1], off, off offset:296 ; 8-byte Folded Reload
	s_waitcnt vmcnt(0)
	v_mov_b32_e32 v1, 0x47
	v_cmp_gt_i32_e32 vcc_lo, s8, v2
	v_or_b32_e32 v0, s86, v0
	s_delay_alu instid0(VALU_DEP_1) | instskip(NEXT) | instid1(VALU_DEP_1)
	v_cmp_gt_i32_e64 s4, s33, v0
	s_and_b32 s5, vcc_lo, s4
	s_delay_alu instid0(SALU_CYCLE_1)
	s_and_saveexec_b32 s4, s5
	s_cbranch_execz .LBB9_127
; %bb.126:                              ;   in Loop: Header=BB9_12 Depth=1
	scratch_load_b32 v0, off, off offset:324 ; 4-byte Folded Reload
	s_waitcnt vmcnt(0)
	v_add_nc_u32_e32 v0, 0, v0
	s_delay_alu instid0(VALU_DEP_1)
	v_add_nc_u32_e32 v3, 0xa0, v0
	scratch_load_b32 v0, off, off offset:328 ; 4-byte Folded Reload
	s_waitcnt vmcnt(0)
	ds_load_2addr_stride64_b32 v[0:1], v0 offset1:11
	ds_load_2addr_stride64_b32 v[3:4], v3 offset1:11
	scratch_load_b64 v[7:8], off, off offset:296 ; 8-byte Folded Reload
	s_waitcnt vmcnt(0)
	v_mad_u64_u32 v[5:6], null, v2, s9, v[7:8]
	s_delay_alu instid0(VALU_DEP_1) | instskip(SKIP_3) | instid1(VALU_DEP_2)
	v_mad_u64_u32 v[6:7], null, v5, 40, v[108:109]
	s_waitcnt lgkmcnt(0)
	v_fma_mix_f32 v5, v3, v0, 0 op_sel_hi:[0,1,0]
	v_fma_mix_f32 v0, v3, v0, 0 op_sel:[0,1,0] op_sel_hi:[0,1,0]
	v_fma_mix_f32 v5, v4, v1, v5 op_sel_hi:[0,1,0]
	s_delay_alu instid0(VALU_DEP_4) | instskip(NEXT) | instid1(VALU_DEP_1)
	v_ashrrev_i32_e32 v7, 31, v6
	v_lshlrev_b64 v[2:3], 3, v[6:7]
	s_delay_alu instid0(VALU_DEP_4) | instskip(SKIP_1) | instid1(VALU_DEP_3)
	v_fma_mix_f32 v6, v4, v1, v0 op_sel:[0,1,0] op_sel_hi:[0,1,0]
	v_mov_b32_e32 v1, 0
	v_add_co_u32 v2, vcc_lo, s41, v2
	s_delay_alu instid0(VALU_DEP_4)
	v_add_co_ci_u32_e32 v3, vcc_lo, s59, v3, vcc_lo
	global_store_b64 v[2:3], v[5:6], off
.LBB9_127:                              ;   in Loop: Header=BB9_12 Depth=1
	;; [unrolled: 57-line block ×6, first 2 shown]
	s_or_b32 exec_lo, exec_lo, s4
	s_mov_b32 s4, -1
	s_mov_b32 s5, exec_lo
	v_cmpx_gt_i32_e32 0x47, v1
; %bb.148:                              ;   in Loop: Header=BB9_12 Depth=1
	v_cmp_eq_u32_e32 vcc_lo, 0, v1
	s_or_not1_b32 s4, vcc_lo, exec_lo
; %bb.149:                              ;   in Loop: Header=BB9_12 Depth=1
	s_or_b32 exec_lo, exec_lo, s5
	s_delay_alu instid0(SALU_CYCLE_1)
	s_and_b32 exec_lo, exec_lo, s4
	s_cbranch_execz .LBB9_152
; %bb.150:                              ;   in Loop: Header=BB9_12 Depth=1
	s_clause 0x1
	scratch_load_b32 v0, off, off offset:412
	scratch_load_b64 v[2:3], off, off offset:396
	s_waitcnt vmcnt(1)
	v_add_nc_u32_e32 v1, s103, v0
	s_waitcnt vmcnt(0)
	v_or_b32_e32 v0, s86, v2
	s_delay_alu instid0(VALU_DEP_2) | instskip(NEXT) | instid1(VALU_DEP_2)
	v_cmp_gt_i32_e32 vcc_lo, s8, v1
	v_cmp_gt_i32_e64 s4, s33, v0
	s_delay_alu instid0(VALU_DEP_1) | instskip(NEXT) | instid1(SALU_CYCLE_1)
	s_and_b32 s4, vcc_lo, s4
	s_and_b32 exec_lo, exec_lo, s4
	s_cbranch_execz .LBB9_152
; %bb.151:                              ;   in Loop: Header=BB9_12 Depth=1
	s_clause 0x1
	scratch_load_b32 v0, off, off offset:416
	scratch_load_b32 v2, off, off offset:420
	s_waitcnt vmcnt(1)
	v_add_nc_u32_e32 v0, 0, v0
	s_delay_alu instid0(VALU_DEP_1)
	v_add_nc_u32_e32 v0, 0xa0, v0
	s_waitcnt vmcnt(0)
	ds_load_2addr_stride64_b32 v[2:3], v2 offset1:11
	ds_load_2addr_stride64_b32 v[4:5], v0 offset1:11
	scratch_load_b64 v[8:9], off, off offset:396 ; 8-byte Folded Reload
	s_waitcnt vmcnt(0)
	v_mad_u64_u32 v[6:7], null, v1, s9, v[8:9]
	s_delay_alu instid0(VALU_DEP_1) | instskip(SKIP_3) | instid1(VALU_DEP_2)
	v_mad_u64_u32 v[0:1], null, v6, 40, v[108:109]
	s_waitcnt lgkmcnt(0)
	v_fma_mix_f32 v6, v4, v2, 0 op_sel_hi:[0,1,0]
	v_fma_mix_f32 v4, v4, v2, 0 op_sel:[0,1,0] op_sel_hi:[0,1,0]
	v_fma_mix_f32 v2, v5, v3, v6 op_sel_hi:[0,1,0]
	s_delay_alu instid0(VALU_DEP_4) | instskip(NEXT) | instid1(VALU_DEP_3)
	v_ashrrev_i32_e32 v1, 31, v0
	v_fma_mix_f32 v3, v5, v3, v4 op_sel:[0,1,0] op_sel_hi:[0,1,0]
	s_delay_alu instid0(VALU_DEP_2) | instskip(NEXT) | instid1(VALU_DEP_1)
	v_lshlrev_b64 v[0:1], 3, v[0:1]
	v_add_co_u32 v0, vcc_lo, s41, v0
	s_delay_alu instid0(VALU_DEP_2)
	v_add_co_ci_u32_e32 v1, vcc_lo, s59, v1, vcc_lo
	global_store_b64 v[0:1], v[2:3], off
.LBB9_152:                              ;   in Loop: Header=BB9_12 Depth=1
	s_or_b32 exec_lo, exec_lo, s7
	v_dual_mov_b32 v1, 0x47 :: v_dual_add_nc_u32 v2, s103, v151
	v_or_b32_e32 v0, s86, v149
	s_delay_alu instid0(VALU_DEP_2) | instskip(NEXT) | instid1(VALU_DEP_2)
	v_cmp_gt_i32_e64 s4, s8, v2
	v_cmp_gt_i32_e32 vcc_lo, s33, v0
	s_delay_alu instid0(VALU_DEP_2) | instskip(NEXT) | instid1(SALU_CYCLE_1)
	s_and_b32 s4, s4, vcc_lo
	s_and_saveexec_b32 s5, s4
	s_cbranch_execz .LBB9_154
; %bb.153:                              ;   in Loop: Header=BB9_12 Depth=1
	s_clause 0x1
	scratch_load_b32 v0, off, off offset:24
	scratch_load_b32 v1, off, off offset:28
	s_waitcnt vmcnt(1)
	v_add_nc_u32_e32 v0, 0, v0
	s_waitcnt vmcnt(0)
	v_add_nc_u32_e32 v3, 0x80, v1
	s_delay_alu instid0(VALU_DEP_2) | instskip(SKIP_4) | instid1(VALU_DEP_1)
	v_add_nc_u32_e32 v4, 0xa0, v0
	v_mad_u64_u32 v[0:1], null, v2, s9, v[149:150]
	ds_load_2addr_stride64_b32 v[1:2], v3 offset1:11
	ds_load_2addr_stride64_b32 v[3:4], v4 offset1:11
	v_mul_lo_u32 v0, v0, 40
	v_ashrrev_i32_e32 v6, 31, v0
	v_or_b32_e32 v5, v0, v179
	s_delay_alu instid0(VALU_DEP_2) | instskip(SKIP_3) | instid1(VALU_DEP_3)
	v_or_b32_e32 v6, 0, v6
	s_waitcnt lgkmcnt(0)
	v_fma_mix_f32 v7, v3, v1, 0 op_sel_hi:[0,1,0]
	v_fma_mix_f32 v8, v3, v1, 0 op_sel:[0,1,0] op_sel_hi:[0,1,0]
	v_lshlrev_b64 v[0:1], 3, v[5:6]
	s_delay_alu instid0(VALU_DEP_3) | instskip(NEXT) | instid1(VALU_DEP_3)
	v_fma_mix_f32 v3, v4, v2, v7 op_sel_hi:[0,1,0]
	v_fma_mix_f32 v4, v4, v2, v8 op_sel:[0,1,0] op_sel_hi:[0,1,0]
	s_delay_alu instid0(VALU_DEP_3) | instskip(NEXT) | instid1(VALU_DEP_1)
	v_add_co_u32 v5, s4, s41, v0
	v_add_co_ci_u32_e64 v6, s4, s59, v1, s4
	v_mov_b32_e32 v1, 0
	global_store_b64 v[5:6], v[3:4], off offset:256
.LBB9_154:                              ;   in Loop: Header=BB9_12 Depth=1
	s_or_b32 exec_lo, exec_lo, s5
	s_mov_b32 s5, -1
	s_mov_b32 s7, exec_lo
	v_cmpx_gt_i32_e32 0x47, v1
; %bb.155:                              ;   in Loop: Header=BB9_12 Depth=1
	v_cmp_eq_u32_e64 s4, 0, v1
	s_delay_alu instid0(VALU_DEP_1)
	s_or_not1_b32 s5, s4, exec_lo
; %bb.156:                              ;   in Loop: Header=BB9_12 Depth=1
	s_or_b32 exec_lo, exec_lo, s7
	s_delay_alu instid0(SALU_CYCLE_1)
	s_and_b32 exec_lo, exec_lo, s5
	s_cbranch_execz .LBB9_169
; %bb.157:                              ;   in Loop: Header=BB9_12 Depth=1
	scratch_load_b32 v0, off, off offset:36 ; 4-byte Folded Reload
	s_waitcnt vmcnt(0)
	v_add_nc_u32_e32 v2, s103, v0
	scratch_load_b64 v[0:1], off, off offset:8 ; 8-byte Folded Reload
	s_waitcnt vmcnt(0)
	v_mov_b32_e32 v1, 0x47
	v_cmp_gt_i32_e64 s4, s8, v2
	v_or_b32_e32 v0, s86, v0
	s_delay_alu instid0(VALU_DEP_1) | instskip(NEXT) | instid1(VALU_DEP_1)
	v_cmp_gt_i32_e64 s5, s33, v0
	s_and_b32 s4, s4, s5
	s_delay_alu instid0(SALU_CYCLE_1)
	s_and_saveexec_b32 s5, s4
	s_cbranch_execz .LBB9_159
; %bb.158:                              ;   in Loop: Header=BB9_12 Depth=1
	s_clause 0x2
	scratch_load_b32 v0, off, off offset:120
	scratch_load_b32 v1, off, off offset:124
	scratch_load_b64 v[5:6], off, off offset:8
	s_waitcnt vmcnt(2)
	v_add_nc_u32_e32 v0, 0, v0
	s_waitcnt vmcnt(1)
	v_add_nc_u32_e32 v3, 0x80, v1
	s_delay_alu instid0(VALU_DEP_2)
	v_add_nc_u32_e32 v4, 0xa0, v0
	s_waitcnt vmcnt(0)
	v_mad_u64_u32 v[0:1], null, v2, s9, v[5:6]
	ds_load_2addr_stride64_b32 v[1:2], v3 offset1:11
	ds_load_2addr_stride64_b32 v[3:4], v4 offset1:11
	v_mul_lo_u32 v0, v0, 40
	s_delay_alu instid0(VALU_DEP_1) | instskip(SKIP_1) | instid1(VALU_DEP_2)
	v_ashrrev_i32_e32 v6, 31, v0
	v_or_b32_e32 v5, v0, v179
	v_or_b32_e32 v6, 0, v6
	s_waitcnt lgkmcnt(0)
	v_fma_mix_f32 v7, v3, v1, 0 op_sel_hi:[0,1,0]
	v_fma_mix_f32 v8, v3, v1, 0 op_sel:[0,1,0] op_sel_hi:[0,1,0]
	s_delay_alu instid0(VALU_DEP_3) | instskip(NEXT) | instid1(VALU_DEP_3)
	v_lshlrev_b64 v[0:1], 3, v[5:6]
	v_fma_mix_f32 v3, v4, v2, v7 op_sel_hi:[0,1,0]
	s_delay_alu instid0(VALU_DEP_3) | instskip(NEXT) | instid1(VALU_DEP_3)
	v_fma_mix_f32 v4, v4, v2, v8 op_sel:[0,1,0] op_sel_hi:[0,1,0]
	v_add_co_u32 v5, s4, s41, v0
	s_delay_alu instid0(VALU_DEP_1)
	v_add_co_ci_u32_e64 v6, s4, s59, v1, s4
	v_mov_b32_e32 v1, 0
	global_store_b64 v[5:6], v[3:4], off offset:256
.LBB9_159:                              ;   in Loop: Header=BB9_12 Depth=1
	s_or_b32 exec_lo, exec_lo, s5
	s_mov_b32 s5, -1
	s_mov_b32 s7, exec_lo
	v_cmpx_gt_i32_e32 0x47, v1
; %bb.160:                              ;   in Loop: Header=BB9_12 Depth=1
	v_cmp_eq_u32_e64 s4, 0, v1
	s_delay_alu instid0(VALU_DEP_1)
	s_or_not1_b32 s5, s4, exec_lo
; %bb.161:                              ;   in Loop: Header=BB9_12 Depth=1
	s_or_b32 exec_lo, exec_lo, s7
	s_delay_alu instid0(SALU_CYCLE_1)
	s_and_b32 exec_lo, exec_lo, s5
	s_cbranch_execz .LBB9_169
; %bb.162:                              ;   in Loop: Header=BB9_12 Depth=1
	scratch_load_b32 v0, off, off offset:128 ; 4-byte Folded Reload
	s_waitcnt vmcnt(0)
	v_dual_mov_b32 v1, 0x47 :: v_dual_add_nc_u32 v2, s103, v0
	s_delay_alu instid0(VALU_DEP_1) | instskip(NEXT) | instid1(VALU_DEP_1)
	v_cmp_gt_i32_e64 s4, s8, v2
	s_and_b32 s5, s4, vcc_lo
	s_delay_alu instid0(SALU_CYCLE_1)
	s_and_saveexec_b32 s4, s5
	s_cbranch_execz .LBB9_164
; %bb.163:                              ;   in Loop: Header=BB9_12 Depth=1
	s_clause 0x1
	scratch_load_b32 v0, off, off offset:160
	scratch_load_b32 v1, off, off offset:164
	s_waitcnt vmcnt(1)
	v_add_nc_u32_e32 v0, 0, v0
	s_waitcnt vmcnt(0)
	v_add_nc_u32_e32 v3, 0x80, v1
	s_delay_alu instid0(VALU_DEP_2) | instskip(SKIP_4) | instid1(VALU_DEP_1)
	v_add_nc_u32_e32 v4, 0xa0, v0
	v_mad_u64_u32 v[0:1], null, v2, s9, v[149:150]
	ds_load_2addr_stride64_b32 v[1:2], v3 offset1:11
	ds_load_2addr_stride64_b32 v[3:4], v4 offset1:11
	v_mul_lo_u32 v0, v0, 40
	v_ashrrev_i32_e32 v6, 31, v0
	v_or_b32_e32 v5, v0, v179
	s_delay_alu instid0(VALU_DEP_2) | instskip(SKIP_3) | instid1(VALU_DEP_3)
	v_or_b32_e32 v6, 0, v6
	s_waitcnt lgkmcnt(0)
	v_fma_mix_f32 v7, v3, v1, 0 op_sel_hi:[0,1,0]
	v_fma_mix_f32 v8, v3, v1, 0 op_sel:[0,1,0] op_sel_hi:[0,1,0]
	v_lshlrev_b64 v[0:1], 3, v[5:6]
	s_delay_alu instid0(VALU_DEP_3) | instskip(NEXT) | instid1(VALU_DEP_3)
	v_fma_mix_f32 v3, v4, v2, v7 op_sel_hi:[0,1,0]
	v_fma_mix_f32 v4, v4, v2, v8 op_sel:[0,1,0] op_sel_hi:[0,1,0]
	s_delay_alu instid0(VALU_DEP_3) | instskip(NEXT) | instid1(VALU_DEP_4)
	v_add_co_u32 v5, vcc_lo, s41, v0
	v_add_co_ci_u32_e32 v6, vcc_lo, s59, v1, vcc_lo
	v_mov_b32_e32 v1, 0
	global_store_b64 v[5:6], v[3:4], off offset:256
.LBB9_164:                              ;   in Loop: Header=BB9_12 Depth=1
	s_or_b32 exec_lo, exec_lo, s4
	s_mov_b32 s4, -1
	s_mov_b32 s5, exec_lo
	v_cmpx_gt_i32_e32 0x47, v1
; %bb.165:                              ;   in Loop: Header=BB9_12 Depth=1
	v_cmp_eq_u32_e32 vcc_lo, 0, v1
	s_or_not1_b32 s4, vcc_lo, exec_lo
; %bb.166:                              ;   in Loop: Header=BB9_12 Depth=1
	s_or_b32 exec_lo, exec_lo, s5
	s_delay_alu instid0(SALU_CYCLE_1)
	s_and_b32 exec_lo, exec_lo, s4
	s_cbranch_execz .LBB9_169
; %bb.167:                              ;   in Loop: Header=BB9_12 Depth=1
	s_clause 0x1
	scratch_load_b32 v0, off, off offset:172
	scratch_load_b64 v[2:3], off, off offset:144
	s_waitcnt vmcnt(1)
	v_add_nc_u32_e32 v1, s103, v0
	s_waitcnt vmcnt(0)
	v_or_b32_e32 v0, s86, v2
	s_delay_alu instid0(VALU_DEP_2) | instskip(NEXT) | instid1(VALU_DEP_2)
	v_cmp_gt_i32_e32 vcc_lo, s8, v1
	v_cmp_gt_i32_e64 s4, s33, v0
	s_delay_alu instid0(VALU_DEP_1) | instskip(NEXT) | instid1(SALU_CYCLE_1)
	s_and_b32 s4, vcc_lo, s4
	s_and_b32 exec_lo, exec_lo, s4
	s_cbranch_execz .LBB9_169
; %bb.168:                              ;   in Loop: Header=BB9_12 Depth=1
	s_clause 0x2
	scratch_load_b32 v0, off, off offset:192
	scratch_load_b32 v2, off, off offset:196
	scratch_load_b64 v[6:7], off, off offset:144
	s_waitcnt vmcnt(2)
	v_add_nc_u32_e32 v0, 0, v0
	s_waitcnt vmcnt(1)
	v_add_nc_u32_e32 v4, 0x80, v2
	s_waitcnt vmcnt(0)
	v_mad_u64_u32 v[2:3], null, v1, s9, v[6:7]
	v_add_nc_u32_e32 v5, 0xa0, v0
	ds_load_2addr_stride64_b32 v[0:1], v4 offset1:11
	ds_load_2addr_stride64_b32 v[3:4], v5 offset1:11
	v_mul_lo_u32 v2, v2, 40
	s_delay_alu instid0(VALU_DEP_1) | instskip(SKIP_1) | instid1(VALU_DEP_2)
	v_ashrrev_i32_e32 v6, 31, v2
	v_or_b32_e32 v5, v2, v179
	v_or_b32_e32 v6, 0, v6
	s_waitcnt lgkmcnt(0)
	v_fma_mix_f32 v7, v3, v0, 0 op_sel_hi:[0,1,0]
	v_fma_mix_f32 v8, v3, v0, 0 op_sel:[0,1,0] op_sel_hi:[0,1,0]
	s_delay_alu instid0(VALU_DEP_3) | instskip(NEXT) | instid1(VALU_DEP_3)
	v_lshlrev_b64 v[2:3], 3, v[5:6]
	v_fma_mix_f32 v0, v4, v1, v7 op_sel_hi:[0,1,0]
	s_delay_alu instid0(VALU_DEP_3) | instskip(NEXT) | instid1(VALU_DEP_3)
	v_fma_mix_f32 v1, v4, v1, v8 op_sel:[0,1,0] op_sel_hi:[0,1,0]
	v_add_co_u32 v2, vcc_lo, s41, v2
	s_delay_alu instid0(VALU_DEP_4)
	v_add_co_ci_u32_e32 v3, vcc_lo, s59, v3, vcc_lo
	global_store_b64 v[2:3], v[0:1], off offset:256
.LBB9_169:                              ;   in Loop: Header=BB9_12 Depth=1
	s_or_b32 exec_lo, exec_lo, s6
	s_waitcnt_vscnt null, 0x0
	s_barrier
	s_branch .LBB9_11
.LBB9_170:                              ;   in Loop: Header=BB9_12 Depth=1
	s_lshl_b32 s66, s89, 1
	v_cmp_gt_i32_e32 vcc_lo, s33, v198
	v_add_nc_u32_e32 v1, s66, v161
	s_xor_b32 s5, vcc_lo, -1
	s_delay_alu instid0(VALU_DEP_1) | instskip(NEXT) | instid1(VALU_DEP_1)
	v_cmp_le_i32_e64 s4, s8, v1
	s_or_b32 s4, s4, s5
	s_delay_alu instid0(SALU_CYCLE_1) | instskip(NEXT) | instid1(SALU_CYCLE_1)
	s_and_saveexec_b32 s6, s4
	s_xor_b32 s4, exec_lo, s6
	s_cbranch_execz .LBB9_172
; %bb.171:                              ;   in Loop: Header=BB9_12 Depth=1
	ds_store_b32 v178, v202
                                        ; implicit-def: $vgpr1
.LBB9_172:                              ;   in Loop: Header=BB9_12 Depth=1
	s_and_not1_saveexec_b32 s4, s4
	s_cbranch_execz .LBB9_174
; %bb.173:                              ;   in Loop: Header=BB9_12 Depth=1
	v_mad_u64_u32 v[2:3], null, v1, s51, v[137:138]
	s_delay_alu instid0(VALU_DEP_1) | instskip(NEXT) | instid1(VALU_DEP_1)
	v_ashrrev_i32_e32 v3, 31, v2
	v_lshlrev_b64 v[0:1], 3, v[2:3]
	s_delay_alu instid0(VALU_DEP_1) | instskip(NEXT) | instid1(VALU_DEP_2)
	v_add_co_u32 v0, vcc_lo, s100, v0
	v_add_co_ci_u32_e32 v1, vcc_lo, s101, v1, vcc_lo
	global_load_b64 v[0:1], v[0:1], off
	s_waitcnt vmcnt(0)
	v_cvt_f16_f32_e32 v0, v0
	v_cvt_f16_f32_e32 v1, v1
	s_delay_alu instid0(VALU_DEP_1) | instskip(NEXT) | instid1(VALU_DEP_1)
	v_pack_b32_f16 v0, v0, v1
	v_pk_mul_f16 v0, v152, v0
	ds_store_b32 v178, v0
.LBB9_174:                              ;   in Loop: Header=BB9_12 Depth=1
	s_or_b32 exec_lo, exec_lo, s4
	v_add_nc_u32_e32 v1, s66, v150
	v_or_b32_e32 v0, s86, v153
	s_delay_alu instid0(VALU_DEP_2) | instskip(NEXT) | instid1(VALU_DEP_2)
	v_cmp_le_i32_e32 vcc_lo, s8, v1
	v_cmp_le_i32_e64 s4, s33, v0
	s_delay_alu instid0(VALU_DEP_1) | instskip(NEXT) | instid1(SALU_CYCLE_1)
	s_or_b32 s4, vcc_lo, s4
	s_and_saveexec_b32 s6, s4
	s_delay_alu instid0(SALU_CYCLE_1)
	s_xor_b32 s4, exec_lo, s6
	s_cbranch_execz .LBB9_176
; %bb.175:                              ;   in Loop: Header=BB9_12 Depth=1
	ds_store_b32 v178, v202 offset:352
                                        ; implicit-def: $vgpr1
.LBB9_176:                              ;   in Loop: Header=BB9_12 Depth=1
	s_and_not1_saveexec_b32 s4, s4
	s_cbranch_execz .LBB9_178
; %bb.177:                              ;   in Loop: Header=BB9_12 Depth=1
	v_mad_u64_u32 v[2:3], null, v1, s51, v[138:139]
	s_delay_alu instid0(VALU_DEP_1) | instskip(NEXT) | instid1(VALU_DEP_1)
	v_ashrrev_i32_e32 v3, 31, v2
	v_lshlrev_b64 v[0:1], 3, v[2:3]
	s_delay_alu instid0(VALU_DEP_1) | instskip(NEXT) | instid1(VALU_DEP_2)
	v_add_co_u32 v0, vcc_lo, s100, v0
	v_add_co_ci_u32_e32 v1, vcc_lo, s101, v1, vcc_lo
	global_load_b64 v[0:1], v[0:1], off
	s_waitcnt vmcnt(0)
	v_cvt_f16_f32_e32 v0, v0
	v_cvt_f16_f32_e32 v1, v1
	s_delay_alu instid0(VALU_DEP_1) | instskip(NEXT) | instid1(VALU_DEP_1)
	v_pack_b32_f16 v0, v0, v1
	v_pk_mul_f16 v0, v152, v0
	ds_store_b32 v178, v0 offset:352
.LBB9_178:                              ;   in Loop: Header=BB9_12 Depth=1
	s_or_b32 exec_lo, exec_lo, s4
	v_add_nc_u32_e32 v1, s66, v154
	v_or_b32_e32 v0, s86, v155
	s_delay_alu instid0(VALU_DEP_2) | instskip(NEXT) | instid1(VALU_DEP_2)
	v_cmp_le_i32_e32 vcc_lo, s8, v1
	v_cmp_le_i32_e64 s4, s33, v0
	s_delay_alu instid0(VALU_DEP_1) | instskip(NEXT) | instid1(SALU_CYCLE_1)
	s_or_b32 s4, vcc_lo, s4
	s_and_saveexec_b32 s6, s4
	s_delay_alu instid0(SALU_CYCLE_1)
	s_xor_b32 s4, exec_lo, s6
	s_cbranch_execz .LBB9_180
; %bb.179:                              ;   in Loop: Header=BB9_12 Depth=1
	ds_store_b32 v178, v202 offset:704
                                        ; implicit-def: $vgpr1
.LBB9_180:                              ;   in Loop: Header=BB9_12 Depth=1
	s_and_not1_saveexec_b32 s4, s4
	s_cbranch_execz .LBB9_182
; %bb.181:                              ;   in Loop: Header=BB9_12 Depth=1
	v_mad_u64_u32 v[2:3], null, v1, s51, v[139:140]
	s_delay_alu instid0(VALU_DEP_1) | instskip(NEXT) | instid1(VALU_DEP_1)
	v_ashrrev_i32_e32 v3, 31, v2
	v_lshlrev_b64 v[0:1], 3, v[2:3]
	s_delay_alu instid0(VALU_DEP_1) | instskip(NEXT) | instid1(VALU_DEP_2)
	v_add_co_u32 v0, vcc_lo, s100, v0
	v_add_co_ci_u32_e32 v1, vcc_lo, s101, v1, vcc_lo
	global_load_b64 v[0:1], v[0:1], off
	s_waitcnt vmcnt(0)
	v_cvt_f16_f32_e32 v0, v0
	v_cvt_f16_f32_e32 v1, v1
	s_delay_alu instid0(VALU_DEP_1) | instskip(NEXT) | instid1(VALU_DEP_1)
	v_pack_b32_f16 v0, v0, v1
	v_pk_mul_f16 v0, v152, v0
	ds_store_b32 v178, v0 offset:704
.LBB9_182:                              ;   in Loop: Header=BB9_12 Depth=1
	;; [unrolled: 35-line block ×3, first 2 shown]
	s_or_b32 exec_lo, exec_lo, s4
	v_add_nc_u32_e32 v1, s66, v160
	s_delay_alu instid0(VALU_DEP_1) | instskip(SKIP_1) | instid1(SALU_CYCLE_1)
	v_cmp_le_i32_e32 vcc_lo, s8, v1
	s_or_b32 s4, vcc_lo, s5
	s_and_saveexec_b32 s5, s4
	s_delay_alu instid0(SALU_CYCLE_1)
	s_xor_b32 s4, exec_lo, s5
	s_cbranch_execz .LBB9_188
; %bb.187:                              ;   in Loop: Header=BB9_12 Depth=1
	ds_store_b32 v178, v202 offset:1408
                                        ; implicit-def: $vgpr1
.LBB9_188:                              ;   in Loop: Header=BB9_12 Depth=1
	s_and_not1_saveexec_b32 s4, s4
	s_cbranch_execz .LBB9_190
; %bb.189:                              ;   in Loop: Header=BB9_12 Depth=1
	v_mad_u64_u32 v[2:3], null, v1, s51, v[137:138]
	s_delay_alu instid0(VALU_DEP_1) | instskip(NEXT) | instid1(VALU_DEP_1)
	v_ashrrev_i32_e32 v3, 31, v2
	v_lshlrev_b64 v[0:1], 3, v[2:3]
	s_delay_alu instid0(VALU_DEP_1) | instskip(NEXT) | instid1(VALU_DEP_2)
	v_add_co_u32 v0, vcc_lo, s100, v0
	v_add_co_ci_u32_e32 v1, vcc_lo, s101, v1, vcc_lo
	global_load_b64 v[0:1], v[0:1], off
	s_waitcnt vmcnt(0)
	v_cvt_f16_f32_e32 v0, v0
	v_cvt_f16_f32_e32 v1, v1
	s_delay_alu instid0(VALU_DEP_1) | instskip(NEXT) | instid1(VALU_DEP_1)
	v_pack_b32_f16 v0, v0, v1
	v_pk_mul_f16 v0, v152, v0
	ds_store_b32 v178, v0 offset:1408
.LBB9_190:                              ;   in Loop: Header=BB9_12 Depth=1
	s_or_b32 exec_lo, exec_lo, s4
	v_add_nc_u32_e32 v1, s66, v120
	v_or_b32_e32 v0, s86, v135
	s_delay_alu instid0(VALU_DEP_2) | instskip(NEXT) | instid1(VALU_DEP_2)
	v_cmp_le_i32_e32 vcc_lo, s8, v1
	v_cmp_le_i32_e64 s4, s33, v0
	s_delay_alu instid0(VALU_DEP_1) | instskip(NEXT) | instid1(SALU_CYCLE_1)
	s_or_b32 s4, vcc_lo, s4
	s_and_saveexec_b32 s5, s4
	s_delay_alu instid0(SALU_CYCLE_1)
	s_xor_b32 s4, exec_lo, s5
	s_cbranch_execz .LBB9_192
; %bb.191:                              ;   in Loop: Header=BB9_12 Depth=1
	ds_store_b32 v178, v202 offset:1760
                                        ; implicit-def: $vgpr1
.LBB9_192:                              ;   in Loop: Header=BB9_12 Depth=1
	s_and_not1_saveexec_b32 s4, s4
	s_cbranch_execz .LBB9_194
; %bb.193:                              ;   in Loop: Header=BB9_12 Depth=1
	v_mad_u64_u32 v[2:3], null, v1, s51, v[141:142]
	s_delay_alu instid0(VALU_DEP_1) | instskip(NEXT) | instid1(VALU_DEP_1)
	v_ashrrev_i32_e32 v3, 31, v2
	v_lshlrev_b64 v[0:1], 3, v[2:3]
	s_delay_alu instid0(VALU_DEP_1) | instskip(NEXT) | instid1(VALU_DEP_2)
	v_add_co_u32 v0, vcc_lo, s100, v0
	v_add_co_ci_u32_e32 v1, vcc_lo, s101, v1, vcc_lo
	global_load_b64 v[0:1], v[0:1], off
	s_waitcnt vmcnt(0)
	v_cvt_f16_f32_e32 v0, v0
	v_cvt_f16_f32_e32 v1, v1
	s_delay_alu instid0(VALU_DEP_1) | instskip(NEXT) | instid1(VALU_DEP_1)
	v_pack_b32_f16 v0, v0, v1
	v_pk_mul_f16 v0, v152, v0
	ds_store_b32 v178, v0 offset:1760
.LBB9_194:                              ;   in Loop: Header=BB9_12 Depth=1
	s_or_b32 exec_lo, exec_lo, s4
	v_add_nc_u32_e32 v1, s66, v96
	v_or_b32_e32 v0, s86, v97
	s_delay_alu instid0(VALU_DEP_2) | instskip(NEXT) | instid1(VALU_DEP_2)
	v_cmp_le_i32_e32 vcc_lo, s8, v1
	v_cmp_le_i32_e64 s4, s33, v0
	s_delay_alu instid0(VALU_DEP_1) | instskip(NEXT) | instid1(SALU_CYCLE_1)
	;; [unrolled: 35-line block ×3, first 2 shown]
	s_or_b32 s4, vcc_lo, s4
	s_and_saveexec_b32 s5, s4
	s_delay_alu instid0(SALU_CYCLE_1)
	s_xor_b32 s4, exec_lo, s5
	s_cbranch_execz .LBB9_200
; %bb.199:                              ;   in Loop: Header=BB9_12 Depth=1
	ds_store_b32 v178, v202 offset:2464
                                        ; implicit-def: $vgpr1
.LBB9_200:                              ;   in Loop: Header=BB9_12 Depth=1
	s_and_not1_saveexec_b32 s4, s4
	s_cbranch_execz .LBB9_202
; %bb.201:                              ;   in Loop: Header=BB9_12 Depth=1
	v_mad_u64_u32 v[2:3], null, v1, s51, v[143:144]
	s_delay_alu instid0(VALU_DEP_1) | instskip(NEXT) | instid1(VALU_DEP_1)
	v_ashrrev_i32_e32 v3, 31, v2
	v_lshlrev_b64 v[0:1], 3, v[2:3]
	s_delay_alu instid0(VALU_DEP_1) | instskip(NEXT) | instid1(VALU_DEP_2)
	v_add_co_u32 v0, vcc_lo, s100, v0
	v_add_co_ci_u32_e32 v1, vcc_lo, s101, v1, vcc_lo
	global_load_b64 v[0:1], v[0:1], off
	s_waitcnt vmcnt(0)
	v_cvt_f16_f32_e32 v0, v0
	v_cvt_f16_f32_e32 v1, v1
	s_delay_alu instid0(VALU_DEP_1) | instskip(NEXT) | instid1(VALU_DEP_1)
	v_pack_b32_f16 v0, v0, v1
	v_pk_mul_f16 v0, v152, v0
	ds_store_b32 v178, v0 offset:2464
.LBB9_202:                              ;   in Loop: Header=BB9_12 Depth=1
	s_or_b32 exec_lo, exec_lo, s4
	v_or_b32_e32 v0, s86, v181
	v_add_nc_u32_e32 v1, s66, v180
	s_delay_alu instid0(VALU_DEP_2) | instskip(NEXT) | instid1(VALU_DEP_2)
	v_cmp_gt_i32_e32 vcc_lo, s33, v0
	v_cmp_le_i32_e64 s4, s8, v1
	s_xor_b32 s5, vcc_lo, -1
	s_delay_alu instid0(VALU_DEP_1) | instid1(SALU_CYCLE_1)
	s_or_b32 s4, s4, s5
	s_delay_alu instid0(SALU_CYCLE_1) | instskip(NEXT) | instid1(SALU_CYCLE_1)
	s_and_saveexec_b32 s6, s4
	s_xor_b32 s4, exec_lo, s6
	s_cbranch_execz .LBB9_204
; %bb.203:                              ;   in Loop: Header=BB9_12 Depth=1
	ds_store_b32 v183, v202 offset:128
                                        ; implicit-def: $vgpr1
.LBB9_204:                              ;   in Loop: Header=BB9_12 Depth=1
	s_and_not1_saveexec_b32 s4, s4
	s_cbranch_execz .LBB9_206
; %bb.205:                              ;   in Loop: Header=BB9_12 Depth=1
	v_mad_u64_u32 v[2:3], null, v1, s51, v[119:120]
	s_delay_alu instid0(VALU_DEP_1) | instskip(NEXT) | instid1(VALU_DEP_1)
	v_ashrrev_i32_e32 v3, 31, v2
	v_lshlrev_b64 v[0:1], 3, v[2:3]
	s_delay_alu instid0(VALU_DEP_1) | instskip(NEXT) | instid1(VALU_DEP_2)
	v_add_co_u32 v0, vcc_lo, s100, v0
	v_add_co_ci_u32_e32 v1, vcc_lo, s101, v1, vcc_lo
	global_load_b64 v[0:1], v[0:1], off
	s_waitcnt vmcnt(0)
	v_cvt_f16_f32_e32 v0, v0
	v_cvt_f16_f32_e32 v1, v1
	s_delay_alu instid0(VALU_DEP_1) | instskip(NEXT) | instid1(VALU_DEP_1)
	v_pack_b32_f16 v0, v0, v1
	v_pk_mul_f16 v0, v152, v0
	ds_store_b32 v183, v0 offset:128
.LBB9_206:                              ;   in Loop: Header=BB9_12 Depth=1
	s_or_b32 exec_lo, exec_lo, s4
	v_add_nc_u32_e32 v1, s66, v184
	s_delay_alu instid0(VALU_DEP_1) | instskip(SKIP_1) | instid1(SALU_CYCLE_1)
	v_cmp_le_i32_e32 vcc_lo, s8, v1
	s_or_b32 s4, vcc_lo, s5
	s_and_saveexec_b32 s5, s4
	s_delay_alu instid0(SALU_CYCLE_1)
	s_xor_b32 s4, exec_lo, s5
	s_cbranch_execz .LBB9_208
; %bb.207:                              ;   in Loop: Header=BB9_12 Depth=1
	ds_store_b32 v183, v202 offset:1536
                                        ; implicit-def: $vgpr1
.LBB9_208:                              ;   in Loop: Header=BB9_12 Depth=1
	s_and_not1_saveexec_b32 s4, s4
	s_cbranch_execz .LBB9_210
; %bb.209:                              ;   in Loop: Header=BB9_12 Depth=1
	v_mad_u64_u32 v[2:3], null, v1, s51, v[119:120]
	s_delay_alu instid0(VALU_DEP_1) | instskip(NEXT) | instid1(VALU_DEP_1)
	v_ashrrev_i32_e32 v3, 31, v2
	v_lshlrev_b64 v[0:1], 3, v[2:3]
	s_delay_alu instid0(VALU_DEP_1) | instskip(NEXT) | instid1(VALU_DEP_2)
	v_add_co_u32 v0, vcc_lo, s100, v0
	v_add_co_ci_u32_e32 v1, vcc_lo, s101, v1, vcc_lo
	global_load_b64 v[0:1], v[0:1], off
	s_waitcnt vmcnt(0)
	v_cvt_f16_f32_e32 v0, v0
	v_cvt_f16_f32_e32 v1, v1
	s_delay_alu instid0(VALU_DEP_1) | instskip(NEXT) | instid1(VALU_DEP_1)
	v_pack_b32_f16 v0, v0, v1
	v_pk_mul_f16 v0, v152, v0
	ds_store_b32 v183, v0 offset:1536
.LBB9_210:                              ;   in Loop: Header=BB9_12 Depth=1
	s_or_b32 exec_lo, exec_lo, s4
	v_dual_mov_b32 v15, 0 :: v_dual_add_nc_u32 v0, v163, v227
	s_waitcnt lgkmcnt(0)
	s_waitcnt_vscnt null, 0x0
	s_barrier
	buffer_gl0_inv
	ds_load_b128 v[56:59], v0
	ds_load_b128 v[60:63], v0 offset:16
	ds_load_b128 v[48:51], v0 offset:32
	;; [unrolled: 1-line block ×9, first 2 shown]
	v_xor_b32_e32 v94, 16, v200
	s_cmp_lt_i32 s92, 2
	s_waitcnt lgkmcnt(0)
	s_barrier
	buffer_gl0_inv
	s_cbranch_scc1 .LBB9_215
; %bb.211:                              ;   in Loop: Header=BB9_12 Depth=1
	v_mov_b32_e32 v254, 0
	v_add_nc_u32_e32 v0, s89, v148
	s_add_i32 s67, s92, -1
	s_add_u32 s4, s97, s56
	s_addc_u32 s5, s98, s99
	v_mov_b32_e32 v33, v254
	v_lshl_add_u32 v0, v0, 1, v162
	s_add_u32 s6, s93, s95
	s_addc_u32 s7, s94, s96
	s_mov_b32 s56, s67
	v_mov_b32_e32 v32, 0
	v_mul_hi_u32 v1, s12, v0
	v_mov_b32_e32 v40, 0
	v_mov_b32_e32 v24, 0
	v_mov_b32_e32 v16, 0
	v_dual_mov_b32 v8, 0 :: v_dual_mov_b32 v95, 0xfeffffff
	v_add_nc_u32_e32 v1, v0, v1
	s_delay_alu instid0(VALU_DEP_1) | instskip(NEXT) | instid1(VALU_DEP_1)
	v_lshrrev_b32_e32 v1, s13, v1
	v_mul_lo_u32 v1, v1, s8
	s_delay_alu instid0(VALU_DEP_1)
	v_sub_nc_u32_e32 v2, v0, v1
	scratch_load_b32 v0, off, off offset:40 ; 4-byte Folded Reload
	s_waitcnt vmcnt(0)
	v_add_co_u32 v88, vcc_lo, v0, s4
	scratch_load_b32 v0, off, off offset:44 ; 4-byte Folded Reload
	s_waitcnt vmcnt(0)
	v_add_co_ci_u32_e32 v89, vcc_lo, s5, v0, vcc_lo
	v_mad_i64_i32 v[0:1], null, s58, v2, v[145:146]
	scratch_load_b32 v2, off, off offset:56 ; 4-byte Folded Reload
	s_waitcnt vmcnt(0)
	v_add_co_u32 v90, vcc_lo, v2, v0
	scratch_load_b32 v0, off, off offset:60 ; 4-byte Folded Reload
	s_waitcnt vmcnt(0)
	v_add_co_ci_u32_e32 v91, vcc_lo, v0, v1, vcc_lo
	scratch_load_b32 v0, off, off offset:48 ; 4-byte Folded Reload
	s_waitcnt vmcnt(0)
	v_add_co_u32 v92, vcc_lo, v0, s6
	scratch_load_b32 v0, off, off offset:52 ; 4-byte Folded Reload
	s_waitcnt vmcnt(0)
	v_add_co_ci_u32_e32 v93, vcc_lo, s7, v0, vcc_lo
	v_cmp_gt_i32_e32 vcc_lo, 32, v94
	v_cndmask_b32_e32 v0, v200, v94, vcc_lo
	s_delay_alu instid0(VALU_DEP_1)
	v_lshlrev_b32_e32 v145, 2, v0
	v_mov_b32_e32 v31, v254
	scratch_load_b32 v0, off, off offset:64 ; 4-byte Folded Reload
	v_mov_b32_e32 v34, v254
	v_mov_b32_e32 v35, v254
	;; [unrolled: 1-line block ×33, first 2 shown]
	s_waitcnt vmcnt(0)
	v_add_co_u32 v146, vcc_lo, v0, s4
	scratch_load_b32 v0, off, off offset:68 ; 4-byte Folded Reload
	s_waitcnt vmcnt(0)
	v_add_co_ci_u32_e32 v198, vcc_lo, s5, v0, vcc_lo
	scratch_load_b32 v0, off, off offset:72 ; 4-byte Folded Reload
	s_waitcnt vmcnt(0)
	v_add_co_u32 v215, vcc_lo, v0, s4
	scratch_load_b32 v0, off, off offset:76 ; 4-byte Folded Reload
	s_waitcnt vmcnt(0)
	v_add_co_ci_u32_e32 v126, vcc_lo, s5, v0, vcc_lo
	scratch_load_b32 v0, off, off offset:80 ; 4-byte Folded Reload
	;; [unrolled: 6-line block ×3, first 2 shown]
	s_waitcnt vmcnt(0)
	v_add_co_u32 v214, vcc_lo, v0, s4
	scratch_load_b32 v0, off, off offset:92 ; 4-byte Folded Reload
	s_waitcnt vmcnt(0)
	v_add_co_ci_u32_e32 v125, vcc_lo, s5, v0, vcc_lo
	v_add_co_u32 v193, vcc_lo, v190, s6
	v_add_co_ci_u32_e32 v194, vcc_lo, s7, v122, vcc_lo
	v_add_co_u32 v255, vcc_lo, v232, s6
	;; [unrolled: 2-line block ×4, first 2 shown]
	v_add_co_ci_u32_e32 v226, vcc_lo, s7, v199, vcc_lo
	s_and_saveexec_b32 s4, s0
	s_cbranch_execz .LBB9_213
.LBB9_212:                              ;   in Loop: Header=BB9_12 Depth=1
	global_load_b32 v0, v[90:91], off
	s_waitcnt vmcnt(0)
	ds_store_b32 v166, v0 offset:5632
.LBB9_213:                              ;   Parent Loop BB9_12 Depth=1
                                        ; =>  This Inner Loop Header: Depth=2
	s_or_b32 exec_lo, exec_lo, s4
	global_load_b128 v[0:3], v[92:93], off
	v_mov_b32_e32 v203, v202
	v_mov_b32_e32 v204, v202
	;; [unrolled: 1-line block ×7, first 2 shown]
	v_cmp_eq_u32_e64 s5, 0, v162
	v_cmp_eq_u32_e64 s6, 1, v162
	s_add_i32 s56, s56, -1
	s_delay_alu instid0(SALU_CYCLE_1)
	s_cmp_lg_u32 s56, 0
	s_waitcnt vmcnt(0)
	ds_store_b128 v167, v[0:3]
	v_add_co_u32 v0, vcc_lo, v193, v211
	v_add_co_ci_u32_e32 v1, vcc_lo, 0, v194, vcc_lo
	v_add_co_u32 v4, vcc_lo, v255, v211
	v_add_co_ci_u32_e32 v5, vcc_lo, 0, v124, vcc_lo
	global_load_b128 v[0:3], v[0:1], off
	global_load_b128 v[4:7], v[4:5], off
	s_waitcnt vmcnt(1)
	ds_store_b128 v182, v[0:3]
	s_waitcnt vmcnt(0)
	ds_store_b128 v233, v[4:7]
	v_add_co_u32 v0, vcc_lo, v191, v211
	v_add_co_ci_u32_e32 v1, vcc_lo, 0, v192, vcc_lo
	v_add_co_u32 v4, vcc_lo, v225, v211
	v_add_co_ci_u32_e32 v5, vcc_lo, 0, v226, vcc_lo
	global_load_b128 v[0:3], v[0:1], off
	global_load_b128 v[4:7], v[4:5], off
	s_waitcnt vmcnt(1)
	ds_store_b128 v234, v[0:3]
	s_waitcnt vmcnt(0)
	ds_store_b128 v235, v[4:7]
	s_waitcnt lgkmcnt(0)
	s_barrier
	buffer_gl0_inv
	ds_load_b128 v[217:220], v169
	ds_load_b128 v[221:224], v169 offset:16
	v_dual_mov_b32 v0, v202 :: v_dual_mov_b32 v1, v203
	v_dual_mov_b32 v2, v204 :: v_dual_mov_b32 v3, v205
	;; [unrolled: 1-line block ×4, first 2 shown]
	s_waitcnt lgkmcnt(0)
	s_delay_alu instid0(VALU_DEP_1)
	v_wmma_f32_16x16x16_f16 v[0:7], v[217:224], v[56:63], v[0:7]
	ds_load_b128 v[217:220], v169 offset:32
	ds_load_b128 v[221:224], v169 offset:48
	s_waitcnt lgkmcnt(0)
	v_wmma_f32_16x16x16_f16 v[0:7], v[217:224], v[48:55], v[0:7]
	ds_load_b128 v[217:220], v169 offset:64
	ds_load_b128 v[221:224], v169 offset:80
	s_waitcnt lgkmcnt(0)
	;; [unrolled: 4-line block ×4, first 2 shown]
	s_barrier
	buffer_gl0_inv
	ds_load_u16 v123, v170 offset:5632
	ds_load_u16 v127, v170 offset:5636
	;; [unrolled: 1-line block ×8, first 2 shown]
	s_waitcnt lgkmcnt(7)
	v_cvt_f32_f16_e32 v123, v123
	s_waitcnt lgkmcnt(6)
	v_cvt_f32_f16_e32 v127, v127
	s_waitcnt lgkmcnt(5)
	v_cvt_f32_f16_e64 v128, v128
	v_wmma_f32_16x16x16_f16 v[0:7], v[217:224], v[80:87], v[0:7]
	s_waitcnt lgkmcnt(4)
	v_cvt_f32_f16_e64 v129, v129
	s_waitcnt lgkmcnt(3)
	v_cvt_f32_f16_e64 v130, v130
	;; [unrolled: 2-line block ×5, first 2 shown]
	v_add_f32_e32 v134, v0, v123
	v_dual_add_f32 v203, v1, v127 :: v_dual_add_f32 v204, v2, v128
	v_add_f32_e32 v205, v3, v129
	s_delay_alu instid0(VALU_DEP_4)
	v_add_f32_e32 v1, v7, v133
	v_dual_add_f32 v3, v4, v130 :: v_dual_add_f32 v2, v5, v131
	v_add_f32_e32 v0, v6, v132
	global_load_b128 v[4:7], v[88:89], off
	s_waitcnt vmcnt(0)
	ds_store_b128 v167, v[4:7]
	v_add_co_u32 v4, vcc_lo, v146, v211
	v_add_co_ci_u32_e32 v5, vcc_lo, 0, v198, vcc_lo
	v_add_co_u32 v127, vcc_lo, v215, v211
	v_add_co_ci_u32_e32 v128, vcc_lo, 0, v126, vcc_lo
	global_load_b128 v[4:7], v[4:5], off
	global_load_b128 v[127:130], v[127:128], off
	s_waitcnt vmcnt(1)
	ds_store_b128 v182, v[4:7]
	s_waitcnt vmcnt(0)
	ds_store_b128 v233, v[127:130]
	v_add_co_u32 v4, vcc_lo, v195, v211
	v_add_co_ci_u32_e32 v5, vcc_lo, 0, v196, vcc_lo
	v_add_co_u32 v127, vcc_lo, v214, v211
	v_add_co_ci_u32_e32 v128, vcc_lo, 0, v125, vcc_lo
	global_load_b128 v[4:7], v[4:5], off
	global_load_b128 v[127:130], v[127:128], off
	s_waitcnt vmcnt(1)
	ds_store_b128 v234, v[4:7]
	s_waitcnt vmcnt(0)
	ds_store_b128 v235, v[127:130]
	v_dual_add_f32 v5, 0x40051340, v203 :: v_dual_add_f32 v4, 0x40051340, v134
	v_add_f32_e32 v6, 0x40051340, v205
	s_waitcnt lgkmcnt(0)
	s_barrier
	buffer_gl0_inv
	v_max3_f32 v4, v95, v4, v5
	v_add_f32_e32 v5, 0x40051340, v204
	s_delay_alu instid0(VALU_DEP_1) | instskip(SKIP_1) | instid1(VALU_DEP_1)
	v_max3_f32 v4, v4, v5, v6
	v_dual_add_f32 v6, 0x40051340, v2 :: v_dual_add_f32 v5, 0x40051340, v3
	v_max3_f32 v4, v4, v5, v6
	v_dual_add_f32 v6, 0x40051340, v1 :: v_dual_add_f32 v5, 0x40051340, v0
	s_delay_alu instid0(VALU_DEP_1) | instskip(SKIP_3) | instid1(VALU_DEP_1)
	v_max3_f32 v4, v4, v5, v6
	ds_bpermute_b32 v5, v145, v4
	s_waitcnt lgkmcnt(0)
	v_max_f32_e32 v5, v5, v5
	v_max_f32_e32 v123, v4, v5
	s_delay_alu instid0(VALU_DEP_1) | instskip(NEXT) | instid1(VALU_DEP_1)
	v_sub_f32_e32 v4, v203, v123
	v_mul_f32_e32 v5, 0x3fb8aa3b, v4
	v_cmp_ngt_f32_e32 vcc_lo, 0xc2ce8ed0, v4
	s_delay_alu instid0(VALU_DEP_2) | instskip(SKIP_1) | instid1(VALU_DEP_1)
	v_fma_f32 v6, 0x3fb8aa3b, v4, -v5
	v_rndne_f32_e32 v7, v5
	v_dual_fmac_f32 v6, 0x32a5705f, v4 :: v_dual_sub_f32 v5, v5, v7
	v_cvt_i32_f32_e32 v7, v7
	s_delay_alu instid0(VALU_DEP_2) | instskip(NEXT) | instid1(VALU_DEP_1)
	v_dual_add_f32 v5, v5, v6 :: v_dual_sub_f32 v6, v134, v123
	v_exp_f32_e32 v5, v5
	s_delay_alu instid0(VALU_DEP_1) | instskip(SKIP_1) | instid1(VALU_DEP_2)
	v_mul_f32_e32 v127, 0x3fb8aa3b, v6
	v_cmp_ngt_f32_e64 s4, 0xc2ce8ed0, v6
	v_fma_f32 v128, 0x3fb8aa3b, v6, -v127
	v_rndne_f32_e32 v129, v127
	s_waitcnt_depctr 0xfff
	v_ldexp_f32 v5, v5, v7
	v_dual_fmac_f32 v128, 0x32a5705f, v6 :: v_dual_sub_f32 v3, v3, v123
	v_sub_f32_e32 v127, v127, v129
	v_sub_f32_e32 v1, v1, v123
	s_delay_alu instid0(VALU_DEP_4) | instskip(SKIP_1) | instid1(VALU_DEP_4)
	v_cndmask_b32_e32 v5, 0, v5, vcc_lo
	v_cmp_nlt_f32_e32 vcc_lo, 0x42b17218, v4
	v_dual_sub_f32 v0, v0, v123 :: v_dual_add_f32 v127, v127, v128
	s_delay_alu instid0(VALU_DEP_3) | instskip(SKIP_1) | instid1(VALU_DEP_3)
	v_dual_sub_f32 v2, v2, v123 :: v_dual_cndmask_b32 v185, 0x7f800000, v5
	v_cmp_eq_u32_e32 vcc_lo, 1, v236
	v_exp_f32_e32 v7, v127
	v_cvt_i32_f32_e32 v127, v129
	s_waitcnt_depctr 0xfff
	v_ldexp_f32 v7, v7, v127
	s_delay_alu instid0(VALU_DEP_1)
	v_cndmask_b32_e64 v4, 0, v7, s4
	v_cmp_nlt_f32_e64 s4, 0x42b17218, v6
	ds_bpermute_b32 v6, v145, v185
	v_cndmask_b32_e64 v156, 0x7f800000, v4, s4
	v_cmp_eq_u32_e64 s4, 0, v236
	ds_bpermute_b32 v4, v145, v156
	s_waitcnt lgkmcnt(0)
	v_cndmask_b32_e64 v5, v156, v4, s4
	v_cndmask_b32_e32 v4, v156, v4, vcc_lo
	s_delay_alu instid0(VALU_DEP_2) | instskip(NEXT) | instid1(VALU_DEP_2)
	v_cndmask_b32_e64 v7, v5, v185, s5
	v_cndmask_b32_e64 v127, v4, v185, s6
	v_cvt_f16_f32_e32 v5, v5
	v_cvt_f16_f32_e32 v4, v4
	s_delay_alu instid0(VALU_DEP_4) | instskip(NEXT) | instid1(VALU_DEP_4)
	v_cndmask_b32_e64 v7, v7, v6, s4
	v_cndmask_b32_e32 v6, v127, v6, vcc_lo
	s_delay_alu instid0(VALU_DEP_3) | instskip(SKIP_1) | instid1(VALU_DEP_4)
	v_pack_b32_f16 v217, v5, v4
	v_sub_f32_e32 v4, v204, v123
	v_cvt_f16_f32_e32 v127, v7
	s_delay_alu instid0(VALU_DEP_4) | instskip(NEXT) | instid1(VALU_DEP_3)
	v_cvt_f16_f32_e64 v128, v6
	v_mul_f32_e32 v5, 0x3fb8aa3b, v4
	v_cmp_ngt_f32_e64 s7, 0xc2ce8ed0, v4
	s_delay_alu instid0(VALU_DEP_3) | instskip(NEXT) | instid1(VALU_DEP_3)
	v_pack_b32_f16 v218, v127, v128
	v_fma_f32 v127, 0x3fb8aa3b, v4, -v5
	v_rndne_f32_e32 v128, v5
	s_delay_alu instid0(VALU_DEP_2) | instskip(NEXT) | instid1(VALU_DEP_2)
	v_fmac_f32_e32 v127, 0x32a5705f, v4
	v_sub_f32_e32 v5, v5, v128
	s_delay_alu instid0(VALU_DEP_1) | instskip(SKIP_1) | instid1(VALU_DEP_2)
	v_add_f32_e32 v5, v5, v127
	v_cvt_i32_f32_e32 v127, v128
	v_exp_f32_e32 v5, v5
	s_waitcnt_depctr 0xfff
	v_ldexp_f32 v5, v5, v127
	s_delay_alu instid0(VALU_DEP_1) | instskip(SKIP_1) | instid1(VALU_DEP_1)
	v_cndmask_b32_e64 v5, 0, v5, s7
	v_cmp_nlt_f32_e64 s7, 0x42b17218, v4
	v_cndmask_b32_e64 v136, 0x7f800000, v5, s7
	s_delay_alu instid0(VALU_DEP_1) | instskip(SKIP_3) | instid1(VALU_DEP_1)
	v_cndmask_b32_e64 v5, v6, v136, s6
	ds_bpermute_b32 v6, v145, v136
	v_cndmask_b32_e64 v4, v7, v136, s5
	s_waitcnt lgkmcnt(0)
	v_cndmask_b32_e64 v4, v4, v6, s4
	v_cndmask_b32_e32 v5, v5, v6, vcc_lo
	s_delay_alu instid0(VALU_DEP_2) | instskip(NEXT) | instid1(VALU_DEP_2)
	v_cvt_f16_f32_e32 v6, v4
	v_cvt_f16_f32_e32 v7, v5
	s_delay_alu instid0(VALU_DEP_1) | instskip(SKIP_1) | instid1(VALU_DEP_1)
	v_pack_b32_f16 v219, v6, v7
	v_sub_f32_e32 v6, v205, v123
	v_mul_f32_e32 v7, 0x3fb8aa3b, v6
	v_cmp_ngt_f32_e64 s7, 0xc2ce8ed0, v6
	s_delay_alu instid0(VALU_DEP_2) | instskip(SKIP_1) | instid1(VALU_DEP_2)
	v_fma_f32 v127, 0x3fb8aa3b, v6, -v7
	v_rndne_f32_e32 v128, v7
	v_fmac_f32_e32 v127, 0x32a5705f, v6
	s_delay_alu instid0(VALU_DEP_2) | instskip(NEXT) | instid1(VALU_DEP_1)
	v_sub_f32_e32 v7, v7, v128
	v_add_f32_e32 v7, v7, v127
	v_cvt_i32_f32_e32 v127, v128
	s_delay_alu instid0(VALU_DEP_2) | instskip(SKIP_2) | instid1(VALU_DEP_1)
	v_exp_f32_e32 v7, v7
	s_waitcnt_depctr 0xfff
	v_ldexp_f32 v7, v7, v127
	v_cndmask_b32_e64 v7, 0, v7, s7
	v_cmp_nlt_f32_e64 s7, 0x42b17218, v6
	s_delay_alu instid0(VALU_DEP_1)
	v_cndmask_b32_e64 v186, 0x7f800000, v7, s7
	v_cmp_ngt_f32_e64 s7, 0xc2ce8ed0, v3
	ds_bpermute_b32 v6, v145, v186
	v_cndmask_b32_e64 v4, v4, v186, s5
	v_cndmask_b32_e64 v5, v5, v186, s6
	s_waitcnt lgkmcnt(0)
	s_delay_alu instid0(VALU_DEP_2) | instskip(NEXT) | instid1(VALU_DEP_2)
	v_cndmask_b32_e64 v4, v4, v6, s4
	v_cndmask_b32_e32 v5, v5, v6, vcc_lo
	s_delay_alu instid0(VALU_DEP_2) | instskip(NEXT) | instid1(VALU_DEP_2)
	v_cvt_f16_f32_e32 v6, v4
	v_cvt_f16_f32_e32 v7, v5
	s_delay_alu instid0(VALU_DEP_1) | instskip(SKIP_1) | instid1(VALU_DEP_1)
	v_pack_b32_f16 v220, v6, v7
	v_mul_f32_e32 v6, 0x3fb8aa3b, v3
	v_fma_f32 v7, 0x3fb8aa3b, v3, -v6
	v_rndne_f32_e32 v127, v6
	s_delay_alu instid0(VALU_DEP_2) | instskip(NEXT) | instid1(VALU_DEP_2)
	v_fmac_f32_e32 v7, 0x32a5705f, v3
	v_sub_f32_e32 v6, v6, v127
	s_delay_alu instid0(VALU_DEP_1) | instskip(SKIP_1) | instid1(VALU_DEP_2)
	v_add_f32_e32 v6, v6, v7
	v_cvt_i32_f32_e32 v7, v127
	v_exp_f32_e32 v6, v6
	s_waitcnt_depctr 0xfff
	v_ldexp_f32 v6, v6, v7
	s_delay_alu instid0(VALU_DEP_1) | instskip(SKIP_1) | instid1(VALU_DEP_1)
	v_cndmask_b32_e64 v6, 0, v6, s7
	v_cmp_nlt_f32_e64 s7, 0x42b17218, v3
	v_cndmask_b32_e64 v213, 0x7f800000, v6, s7
	v_cmp_ngt_f32_e64 s7, 0xc2ce8ed0, v2
	s_delay_alu instid0(VALU_DEP_2)
	v_cndmask_b32_e64 v3, v4, v213, s5
	v_cndmask_b32_e64 v4, v5, v213, s6
	ds_bpermute_b32 v5, v145, v213
	s_waitcnt lgkmcnt(0)
	v_cndmask_b32_e64 v3, v3, v5, s4
	v_cndmask_b32_e32 v4, v4, v5, vcc_lo
	s_delay_alu instid0(VALU_DEP_2) | instskip(NEXT) | instid1(VALU_DEP_2)
	v_cvt_f16_f32_e32 v5, v3
	v_cvt_f16_f32_e32 v6, v4
	s_delay_alu instid0(VALU_DEP_1) | instskip(SKIP_1) | instid1(VALU_DEP_1)
	v_pack_b32_f16 v221, v5, v6
	v_mul_f32_e32 v5, 0x3fb8aa3b, v2
	v_fma_f32 v6, 0x3fb8aa3b, v2, -v5
	v_rndne_f32_e32 v7, v5
	s_delay_alu instid0(VALU_DEP_1) | instskip(NEXT) | instid1(VALU_DEP_1)
	v_dual_fmac_f32 v6, 0x32a5705f, v2 :: v_dual_sub_f32 v5, v5, v7
	v_add_f32_e32 v5, v5, v6
	v_cvt_i32_f32_e32 v6, v7
	s_delay_alu instid0(VALU_DEP_2) | instskip(SKIP_2) | instid1(VALU_DEP_1)
	v_exp_f32_e32 v5, v5
	s_waitcnt_depctr 0xfff
	v_ldexp_f32 v5, v5, v6
	v_cndmask_b32_e64 v5, 0, v5, s7
	v_cmp_nlt_f32_e64 s7, 0x42b17218, v2
	s_delay_alu instid0(VALU_DEP_1) | instskip(SKIP_1) | instid1(VALU_DEP_2)
	v_cndmask_b32_e64 v253, 0x7f800000, v5, s7
	v_cmp_ngt_f32_e64 s7, 0xc2ce8ed0, v0
	v_cndmask_b32_e64 v2, v3, v253, s5
	v_cndmask_b32_e64 v3, v4, v253, s6
	ds_bpermute_b32 v4, v145, v253
	s_waitcnt lgkmcnt(0)
	v_cndmask_b32_e64 v2, v2, v4, s4
	v_cndmask_b32_e32 v3, v3, v4, vcc_lo
	s_delay_alu instid0(VALU_DEP_2) | instskip(NEXT) | instid1(VALU_DEP_2)
	v_cvt_f16_f32_e32 v4, v2
	v_cvt_f16_f32_e32 v5, v3
	s_delay_alu instid0(VALU_DEP_1) | instskip(SKIP_1) | instid1(VALU_DEP_1)
	v_pack_b32_f16 v222, v4, v5
	v_mul_f32_e32 v4, 0x3fb8aa3b, v0
	v_fma_f32 v5, 0x3fb8aa3b, v0, -v4
	v_rndne_f32_e32 v6, v4
	s_delay_alu instid0(VALU_DEP_1) | instskip(NEXT) | instid1(VALU_DEP_1)
	v_dual_fmac_f32 v5, 0x32a5705f, v0 :: v_dual_sub_f32 v4, v4, v6
	v_add_f32_e32 v4, v4, v5
	v_cvt_i32_f32_e32 v5, v6
	s_delay_alu instid0(VALU_DEP_2) | instskip(SKIP_2) | instid1(VALU_DEP_1)
	v_exp_f32_e32 v4, v4
	s_waitcnt_depctr 0xfff
	v_ldexp_f32 v4, v4, v5
	v_cndmask_b32_e64 v4, 0, v4, s7
	v_cmp_nlt_f32_e64 s7, 0x42b17218, v0
	s_delay_alu instid0(VALU_DEP_1) | instskip(SKIP_1) | instid1(VALU_DEP_2)
	v_cndmask_b32_e64 v147, 0x7f800000, v4, s7
	v_cmp_ngt_f32_e64 s7, 0xc2ce8ed0, v1
	v_cndmask_b32_e64 v0, v2, v147, s5
	v_cndmask_b32_e64 v2, v3, v147, s6
	ds_bpermute_b32 v3, v145, v147
	s_waitcnt lgkmcnt(0)
	v_cndmask_b32_e64 v0, v0, v3, s4
	v_cndmask_b32_e32 v2, v2, v3, vcc_lo
	s_delay_alu instid0(VALU_DEP_2) | instskip(NEXT) | instid1(VALU_DEP_2)
	v_cvt_f16_f32_e32 v3, v0
	v_cvt_f16_f32_e32 v4, v2
	s_delay_alu instid0(VALU_DEP_1) | instskip(SKIP_1) | instid1(VALU_DEP_1)
	v_pack_b32_f16 v223, v3, v4
	v_mul_f32_e32 v3, 0x3fb8aa3b, v1
	v_fma_f32 v4, 0x3fb8aa3b, v1, -v3
	v_rndne_f32_e32 v5, v3
	s_delay_alu instid0(VALU_DEP_2) | instskip(NEXT) | instid1(VALU_DEP_2)
	v_fmac_f32_e32 v4, 0x32a5705f, v1
	v_sub_f32_e32 v3, v3, v5
	s_delay_alu instid0(VALU_DEP_1) | instskip(SKIP_1) | instid1(VALU_DEP_2)
	v_add_f32_e32 v3, v3, v4
	v_cvt_i32_f32_e32 v4, v5
	v_exp_f32_e32 v3, v3
	s_waitcnt_depctr 0xfff
	v_ldexp_f32 v3, v3, v4
	s_delay_alu instid0(VALU_DEP_1) | instskip(SKIP_1) | instid1(VALU_DEP_1)
	v_cndmask_b32_e64 v3, 0, v3, s7
	v_cmp_nlt_f32_e64 s7, 0x42b17218, v1
	v_cndmask_b32_e64 v189, 0x7f800000, v3, s7
	s_delay_alu instid0(VALU_DEP_1) | instskip(SKIP_3) | instid1(VALU_DEP_1)
	v_cndmask_b32_e64 v1, v2, v189, s6
	ds_bpermute_b32 v2, v145, v189
	v_cndmask_b32_e64 v0, v0, v189, s5
	s_waitcnt lgkmcnt(0)
	v_cndmask_b32_e64 v0, v0, v2, s4
	v_cndmask_b32_e32 v1, v1, v2, vcc_lo
	s_delay_alu instid0(VALU_DEP_2) | instskip(NEXT) | instid1(VALU_DEP_2)
	v_cvt_f16_f32_e32 v0, v0
	v_cvt_f16_f32_e32 v1, v1
	s_delay_alu instid0(VALU_DEP_1) | instskip(SKIP_1) | instid1(VALU_DEP_1)
	v_pack_b32_f16 v224, v0, v1
	v_sub_f32_e32 v0, v95, v123
	v_mul_f32_e32 v1, 0x3fb8aa3b, v0
	v_cmp_ngt_f32_e32 vcc_lo, 0xc2ce8ed0, v0
	s_delay_alu instid0(VALU_DEP_2) | instskip(SKIP_1) | instid1(VALU_DEP_1)
	v_fma_f32 v2, 0x3fb8aa3b, v0, -v1
	v_rndne_f32_e32 v3, v1
	v_dual_fmac_f32 v2, 0x32a5705f, v0 :: v_dual_sub_f32 v1, v1, v3
	s_delay_alu instid0(VALU_DEP_1) | instskip(SKIP_1) | instid1(VALU_DEP_2)
	v_add_f32_e32 v1, v1, v2
	v_cvt_i32_f32_e32 v2, v3
	v_exp_f32_e32 v1, v1
	s_waitcnt_depctr 0xfff
	v_ldexp_f32 v1, v1, v2
	s_delay_alu instid0(VALU_DEP_1) | instskip(SKIP_1) | instid1(VALU_DEP_2)
	v_cndmask_b32_e32 v1, 0, v1, vcc_lo
	v_cmp_nlt_f32_e32 vcc_lo, 0x42b17218, v0
	v_cndmask_b32_e32 v1, 0x7f800000, v1, vcc_lo
	v_cmp_le_f32_e32 vcc_lo, 0xc1a00000, v0
	s_delay_alu instid0(VALU_DEP_2)
	v_cndmask_b32_e32 v212, 0, v1, vcc_lo
	ds_load_u16 v6, v228 offset:2112
	ds_load_u16 v7, v228 offset:2464
	;; [unrolled: 1-line block ×25, first 2 shown]
	ds_load_u16 v0, v228
	ds_load_u16 v203, v228 offset:32
	ds_load_u16 v127, v228 offset:64
	;; [unrolled: 1-line block ×12, first 2 shown]
	s_waitcnt lgkmcnt(32)
	ds_load_u16_d16_hi v205, v228 offset:912
	s_waitcnt lgkmcnt(32)
	ds_load_u16_d16_hi v206, v228 offset:1264
	;; [unrolled: 2-line block ×3, first 2 shown]
	ds_load_u16 v4, v228 offset:1408
	s_waitcnt lgkmcnt(19)
	ds_load_u16_d16_hi v240, v228 offset:1328
	s_waitcnt lgkmcnt(19)
	ds_load_u16_d16_hi v239, v228 offset:976
	ds_load_u16_d16_hi v3, v228 offset:1232
	;; [unrolled: 1-line block ×6, first 2 shown]
	s_waitcnt lgkmcnt(19)
	ds_load_u16_d16_hi v249, v228 offset:1712
	ds_load_u16_d16_hi v5, v228 offset:1936
	;; [unrolled: 1-line block ×5, first 2 shown]
	s_waitcnt lgkmcnt(20)
	ds_load_u16_d16_hi v251, v228 offset:2416
	ds_load_u16_d16_hi v7, v228 offset:2640
	;; [unrolled: 1-line block ×7, first 2 shown]
	ds_load_u16 v245, v228 offset:128
	ds_load_u16_d16_hi v0, v228 offset:176
	ds_load_u16_d16_hi v1, v228 offset:528
	v_mul_f32_e32 v28, v28, v212
	s_waitcnt lgkmcnt(22)
	ds_load_u16_d16_hi v4, v228 offset:1584
	ds_load_u16_d16_hi v2, v228 offset:880
	v_mul_f32_e32 v40, v40, v212
	v_mul_f32_e32 v41, v41, v212
	;; [unrolled: 1-line block ×8, first 2 shown]
	v_add_co_u32 v90, vcc_lo, v90, 64
	v_add_co_ci_u32_e32 v91, vcc_lo, 0, v91, vcc_lo
	v_add_co_u32 v146, vcc_lo, v146, s60
	v_add_co_ci_u32_e32 v198, vcc_lo, s61, v198, vcc_lo
	;; [unrolled: 2-line block ×3, first 2 shown]
	s_waitcnt lgkmcnt(0)
	v_wmma_f32_16x16x16_f16 v[40:47], v[0:7], v[217:224], v[40:47]
	v_add_f32_e32 v0, v156, v185
	v_add_co_u32 v195, vcc_lo, v195, s60
	v_add_co_ci_u32_e32 v196, vcc_lo, s61, v196, vcc_lo
	s_delay_alu instid0(VALU_DEP_3)
	v_add_f32_e32 v0, v136, v0
	ds_load_u16_d16_hi v129, v228 offset:944
	ds_load_u16_d16_hi v130, v228 offset:1296
	;; [unrolled: 1-line block ×14, first 2 shown]
	v_add_co_u32 v214, vcc_lo, v214, s60
	v_add_f32_e32 v0, v186, v0
	v_add_co_ci_u32_e32 v125, vcc_lo, s61, v125, vcc_lo
	v_add_co_u32 v92, vcc_lo, v92, s62
	s_delay_alu instid0(VALU_DEP_3) | instskip(SKIP_2) | instid1(VALU_DEP_3)
	v_add_f32_e32 v0, v213, v0
	v_add_co_ci_u32_e32 v93, vcc_lo, s63, v93, vcc_lo
	v_add_co_u32 v193, vcc_lo, v193, s62
	v_add_f32_e32 v0, v253, v0
	v_add_co_ci_u32_e32 v194, vcc_lo, s63, v194, vcc_lo
	v_add_co_u32 v255, vcc_lo, v255, s62
	s_delay_alu instid0(VALU_DEP_3)
	v_add_f32_e32 v0, v147, v0
	v_add_co_ci_u32_e32 v124, vcc_lo, s63, v124, vcc_lo
	v_add_co_u32 v191, vcc_lo, v191, s62
	v_add_co_ci_u32_e32 v192, vcc_lo, s63, v192, vcc_lo
	v_mul_f32_e32 v32, v32, v212
	v_mul_f32_e32 v33, v33, v212
	;; [unrolled: 1-line block ×31, first 2 shown]
	v_add_f32_e32 v95, v189, v0
	v_add_co_u32 v88, vcc_lo, v88, s60
	v_add_co_ci_u32_e32 v89, vcc_lo, s61, v89, vcc_lo
	v_add_co_u32 v225, vcc_lo, v225, s62
	s_waitcnt lgkmcnt(9)
	v_wmma_f32_16x16x16_f16 v[32:39], v[203:210], v[217:224], v[32:39]
	s_waitcnt lgkmcnt(6)
	v_wmma_f32_16x16x16_f16 v[24:31], v[127:134], v[217:224], v[24:31]
	;; [unrolled: 2-line block ×3, first 2 shown]
	v_wmma_f32_16x16x16_f16 v[8:15], v[245:252], v[217:224], v[8:15]
	v_fmac_f32_e32 v95, v254, v212
	v_add_co_ci_u32_e32 v226, vcc_lo, s63, v226, vcc_lo
	s_barrier
	buffer_gl0_inv
	s_cbranch_scc0 .LBB9_216
; %bb.214:                              ;   in Loop: Header=BB9_213 Depth=2
	v_mov_b32_e32 v254, v95
	v_mov_b32_e32 v95, v123
	s_and_saveexec_b32 s4, s0
	s_cbranch_execnz .LBB9_212
	s_branch .LBB9_213
.LBB9_215:                              ;   in Loop: Header=BB9_12 Depth=1
	v_dual_mov_b32 v14, 0 :: v_dual_mov_b32 v13, 0
	v_dual_mov_b32 v12, 0 :: v_dual_mov_b32 v11, 0
	;; [unrolled: 1-line block ×20, first 2 shown]
	v_mov_b32_e32 v95, 0
	s_mov_b32 s67, 0
.LBB9_216:                              ;   in Loop: Header=BB9_12 Depth=1
	s_delay_alu instid0(SALU_CYCLE_1)
	s_lshl_b32 s56, s67, 5
	s_and_saveexec_b32 s4, s0
	s_cbranch_execz .LBB9_218
; %bb.217:                              ;   in Loop: Header=BB9_12 Depth=1
	v_add_nc_u32_e32 v0, s89, v148
	s_lshl_b64 s[6:7], s[56:57], 1
	v_lshlrev_b32_e32 v4, 1, v164
	s_delay_alu instid0(VALU_DEP_2) | instskip(NEXT) | instid1(VALU_DEP_1)
	v_lshl_or_b32 v0, v0, 1, v162
	v_mul_hi_u32 v1, s12, v0
	s_delay_alu instid0(VALU_DEP_1) | instskip(NEXT) | instid1(VALU_DEP_1)
	v_add_nc_u32_e32 v1, v0, v1
	v_lshrrev_b32_e32 v1, s13, v1
	s_delay_alu instid0(VALU_DEP_1) | instskip(NEXT) | instid1(VALU_DEP_1)
	v_mul_lo_u32 v1, v1, s8
	v_sub_nc_u32_e32 v2, v0, v1
	s_delay_alu instid0(VALU_DEP_1) | instskip(SKIP_2) | instid1(VALU_DEP_3)
	v_mad_i64_i32 v[0:1], null, v2, s40, 0
	v_add_co_u32 v2, vcc_lo, v201, s6
	v_add_co_ci_u32_e32 v3, vcc_lo, s7, v197, vcc_lo
	v_lshlrev_b64 v[0:1], 1, v[0:1]
	s_delay_alu instid0(VALU_DEP_1) | instskip(NEXT) | instid1(VALU_DEP_2)
	v_add_co_u32 v0, vcc_lo, v2, v0
	v_add_co_ci_u32_e32 v1, vcc_lo, v3, v1, vcc_lo
	s_delay_alu instid0(VALU_DEP_2) | instskip(NEXT) | instid1(VALU_DEP_2)
	v_add_co_u32 v0, vcc_lo, v0, v4
	v_add_co_ci_u32_e32 v1, vcc_lo, 0, v1, vcc_lo
	global_load_b32 v0, v[0:1], off
	s_waitcnt vmcnt(0)
	ds_store_b32 v166, v0 offset:5632
.LBB9_218:                              ;   in Loop: Header=BB9_12 Depth=1
	s_or_b32 exec_lo, exec_lo, s4
	s_mul_i32 s5, s56, s35
	s_mul_hi_u32 s6, s56, s34
	s_mul_i32 s4, s56, s34
	s_add_i32 s5, s6, s5
	v_dual_mov_b32 v203, v202 :: v_dual_lshlrev_b32 v88, 2, v165
	s_lshl_b64 s[4:5], s[4:5], 2
	v_dual_mov_b32 v204, v202 :: v_dual_lshlrev_b32 v89, 2, v168
	s_add_u32 s4, s90, s4
	s_addc_u32 s5, s91, s5
	v_add_co_u32 v0, vcc_lo, s4, v100
	v_add_co_ci_u32_e32 v2, vcc_lo, s5, v101, vcc_lo
	v_mov_b32_e32 v205, v202
	s_delay_alu instid0(VALU_DEP_3) | instskip(NEXT) | instid1(VALU_DEP_3)
	v_add_co_u32 v1, vcc_lo, v0, v88
	v_add_co_ci_u32_e32 v2, vcc_lo, 0, v2, vcc_lo
	v_add_co_u32 v0, vcc_lo, s4, v111
	v_add_co_ci_u32_e32 v3, vcc_lo, s5, v112, vcc_lo
	v_mov_b32_e32 v206, v202
	s_delay_alu instid0(VALU_DEP_3) | instskip(NEXT) | instid1(VALU_DEP_3)
	v_add_co_u32 v4, vcc_lo, v0, v89
	v_add_co_ci_u32_e32 v5, vcc_lo, 0, v3, vcc_lo
	s_clause 0x1
	global_load_b128 v[0:3], v[1:2], off offset:128
	global_load_b128 v[4:7], v[4:5], off
	v_mov_b32_e32 v207, v202
	v_mov_b32_e32 v208, v202
	;; [unrolled: 1-line block ×3, first 2 shown]
	v_dual_mov_b32 v124, v202 :: v_dual_mov_b32 v125, v203
	v_dual_mov_b32 v126, v204 :: v_dual_mov_b32 v127, v205
	;; [unrolled: 1-line block ×3, first 2 shown]
	s_delay_alu instid0(VALU_DEP_4)
	v_dual_mov_b32 v130, v208 :: v_dual_mov_b32 v131, v209
	s_mul_hi_u32 s6, s56, s10
	s_waitcnt vmcnt(1)
	ds_store_b128 v167, v[0:3]
	v_add_co_u32 v0, vcc_lo, s4, v113
	v_add_co_ci_u32_e32 v1, vcc_lo, s5, v114, vcc_lo
	s_delay_alu instid0(VALU_DEP_2) | instskip(NEXT) | instid1(VALU_DEP_2)
	v_add_co_u32 v0, vcc_lo, v0, v89
	v_add_co_ci_u32_e32 v1, vcc_lo, 0, v1, vcc_lo
	v_add_co_u32 v2, vcc_lo, s4, v115
	v_add_co_ci_u32_e32 v3, vcc_lo, s5, v116, vcc_lo
	s_delay_alu instid0(VALU_DEP_2) | instskip(NEXT) | instid1(VALU_DEP_2)
	v_add_co_u32 v90, vcc_lo, v2, v89
	v_add_co_ci_u32_e32 v91, vcc_lo, 0, v3, vcc_lo
	s_clause 0x1
	global_load_b128 v[0:3], v[0:1], off
	global_load_b128 v[90:93], v[90:91], off
	s_waitcnt vmcnt(2)
	ds_store_b128 v182, v[4:7]
	s_waitcnt vmcnt(1)
	ds_store_b128 v233, v[0:3]
	v_add_co_u32 v0, vcc_lo, s4, v117
	v_add_co_ci_u32_e32 v1, vcc_lo, s5, v118, vcc_lo
	s_mul_i32 s5, s56, s11
	s_delay_alu instid0(VALU_DEP_2) | instskip(NEXT) | instid1(VALU_DEP_2)
	v_add_co_u32 v0, vcc_lo, v0, v89
	v_add_co_ci_u32_e32 v1, vcc_lo, 0, v1, vcc_lo
	v_cmp_gt_i32_e32 vcc_lo, 32, v94
	s_mul_i32 s4, s56, s10
	s_add_i32 s5, s6, s5
	global_load_b128 v[0:3], v[0:1], off
	s_lshl_b64 s[4:5], s[4:5], 2
	v_cmp_eq_u32_e64 s6, 1, v162
	s_add_u32 s4, s87, s4
	s_addc_u32 s5, s88, s5
	s_cmp_lg_u64 s[64:65], 0
	s_waitcnt vmcnt(1)
	ds_store_b128 v234, v[90:93]
	s_waitcnt vmcnt(0)
	ds_store_b128 v235, v[0:3]
	s_waitcnt lgkmcnt(0)
	s_barrier
	buffer_gl0_inv
	ds_load_b128 v[0:3], v169
	ds_load_b128 v[4:7], v169 offset:16
	s_waitcnt lgkmcnt(0)
	v_wmma_f32_16x16x16_f16 v[124:131], v[0:7], v[56:63], v[124:131]
	ds_load_b128 v[0:3], v169 offset:32
	ds_load_b128 v[4:7], v169 offset:48
	s_waitcnt lgkmcnt(0)
	v_wmma_f32_16x16x16_f16 v[124:131], v[0:7], v[48:55], v[124:131]
	ds_load_b128 v[0:3], v169 offset:64
	;; [unrolled: 4-line block ×4, first 2 shown]
	ds_load_b128 v[4:7], v169 offset:144
	s_waitcnt lgkmcnt(0)
	s_barrier
	buffer_gl0_inv
	v_wmma_f32_16x16x16_f16 v[124:131], v[0:7], v[80:87], v[124:131]
	ds_load_u16 v0, v170 offset:5632
	ds_load_u16 v1, v170 offset:5636
	;; [unrolled: 1-line block ×8, first 2 shown]
	s_waitcnt lgkmcnt(7)
	v_cvt_f32_f16_e32 v0, v0
	s_waitcnt lgkmcnt(6)
	v_cvt_f32_f16_e32 v1, v1
	;; [unrolled: 2-line block ×5, first 2 shown]
	v_add_f32_e32 v56, v124, v0
	s_waitcnt lgkmcnt(1)
	v_cvt_f32_f16_e32 v6, v6
	v_add_f32_e32 v57, v125, v1
	v_cvt_f32_f16_e32 v5, v5
	s_waitcnt lgkmcnt(0)
	v_cvt_f32_f16_e32 v7, v7
	v_dual_add_f32 v55, v126, v2 :: v_dual_add_f32 v54, v127, v3
	v_dual_add_f32 v51, v130, v6 :: v_dual_add_f32 v0, 0x40051340, v56
	v_add_f32_e32 v1, 0x40051340, v57
	s_delay_alu instid0(VALU_DEP_3) | instskip(SKIP_2) | instid1(VALU_DEP_4)
	v_dual_add_f32 v53, v128, v4 :: v_dual_add_f32 v2, 0x40051340, v54
	v_add_f32_e32 v52, v129, v5
	v_add_f32_e32 v50, v131, v7
	v_max3_f32 v0, v123, v0, v1
	v_add_f32_e32 v1, 0x40051340, v55
	s_delay_alu instid0(VALU_DEP_1) | instskip(SKIP_1) | instid1(VALU_DEP_1)
	v_max3_f32 v0, v0, v1, v2
	v_dual_add_f32 v2, 0x40051340, v52 :: v_dual_add_f32 v1, 0x40051340, v53
	v_max3_f32 v0, v0, v1, v2
	v_dual_add_f32 v2, 0x40051340, v50 :: v_dual_add_f32 v1, 0x40051340, v51
	s_delay_alu instid0(VALU_DEP_1) | instskip(SKIP_1) | instid1(VALU_DEP_1)
	v_max3_f32 v0, v0, v1, v2
	v_cndmask_b32_e32 v1, v200, v94, vcc_lo
	v_lshlrev_b32_e32 v48, 2, v1
	ds_bpermute_b32 v1, v48, v0
	s_waitcnt lgkmcnt(0)
	v_max_f32_e32 v1, v1, v1
	s_delay_alu instid0(VALU_DEP_1) | instskip(NEXT) | instid1(VALU_DEP_1)
	v_max_f32_e32 v49, v0, v1
	v_sub_f32_e32 v0, v123, v49
	s_delay_alu instid0(VALU_DEP_1) | instskip(SKIP_1) | instid1(VALU_DEP_2)
	v_mul_f32_e32 v1, 0x3fb8aa3b, v0
	v_cmp_ngt_f32_e32 vcc_lo, 0xc2ce8ed0, v0
	v_fma_f32 v2, 0x3fb8aa3b, v0, -v1
	v_rndne_f32_e32 v3, v1
	s_delay_alu instid0(VALU_DEP_1) | instskip(NEXT) | instid1(VALU_DEP_1)
	v_dual_fmac_f32 v2, 0x32a5705f, v0 :: v_dual_sub_f32 v1, v1, v3
	v_add_f32_e32 v1, v1, v2
	v_cvt_i32_f32_e32 v2, v3
	s_delay_alu instid0(VALU_DEP_2) | instskip(SKIP_2) | instid1(VALU_DEP_1)
	v_exp_f32_e32 v1, v1
	s_waitcnt_depctr 0xfff
	v_ldexp_f32 v1, v1, v2
	v_cndmask_b32_e32 v1, 0, v1, vcc_lo
	v_cmp_nlt_f32_e32 vcc_lo, 0x42b17218, v0
	s_delay_alu instid0(VALU_DEP_2) | instskip(SKIP_1) | instid1(VALU_DEP_2)
	v_cndmask_b32_e32 v1, 0x7f800000, v1, vcc_lo
	v_cmp_le_f32_e32 vcc_lo, 0xc1a00000, v0
	v_cndmask_b32_e32 v58, 0, v1, vcc_lo
	v_add_co_u32 v0, vcc_lo, s4, v98
	s_delay_alu instid0(VALU_DEP_2) | instskip(SKIP_4) | instid1(VALU_DEP_3)
	v_mul_f32_e32 v42, v42, v58
	v_mul_f32_e32 v3, v10, v58
	v_add_co_ci_u32_e32 v10, vcc_lo, s5, v99, vcc_lo
	v_mul_f32_e32 v2, v9, v58
	v_add_co_u32 v9, vcc_lo, v0, v88
	v_add_co_ci_u32_e32 v10, vcc_lo, 0, v10, vcc_lo
	v_add_co_u32 v0, vcc_lo, s4, v102
	v_mul_f32_e32 v4, v11, v58
	v_add_co_ci_u32_e32 v11, vcc_lo, s5, v103, vcc_lo
	v_mul_f32_e32 v6, v13, v58
	s_delay_alu instid0(VALU_DEP_4) | instskip(SKIP_1) | instid1(VALU_DEP_4)
	v_add_co_u32 v13, vcc_lo, v0, v89
	v_mul_f32_e32 v7, v14, v58
	v_add_co_ci_u32_e32 v14, vcc_lo, 0, v11, vcc_lo
	v_mul_f32_e32 v5, v12, v58
	s_clause 0x1
	global_load_b128 v[9:12], v[9:10], off offset:128
	global_load_b128 v[59:62], v[13:14], off
	v_add_co_u32 v0, vcc_lo, s4, v104
	v_sub_f32_e32 v51, v51, v49
	v_sub_f32_e32 v50, v50, v49
	s_waitcnt vmcnt(1)
	ds_store_b128 v167, v[9:12]
	v_add_co_ci_u32_e32 v10, vcc_lo, s5, v105, vcc_lo
	v_add_co_u32 v9, vcc_lo, v0, v89
	s_delay_alu instid0(VALU_DEP_2) | instskip(SKIP_2) | instid1(VALU_DEP_2)
	v_add_co_ci_u32_e32 v10, vcc_lo, 0, v10, vcc_lo
	v_add_co_u32 v0, vcc_lo, s4, v106
	v_add_co_ci_u32_e32 v11, vcc_lo, s5, v107, vcc_lo
	v_add_co_u32 v13, vcc_lo, v0, v89
	s_delay_alu instid0(VALU_DEP_2)
	v_add_co_ci_u32_e32 v14, vcc_lo, 0, v11, vcc_lo
	s_clause 0x1
	global_load_b128 v[9:12], v[9:10], off
	global_load_b128 v[63:66], v[13:14], off
	v_add_co_u32 v0, vcc_lo, s4, v109
	s_waitcnt vmcnt(2)
	ds_store_b128 v182, v[59:62]
	s_waitcnt vmcnt(1)
	ds_store_b128 v233, v[9:12]
	v_add_co_ci_u32_e32 v10, vcc_lo, s5, v110, vcc_lo
	v_add_co_u32 v9, vcc_lo, v0, v89
	v_sub_f32_e32 v0, v57, v49
	s_delay_alu instid0(VALU_DEP_3) | instskip(SKIP_1) | instid1(VALU_DEP_3)
	v_add_co_ci_u32_e32 v10, vcc_lo, 0, v10, vcc_lo
	v_cmp_eq_u32_e64 s5, 0, v162
	v_cmp_ngt_f32_e32 vcc_lo, 0xc2ce8ed0, v0
	global_load_b128 v[9:12], v[9:10], off
	s_waitcnt vmcnt(1)
	ds_store_b128 v234, v[63:66]
	s_waitcnt vmcnt(0)
	ds_store_b128 v235, v[9:12]
	v_mul_f32_e32 v9, 0x3fb8aa3b, v0
	v_mul_f32_e32 v41, v41, v58
	;; [unrolled: 1-line block ×5, first 2 shown]
	v_fma_f32 v10, 0x3fb8aa3b, v0, -v9
	v_rndne_f32_e32 v11, v9
	v_mul_f32_e32 v34, v34, v58
	v_mul_f32_e32 v18, v18, v58
	;; [unrolled: 1-line block ×3, first 2 shown]
	s_delay_alu instid0(VALU_DEP_4)
	v_dual_fmac_f32 v10, 0x32a5705f, v0 :: v_dual_sub_f32 v9, v9, v11
	v_cvt_i32_f32_e32 v11, v11
	v_mul_f32_e32 v31, v31, v58
	v_mul_f32_e32 v21, v21, v58
	s_waitcnt lgkmcnt(0)
	v_dual_add_f32 v9, v9, v10 :: v_dual_sub_f32 v10, v56, v49
	s_barrier
	buffer_gl0_inv
	v_mul_f32_e32 v40, v40, v58
	v_exp_f32_e32 v9, v9
	v_mul_f32_e32 v12, 0x3fb8aa3b, v10
	v_cmp_ngt_f32_e64 s4, 0xc2ce8ed0, v10
	v_mul_f32_e32 v44, v44, v58
	v_mul_f32_e32 v46, v46, v58
	;; [unrolled: 1-line block ×3, first 2 shown]
	v_fma_f32 v13, 0x3fb8aa3b, v10, -v12
	v_rndne_f32_e32 v14, v12
	s_delay_alu instid0(TRANS32_DEP_1) | instskip(NEXT) | instid1(VALU_DEP_3)
	v_ldexp_f32 v9, v9, v11
	v_fmac_f32_e32 v13, 0x32a5705f, v10
	s_delay_alu instid0(VALU_DEP_3) | instskip(SKIP_1) | instid1(VALU_DEP_4)
	v_sub_f32_e32 v12, v12, v14
	v_mul_f32_e32 v43, v43, v58
	v_dual_mul_f32 v36, v36, v58 :: v_dual_cndmask_b32 v9, 0, v9
	v_cmp_nlt_f32_e32 vcc_lo, 0x42b17218, v0
	s_delay_alu instid0(VALU_DEP_4) | instskip(NEXT) | instid1(VALU_DEP_3)
	v_add_f32_e32 v12, v12, v13
	v_dual_mul_f32 v38, v38, v58 :: v_dual_cndmask_b32 v9, 0x7f800000, v9
	s_delay_alu instid0(VALU_DEP_2)
	v_exp_f32_e32 v11, v12
	v_cvt_i32_f32_e32 v12, v14
	v_cmp_eq_u32_e32 vcc_lo, 0, v236
	s_waitcnt_depctr 0xfff
	v_ldexp_f32 v11, v11, v12
	ds_bpermute_b32 v12, v48, v9
	v_cndmask_b32_e64 v0, 0, v11, s4
	v_cmp_nlt_f32_e64 s4, 0x42b17218, v10
	s_delay_alu instid0(VALU_DEP_1)
	v_cndmask_b32_e64 v0, 0x7f800000, v0, s4
	v_cmp_eq_u32_e64 s4, 1, v236
	v_mul_f32_e32 v23, v23, v58
	ds_bpermute_b32 v10, v48, v0
	s_waitcnt lgkmcnt(0)
	v_cndmask_b32_e64 v11, v0, v10, s4
	v_cndmask_b32_e32 v10, v0, v10, vcc_lo
	v_add_f32_e32 v0, v0, v9
	v_mul_f32_e32 v1, v8, v58
	v_mul_f32_e32 v8, v15, v58
	v_cndmask_b32_e64 v14, v11, v9, s6
	v_cndmask_b32_e64 v13, v10, v9, s5
	v_cvt_f16_f32_e32 v10, v10
	v_cvt_f16_f32_e32 v11, v11
	s_delay_alu instid0(VALU_DEP_3) | instskip(SKIP_1) | instid1(VALU_DEP_3)
	v_dual_mul_f32 v24, v24, v58 :: v_dual_cndmask_b32 v13, v13, v12
	v_cndmask_b32_e64 v12, v14, v12, s4
	v_pack_b32_f16 v59, v10, v11
	v_sub_f32_e32 v10, v55, v49
	s_delay_alu instid0(VALU_DEP_4) | instskip(NEXT) | instid1(VALU_DEP_4)
	v_cvt_f16_f32_e32 v14, v13
	v_cvt_f16_f32_e32 v15, v12
	s_delay_alu instid0(VALU_DEP_3) | instskip(SKIP_1) | instid1(VALU_DEP_3)
	v_mul_f32_e32 v11, 0x3fb8aa3b, v10
	v_cmp_ngt_f32_e64 s7, 0xc2ce8ed0, v10
	v_pack_b32_f16 v60, v14, v15
	s_delay_alu instid0(VALU_DEP_3) | instskip(SKIP_2) | instid1(VALU_DEP_2)
	v_fma_f32 v14, 0x3fb8aa3b, v10, -v11
	v_rndne_f32_e32 v15, v11
	v_mul_f32_e32 v26, v26, v58
	v_dual_fmac_f32 v14, 0x32a5705f, v10 :: v_dual_sub_f32 v11, v11, v15
	s_delay_alu instid0(VALU_DEP_1) | instskip(SKIP_1) | instid1(VALU_DEP_2)
	v_add_f32_e32 v11, v11, v14
	v_cvt_i32_f32_e32 v14, v15
	v_exp_f32_e32 v11, v11
	s_waitcnt_depctr 0xfff
	v_ldexp_f32 v11, v11, v14
	s_delay_alu instid0(VALU_DEP_1) | instskip(SKIP_1) | instid1(VALU_DEP_1)
	v_cndmask_b32_e64 v11, 0, v11, s7
	v_cmp_nlt_f32_e64 s7, 0x42b17218, v10
	v_cndmask_b32_e64 v10, 0x7f800000, v11, s7
	s_delay_alu instid0(VALU_DEP_1)
	v_cndmask_b32_e64 v11, v12, v10, s6
	v_cndmask_b32_e64 v12, v13, v10, s5
	ds_bpermute_b32 v13, v48, v10
	v_dual_mul_f32 v47, v47, v58 :: v_dual_add_f32 v0, v10, v0
	s_waitcnt lgkmcnt(0)
	v_cndmask_b32_e32 v12, v12, v13, vcc_lo
	v_cndmask_b32_e64 v11, v11, v13, s4
	s_delay_alu instid0(VALU_DEP_2) | instskip(NEXT) | instid1(VALU_DEP_2)
	v_cvt_f16_f32_e32 v13, v12
	v_cvt_f16_f32_e32 v14, v11
	s_delay_alu instid0(VALU_DEP_1) | instskip(SKIP_1) | instid1(VALU_DEP_1)
	v_pack_b32_f16 v61, v13, v14
	v_sub_f32_e32 v13, v54, v49
	v_dual_mul_f32 v33, v33, v58 :: v_dual_mul_f32 v14, 0x3fb8aa3b, v13
	v_cmp_ngt_f32_e64 s7, 0xc2ce8ed0, v13
	s_delay_alu instid0(VALU_DEP_2) | instskip(SKIP_1) | instid1(VALU_DEP_2)
	v_fma_f32 v15, 0x3fb8aa3b, v13, -v14
	v_rndne_f32_e32 v54, v14
	v_dual_mul_f32 v30, v30, v58 :: v_dual_fmac_f32 v15, 0x32a5705f, v13
	s_delay_alu instid0(VALU_DEP_2) | instskip(NEXT) | instid1(VALU_DEP_1)
	v_sub_f32_e32 v14, v14, v54
	v_dual_mul_f32 v35, v35, v58 :: v_dual_add_f32 v14, v14, v15
	v_cvt_i32_f32_e32 v15, v54
	s_delay_alu instid0(VALU_DEP_2) | instskip(SKIP_2) | instid1(VALU_DEP_1)
	v_exp_f32_e32 v14, v14
	s_waitcnt_depctr 0xfff
	v_ldexp_f32 v14, v14, v15
	v_cndmask_b32_e64 v14, 0, v14, s7
	v_cmp_nlt_f32_e64 s7, 0x42b17218, v13
	s_delay_alu instid0(VALU_DEP_1)
	v_cndmask_b32_e64 v13, 0x7f800000, v14, s7
	ds_bpermute_b32 v14, v48, v13
	v_cndmask_b32_e64 v11, v11, v13, s6
	v_cndmask_b32_e64 v12, v12, v13, s5
	v_add_f32_e32 v0, v13, v0
	s_waitcnt lgkmcnt(0)
	s_delay_alu instid0(VALU_DEP_2) | instskip(SKIP_1) | instid1(VALU_DEP_2)
	v_cndmask_b32_e32 v12, v12, v14, vcc_lo
	v_cndmask_b32_e64 v11, v11, v14, s4
	v_cvt_f16_f32_e32 v14, v12
	s_delay_alu instid0(VALU_DEP_2) | instskip(NEXT) | instid1(VALU_DEP_1)
	v_cvt_f16_f32_e32 v15, v11
	v_pack_b32_f16 v62, v14, v15
	v_sub_f32_e32 v14, v53, v49
	s_delay_alu instid0(VALU_DEP_1) | instskip(SKIP_1) | instid1(VALU_DEP_2)
	v_mul_f32_e32 v15, 0x3fb8aa3b, v14
	v_cmp_ngt_f32_e64 s7, 0xc2ce8ed0, v14
	v_fma_f32 v53, 0x3fb8aa3b, v14, -v15
	v_rndne_f32_e32 v54, v15
	s_delay_alu instid0(VALU_DEP_2) | instskip(NEXT) | instid1(VALU_DEP_2)
	v_fmac_f32_e32 v53, 0x32a5705f, v14
	v_sub_f32_e32 v15, v15, v54
	s_delay_alu instid0(VALU_DEP_1) | instskip(SKIP_1) | instid1(VALU_DEP_2)
	v_dual_mul_f32 v16, v16, v58 :: v_dual_add_f32 v15, v15, v53
	v_cvt_i32_f32_e32 v53, v54
	v_exp_f32_e32 v15, v15
	s_waitcnt_depctr 0xfff
	v_ldexp_f32 v15, v15, v53
	s_delay_alu instid0(VALU_DEP_1) | instskip(SKIP_1) | instid1(VALU_DEP_1)
	v_cndmask_b32_e64 v15, 0, v15, s7
	v_cmp_nlt_f32_e64 s7, 0x42b17218, v14
	v_cndmask_b32_e64 v14, 0x7f800000, v15, s7
	ds_bpermute_b32 v15, v48, v14
	v_cndmask_b32_e64 v11, v11, v14, s6
	v_cndmask_b32_e64 v12, v12, v14, s5
	v_dual_mul_f32 v37, v37, v58 :: v_dual_add_f32 v0, v14, v0
	s_waitcnt lgkmcnt(0)
	s_delay_alu instid0(VALU_DEP_2) | instskip(SKIP_1) | instid1(VALU_DEP_2)
	v_cndmask_b32_e32 v12, v12, v15, vcc_lo
	v_cndmask_b32_e64 v11, v11, v15, s4
	v_cvt_f16_f32_e32 v15, v12
	s_delay_alu instid0(VALU_DEP_2) | instskip(NEXT) | instid1(VALU_DEP_1)
	v_cvt_f16_f32_e32 v53, v11
	v_pack_b32_f16 v63, v15, v53
	v_sub_f32_e32 v15, v52, v49
	s_delay_alu instid0(VALU_DEP_1) | instskip(SKIP_1) | instid1(VALU_DEP_2)
	v_dual_mul_f32 v25, v25, v58 :: v_dual_mul_f32 v52, 0x3fb8aa3b, v15
	v_cmp_ngt_f32_e64 s7, 0xc2ce8ed0, v15
	v_fma_f32 v53, 0x3fb8aa3b, v15, -v52
	v_rndne_f32_e32 v54, v52
	s_delay_alu instid0(VALU_DEP_2) | instskip(NEXT) | instid1(VALU_DEP_2)
	v_dual_mul_f32 v20, v20, v58 :: v_dual_fmac_f32 v53, 0x32a5705f, v15
	v_sub_f32_e32 v52, v52, v54
	s_delay_alu instid0(VALU_DEP_1) | instskip(SKIP_1) | instid1(VALU_DEP_2)
	v_dual_mul_f32 v27, v27, v58 :: v_dual_add_f32 v52, v52, v53
	v_cvt_i32_f32_e32 v53, v54
	v_exp_f32_e32 v52, v52
	s_waitcnt_depctr 0xfff
	v_ldexp_f32 v52, v52, v53
	s_delay_alu instid0(VALU_DEP_1) | instskip(SKIP_1) | instid1(VALU_DEP_1)
	v_cndmask_b32_e64 v52, 0, v52, s7
	v_cmp_nlt_f32_e64 s7, 0x42b17218, v15
	v_cndmask_b32_e64 v15, 0x7f800000, v52, s7
	v_cmp_ngt_f32_e64 s7, 0xc2ce8ed0, v51
	ds_bpermute_b32 v52, v48, v15
	v_cndmask_b32_e64 v11, v11, v15, s6
	v_cndmask_b32_e64 v12, v12, v15, s5
	v_dual_mul_f32 v29, v29, v58 :: v_dual_add_f32 v0, v15, v0
	s_waitcnt lgkmcnt(0)
	s_delay_alu instid0(VALU_DEP_2) | instskip(SKIP_1) | instid1(VALU_DEP_2)
	v_cndmask_b32_e32 v12, v12, v52, vcc_lo
	v_cndmask_b32_e64 v11, v11, v52, s4
	v_cvt_f16_f32_e32 v52, v12
	s_delay_alu instid0(VALU_DEP_2) | instskip(NEXT) | instid1(VALU_DEP_1)
	v_cvt_f16_f32_e32 v53, v11
	v_pack_b32_f16 v64, v52, v53
	v_mul_f32_e32 v52, 0x3fb8aa3b, v51
	s_delay_alu instid0(VALU_DEP_1) | instskip(SKIP_1) | instid1(VALU_DEP_1)
	v_fma_f32 v53, 0x3fb8aa3b, v51, -v52
	v_rndne_f32_e32 v54, v52
	v_dual_fmac_f32 v53, 0x32a5705f, v51 :: v_dual_sub_f32 v52, v52, v54
	s_delay_alu instid0(VALU_DEP_1) | instskip(SKIP_1) | instid1(VALU_DEP_2)
	v_dual_mul_f32 v17, v17, v58 :: v_dual_add_f32 v52, v52, v53
	v_cvt_i32_f32_e32 v53, v54
	v_exp_f32_e32 v52, v52
	s_waitcnt_depctr 0xfff
	v_ldexp_f32 v52, v52, v53
	s_delay_alu instid0(VALU_DEP_1) | instskip(SKIP_1) | instid1(VALU_DEP_1)
	v_cndmask_b32_e64 v52, 0, v52, s7
	v_cmp_nlt_f32_e64 s7, 0x42b17218, v51
	v_cndmask_b32_e64 v91, 0x7f800000, v52, s7
	v_cmp_ngt_f32_e64 s7, 0xc2ce8ed0, v50
	ds_bpermute_b32 v51, v48, v91
	v_cndmask_b32_e64 v11, v11, v91, s6
	v_cndmask_b32_e64 v12, v12, v91, s5
	v_mul_f32_e32 v19, v19, v58
	v_add_f32_e32 v0, v91, v0
	s_waitcnt lgkmcnt(0)
	s_delay_alu instid0(VALU_DEP_3) | instskip(SKIP_1) | instid1(VALU_DEP_2)
	v_cndmask_b32_e32 v12, v12, v51, vcc_lo
	v_cndmask_b32_e64 v11, v11, v51, s4
	v_cvt_f16_f32_e32 v51, v12
	s_delay_alu instid0(VALU_DEP_2) | instskip(NEXT) | instid1(VALU_DEP_1)
	v_cvt_f16_f32_e32 v52, v11
	v_pack_b32_f16 v65, v51, v52
	v_mul_f32_e32 v51, 0x3fb8aa3b, v50
	s_delay_alu instid0(VALU_DEP_1) | instskip(SKIP_1) | instid1(VALU_DEP_1)
	v_fma_f32 v52, 0x3fb8aa3b, v50, -v51
	v_rndne_f32_e32 v53, v51
	v_dual_fmac_f32 v52, 0x32a5705f, v50 :: v_dual_sub_f32 v51, v51, v53
	s_delay_alu instid0(VALU_DEP_1) | instskip(SKIP_1) | instid1(VALU_DEP_2)
	v_add_f32_e32 v51, v51, v52
	v_cvt_i32_f32_e32 v52, v53
	v_exp_f32_e32 v51, v51
	s_waitcnt_depctr 0xfff
	v_ldexp_f32 v51, v51, v52
	s_delay_alu instid0(VALU_DEP_1) | instskip(SKIP_1) | instid1(VALU_DEP_1)
	v_cndmask_b32_e64 v51, 0, v51, s7
	v_cmp_nlt_f32_e64 s7, 0x42b17218, v50
	v_cndmask_b32_e64 v92, 0x7f800000, v51, s7
	ds_bpermute_b32 v50, v48, v92
	v_cndmask_b32_e64 v11, v11, v92, s6
	v_cndmask_b32_e64 v12, v12, v92, s5
	v_add_f32_e32 v0, v92, v0
	s_delay_alu instid0(VALU_DEP_1)
	v_fmac_f32_e32 v0, v95, v58
	ds_bpermute_b32 v9, v48, v0
	s_waitcnt lgkmcnt(1)
	v_cndmask_b32_e32 v12, v12, v50, vcc_lo
	v_cndmask_b32_e64 v11, v11, v50, s4
	ds_load_u16 v56, v228 offset:2112
	ds_load_u16 v57, v228 offset:2464
	;; [unrolled: 1-line block ×26, first 2 shown]
	ds_load_u16 v50, v228
	ds_load_u16 v67, v228 offset:32
	ds_load_u16 v75, v228 offset:64
	;; [unrolled: 1-line block ×12, first 2 shown]
	s_waitcnt lgkmcnt(30)
	ds_load_u16_d16_hi v72, v228 offset:1968
	s_waitcnt lgkmcnt(25)
	ds_load_u16_d16_hi v74, v228 offset:2672
	s_waitcnt lgkmcnt(25)
	ds_load_u16_d16_hi v73, v228 offset:2320
	s_waitcnt lgkmcnt(20)
	ds_load_u16_d16_hi v89, v228 offset:2384
	s_waitcnt lgkmcnt(20)
	ds_load_u16_d16_hi v88, v228 offset:2032
	ds_load_u16_d16_hi v56, v228 offset:2288
	ds_load_u16_d16_hi v81, v228 offset:2352
	s_waitcnt lgkmcnt(15)
	ds_load_u16_d16_hi v129, v228 offset:2416
	ds_load_u16_d16_hi v57, v228 offset:2640
	;; [unrolled: 1-line block ×13, first 2 shown]
	s_waitcnt lgkmcnt(23)
	ds_load_u16_d16_hi v127, v228 offset:1712
	s_waitcnt lgkmcnt(21)
	ds_load_u16_d16_hi v55, v228 offset:1936
	ds_load_u16_d16_hi v80, v228 offset:2000
	;; [unrolled: 1-line block ×5, first 2 shown]
	ds_load_u16 v123, v228 offset:128
	ds_load_u16_d16_hi v50, v228 offset:176
	ds_load_u16_d16_hi v67, v228 offset:208
	ds_load_u16_d16_hi v75, v228 offset:240
	ds_load_u16_d16_hi v51, v228 offset:528
	ds_load_u16_d16_hi v76, v228 offset:592
	ds_load_u16_d16_hi v82, v228 offset:2704
	ds_load_u16_d16_hi v90, v228 offset:2736
	ds_load_u16_d16_hi v83, v228 offset:272
	ds_load_u16_d16_hi v124, v228 offset:656
	ds_load_u16_d16_hi v126, v228 offset:1360
	ds_load_u16_d16_hi v125, v228 offset:1008
	ds_load_u16_d16_hi v128, v228 offset:2064
	ds_load_u16_d16_hi v87, v228 offset:1680
	v_cvt_f16_f32_e32 v12, v12
	v_cvt_f16_f32_e32 v11, v11
	v_add_f32_e32 v9, v0, v9
	s_cselect_b32 s4, -1, 0
	s_delay_alu instid0(SALU_CYCLE_1)
	s_and_b32 s5, s1, s4
	s_waitcnt lgkmcnt(13)
	ds_load_u16_d16_hi v123, v228 offset:304
	v_pack_b32_f16 v66, v12, v11
	s_waitcnt lgkmcnt(0)
	s_barrier
	buffer_gl0_inv
	v_wmma_f32_16x16x16_f16 v[40:47], v[50:57], v[59:66], v[40:47]
	v_wmma_f32_16x16x16_f16 v[32:39], v[67:74], v[59:66], v[32:39]
	v_wmma_f32_16x16x16_f16 v[24:31], v[75:82], v[59:66], v[24:31]
	v_wmma_f32_16x16x16_f16 v[16:23], v[83:90], v[59:66], v[16:23]
	v_wmma_f32_16x16x16_f16 v[1:8], v[123:130], v[59:66], v[1:8]
	s_and_saveexec_b32 s4, s5
	s_cbranch_execz .LBB9_220
; %bb.219:                              ;   in Loop: Header=BB9_12 Depth=1
	v_lshlrev_b32_e32 v0, 2, v179
	global_load_b32 v0, v0, s[64:65]
	s_waitcnt vmcnt(0)
	v_dual_max_f32 v10, v49, v49 :: v_dual_max_f32 v11, v0, v0
	s_delay_alu instid0(VALU_DEP_1) | instskip(NEXT) | instid1(VALU_DEP_1)
	v_max_f32_e32 v10, v10, v11
	v_sub_f32_e32 v0, v0, v10
	s_delay_alu instid0(VALU_DEP_1) | instskip(SKIP_1) | instid1(VALU_DEP_2)
	v_mul_f32_e32 v15, 0x3fb8aa3b, v0
	v_sub_f32_e32 v11, v49, v10
	v_rndne_f32_e32 v50, v15
	s_delay_alu instid0(VALU_DEP_2) | instskip(SKIP_1) | instid1(VALU_DEP_2)
	v_mul_f32_e32 v12, 0x3fb8aa3b, v11
	v_cmp_ngt_f32_e32 vcc_lo, 0xc2ce8ed0, v11
	v_fma_f32 v13, 0x3fb8aa3b, v11, -v12
	v_rndne_f32_e32 v14, v12
	s_delay_alu instid0(VALU_DEP_2) | instskip(SKIP_1) | instid1(VALU_DEP_3)
	v_fmac_f32_e32 v13, 0x32a5705f, v11
	v_fma_f32 v49, 0x3fb8aa3b, v0, -v15
	v_sub_f32_e32 v12, v12, v14
	v_cvt_i32_f32_e32 v14, v14
	s_delay_alu instid0(VALU_DEP_2) | instskip(SKIP_1) | instid1(VALU_DEP_2)
	v_dual_fmac_f32 v49, 0x32a5705f, v0 :: v_dual_add_f32 v12, v12, v13
	v_sub_f32_e32 v13, v15, v50
	v_exp_f32_e32 v12, v12
	s_waitcnt_depctr 0xfff
	v_ldexp_f32 v12, v12, v14
	v_add_f32_e32 v13, v13, v49
	v_cvt_i32_f32_e32 v14, v50
	s_delay_alu instid0(VALU_DEP_3) | instskip(NEXT) | instid1(VALU_DEP_3)
	v_dual_mov_b32 v49, v10 :: v_dual_cndmask_b32 v12, 0, v12
	v_exp_f32_e32 v13, v13
	v_cmp_nlt_f32_e32 vcc_lo, 0x42b17218, v11
	s_delay_alu instid0(VALU_DEP_2) | instskip(SKIP_3) | instid1(VALU_DEP_1)
	v_cndmask_b32_e32 v12, 0x7f800000, v12, vcc_lo
	v_cmp_ngt_f32_e32 vcc_lo, 0xc2ce8ed0, v0
	s_waitcnt_depctr 0xfff
	v_ldexp_f32 v13, v13, v14
	v_cndmask_b32_e32 v13, 0, v13, vcc_lo
	v_cmp_le_f32_e32 vcc_lo, 0xc1a00000, v11
	v_cndmask_b32_e32 v11, 0, v12, vcc_lo
	v_cmp_nlt_f32_e32 vcc_lo, 0x42b17218, v0
	s_delay_alu instid0(VALU_DEP_2) | instskip(SKIP_4) | instid1(VALU_DEP_4)
	v_mul_f32_e32 v40, v40, v11
	v_dual_cndmask_b32 v0, 0x7f800000, v13 :: v_dual_mul_f32 v45, v45, v11
	v_mul_f32_e32 v41, v41, v11
	v_mul_f32_e32 v43, v43, v11
	;; [unrolled: 1-line block ×3, first 2 shown]
	v_fmac_f32_e32 v0, v9, v11
	v_mul_f32_e32 v42, v42, v11
	v_mul_f32_e32 v46, v46, v11
	;; [unrolled: 1-line block ×4, first 2 shown]
	v_mov_b32_e32 v9, v0
	v_mul_f32_e32 v33, v33, v11
	v_mul_f32_e32 v34, v34, v11
	;; [unrolled: 1-line block ×31, first 2 shown]
.LBB9_220:                              ;   in Loop: Header=BB9_12 Depth=1
	s_or_b32 exec_lo, exec_lo, s4
	s_and_saveexec_b32 s4, s3
	s_cbranch_execz .LBB9_222
; %bb.221:                              ;   in Loop: Header=BB9_12 Depth=1
	v_add_nc_u32_e32 v0, 0, v177
	ds_store_2addr_b32 v0, v49, v9 offset0:40 offset1:41
.LBB9_222:                              ;   in Loop: Header=BB9_12 Depth=1
	s_or_b32 exec_lo, exec_lo, s4
	s_waitcnt lgkmcnt(0)
	s_barrier
	buffer_gl0_inv
	s_and_saveexec_b32 s4, s2
	s_delay_alu instid0(SALU_CYCLE_1)
	s_xor_b32 s4, exec_lo, s4
	s_cbranch_execz .LBB9_224
; %bb.223:                              ;   in Loop: Header=BB9_12 Depth=1
	s_barrier
	buffer_gl0_inv
                                        ; implicit-def: $vgpr48
.LBB9_224:                              ;   in Loop: Header=BB9_12 Depth=1
	s_and_not1_saveexec_b32 s4, s4
	s_cbranch_execz .LBB9_226
; %bb.225:                              ;   in Loop: Header=BB9_12 Depth=1
	v_add_nc_u32_e32 v0, 0, v177
	ds_load_b64 v[9:10], v0 offset:160
	s_waitcnt lgkmcnt(0)
	s_barrier
	buffer_gl0_inv
	ds_bpermute_b32 v11, v48, v9
	s_waitcnt lgkmcnt(0)
	v_dual_max_f32 v12, v9, v9 :: v_dual_max_f32 v11, v11, v11
	s_delay_alu instid0(VALU_DEP_1) | instskip(NEXT) | instid1(VALU_DEP_1)
	v_max_f32_e32 v11, v12, v11
	v_sub_f32_e32 v9, v9, v11
	s_delay_alu instid0(VALU_DEP_1) | instskip(SKIP_1) | instid1(VALU_DEP_2)
	v_mul_f32_e32 v11, 0x3fb8aa3b, v9
	v_cmp_ngt_f32_e32 vcc_lo, 0xc2ce8ed0, v9
	v_fma_f32 v12, 0x3fb8aa3b, v9, -v11
	v_rndne_f32_e32 v13, v11
	s_delay_alu instid0(VALU_DEP_2) | instskip(NEXT) | instid1(VALU_DEP_2)
	v_fmac_f32_e32 v12, 0x32a5705f, v9
	v_sub_f32_e32 v11, v11, v13
	s_delay_alu instid0(VALU_DEP_1) | instskip(SKIP_1) | instid1(VALU_DEP_2)
	v_add_f32_e32 v11, v11, v12
	v_cvt_i32_f32_e32 v12, v13
	v_exp_f32_e32 v11, v11
	s_waitcnt_depctr 0xfff
	v_ldexp_f32 v11, v11, v12
	s_delay_alu instid0(VALU_DEP_1) | instskip(SKIP_1) | instid1(VALU_DEP_2)
	v_cndmask_b32_e32 v11, 0, v11, vcc_lo
	v_cmp_nlt_f32_e32 vcc_lo, 0x42b17218, v9
	v_cndmask_b32_e32 v11, 0x7f800000, v11, vcc_lo
	s_delay_alu instid0(VALU_DEP_1)
	v_mul_f32_e32 v9, v10, v11
	ds_bpermute_b32 v12, v48, v9
	s_waitcnt lgkmcnt(0)
	v_fmac_f32_e32 v12, v10, v11
	ds_store_b64 v0, v[11:12] offset:160
.LBB9_226:                              ;   in Loop: Header=BB9_12 Depth=1
	s_or_b32 exec_lo, exec_lo, s4
	v_cvt_f16_f32_e32 v0, v40
	v_cvt_f16_f32_e32 v9, v41
	;; [unrolled: 1-line block ×8, first 2 shown]
	ds_store_b16 v171, v0
	ds_store_b16 v171, v9 offset:4
	ds_store_b16 v171, v10 offset:8
	ds_store_b16 v171, v11 offset:12
	ds_store_b16 v171, v12 offset:16
	ds_store_b16 v171, v13 offset:20
	ds_store_b16 v171, v14 offset:24
	ds_store_b16 v171, v15 offset:28
	v_cvt_f16_f32_e32 v0, v32
	v_cvt_f16_f32_e32 v9, v33
	v_cvt_f16_f32_e32 v10, v34
	v_cvt_f16_f32_e32 v11, v35
	v_cvt_f16_f32_e32 v12, v36
	v_cvt_f16_f32_e32 v13, v37
	v_cvt_f16_f32_e32 v14, v38
	v_cvt_f16_f32_e32 v15, v39
	ds_store_b16 v171, v0 offset:32
	ds_store_b16 v171, v9 offset:36
	ds_store_b16 v171, v10 offset:40
	ds_store_b16 v171, v11 offset:44
	ds_store_b16 v171, v12 offset:48
	ds_store_b16 v171, v13 offset:52
	ds_store_b16 v171, v14 offset:56
	ds_store_b16 v171, v15 offset:60
	v_cvt_f16_f32_e32 v0, v24
	v_cvt_f16_f32_e32 v9, v25
	v_cvt_f16_f32_e32 v10, v26
	v_cvt_f16_f32_e32 v11, v27
	v_cvt_f16_f32_e32 v12, v28
	v_cvt_f16_f32_e32 v13, v29
	v_cvt_f16_f32_e32 v14, v30
	v_cvt_f16_f32_e32 v15, v31
	ds_store_b16 v171, v0 offset:64
	;; [unrolled: 16-line block ×4, first 2 shown]
	ds_store_b16 v171, v1 offset:132
	ds_store_b16 v171, v2 offset:136
	;; [unrolled: 1-line block ×7, first 2 shown]
	s_waitcnt lgkmcnt(0)
	s_barrier
	buffer_gl0_inv
	s_and_saveexec_b32 s6, s1
	s_cbranch_execz .LBB9_10
; %bb.227:                              ;   in Loop: Header=BB9_12 Depth=1
	v_dual_mov_b32 v2, 0x47 :: v_dual_add_nc_u32 v1, s66, v231
	v_or_b32_e32 v0, s86, v144
	s_delay_alu instid0(VALU_DEP_2) | instskip(NEXT) | instid1(VALU_DEP_2)
	v_cmp_gt_i32_e32 vcc_lo, s8, v1
	v_cmp_gt_i32_e64 s4, s33, v0
	s_delay_alu instid0(VALU_DEP_1) | instskip(NEXT) | instid1(SALU_CYCLE_1)
	s_and_b32 s5, vcc_lo, s4
	s_and_saveexec_b32 s7, s5
	s_cbranch_execz .LBB9_229
; %bb.228:                              ;   in Loop: Header=BB9_12 Depth=1
	s_clause 0x1
	scratch_load_b32 v0, off, off offset:16
	scratch_load_b32 v2, off, off offset:20
	s_waitcnt vmcnt(1)
	v_add_nc_u32_e32 v0, 0, v0
	s_waitcnt vmcnt(0)
	ds_load_2addr_stride64_b32 v[2:3], v2 offset1:11
	ds_load_2addr_b32 v[4:5], v0 offset0:40 offset1:41
	ds_load_b32 v0, v0 offset:2976
	s_waitcnt lgkmcnt(1)
	v_fma_mix_f32 v6, v4, v2, 0 op_sel_hi:[0,1,0]
	v_fma_mix_f32 v2, v4, v2, 0 op_sel:[0,1,0] op_sel_hi:[0,1,0]
	s_waitcnt lgkmcnt(0)
	s_delay_alu instid0(VALU_DEP_2) | instskip(NEXT) | instid1(VALU_DEP_2)
	v_fma_mix_f32 v4, v0, v3, v6 op_sel_hi:[0,1,0]
	v_fma_mix_f32 v6, v0, v3, v2 op_sel:[0,1,0] op_sel_hi:[0,1,0]
	s_delay_alu instid0(VALU_DEP_2) | instskip(NEXT) | instid1(VALU_DEP_2)
	v_div_scale_f32 v7, null, v5, v5, v4
	v_div_scale_f32 v8, null, v5, v5, v6
	v_div_scale_f32 v11, vcc_lo, v4, v5, v4
	s_delay_alu instid0(VALU_DEP_3) | instskip(NEXT) | instid1(VALU_DEP_2)
	v_rcp_f32_e32 v9, v7
	v_rcp_f32_e32 v10, v8
	v_div_scale_f32 v12, s5, v6, v5, v6
	s_waitcnt_depctr 0xfff
	v_fma_f32 v0, -v7, v9, 1.0
	v_fma_f32 v2, -v8, v10, 1.0
	s_delay_alu instid0(VALU_DEP_1) | instskip(SKIP_1) | instid1(VALU_DEP_2)
	v_dual_fmac_f32 v9, v0, v9 :: v_dual_fmac_f32 v10, v2, v10
	v_mad_u64_u32 v[2:3], null, v1, s9, v[144:145]
	v_mul_f32_e32 v3, v11, v9
	s_delay_alu instid0(VALU_DEP_3) | instskip(NEXT) | instid1(VALU_DEP_3)
	v_mul_f32_e32 v13, v12, v10
	v_mad_u64_u32 v[0:1], null, v2, 40, v[108:109]
	s_delay_alu instid0(VALU_DEP_3) | instskip(NEXT) | instid1(VALU_DEP_1)
	v_fma_f32 v14, -v7, v3, v11
	v_fmac_f32_e32 v3, v14, v9
	s_delay_alu instid0(VALU_DEP_3) | instskip(NEXT) | instid1(VALU_DEP_2)
	v_ashrrev_i32_e32 v1, 31, v0
	v_fma_f32 v2, -v7, v3, v11
	s_delay_alu instid0(VALU_DEP_2) | instskip(NEXT) | instid1(VALU_DEP_2)
	v_lshlrev_b64 v[0:1], 3, v[0:1]
	v_div_fmas_f32 v2, v2, v9, v3
	s_mov_b32 vcc_lo, s5
	s_delay_alu instid0(VALU_DEP_1) | instskip(SKIP_2) | instid1(VALU_DEP_1)
	v_div_fixup_f32 v3, v2, v5, v4
	v_mov_b32_e32 v2, 0
	v_fma_f32 v15, -v8, v13, v12
	v_fmac_f32_e32 v13, v15, v10
	s_delay_alu instid0(VALU_DEP_1) | instskip(NEXT) | instid1(VALU_DEP_1)
	v_fma_f32 v7, -v8, v13, v12
	v_div_fmas_f32 v7, v7, v10, v13
	v_add_co_u32 v0, vcc_lo, s41, v0
	v_add_co_ci_u32_e32 v1, vcc_lo, s59, v1, vcc_lo
	s_delay_alu instid0(VALU_DEP_3)
	v_div_fixup_f32 v4, v7, v5, v6
	global_store_b64 v[0:1], v[3:4], off
.LBB9_229:                              ;   in Loop: Header=BB9_12 Depth=1
	s_or_b32 exec_lo, exec_lo, s7
	s_mov_b32 s5, -1
	s_mov_b32 s7, exec_lo
	v_cmpx_gt_i32_e32 0x47, v2
; %bb.230:                              ;   in Loop: Header=BB9_12 Depth=1
	v_cmp_eq_u32_e32 vcc_lo, 0, v2
	s_or_not1_b32 s5, vcc_lo, exec_lo
; %bb.231:                              ;   in Loop: Header=BB9_12 Depth=1
	s_or_b32 exec_lo, exec_lo, s7
	s_and_saveexec_b32 s7, s5
	s_cbranch_execz .LBB9_304
; %bb.232:                              ;   in Loop: Header=BB9_12 Depth=1
	s_clause 0x1
	scratch_load_b32 v0, off, off offset:32
	scratch_load_b64 v[2:3], off, off
	s_waitcnt vmcnt(1)
	v_add_nc_u32_e32 v1, s66, v0
	s_waitcnt vmcnt(0)
	v_or_b32_e32 v0, s86, v2
	v_mov_b32_e32 v2, 0x47
	s_delay_alu instid0(VALU_DEP_3) | instskip(NEXT) | instid1(VALU_DEP_3)
	v_cmp_gt_i32_e32 vcc_lo, s8, v1
	v_cmp_gt_i32_e64 s5, s33, v0
	s_delay_alu instid0(VALU_DEP_1) | instskip(NEXT) | instid1(SALU_CYCLE_1)
	s_and_b32 s5, vcc_lo, s5
	s_and_saveexec_b32 s56, s5
	s_cbranch_execz .LBB9_234
; %bb.233:                              ;   in Loop: Header=BB9_12 Depth=1
	s_clause 0x1
	scratch_load_b32 v0, off, off offset:112
	scratch_load_b32 v2, off, off offset:116
	s_waitcnt vmcnt(1)
	v_add_nc_u32_e32 v0, 0, v0
	s_waitcnt vmcnt(0)
	ds_load_2addr_stride64_b32 v[2:3], v2 offset1:11
	ds_load_2addr_b32 v[4:5], v0 offset0:40 offset1:41
	ds_load_b32 v0, v0 offset:2976
	scratch_load_b64 v[13:14], off, off     ; 8-byte Folded Reload
	s_waitcnt lgkmcnt(1)
	v_fma_mix_f32 v6, v4, v2, 0 op_sel_hi:[0,1,0]
	v_fma_mix_f32 v2, v4, v2, 0 op_sel:[0,1,0] op_sel_hi:[0,1,0]
	s_waitcnt lgkmcnt(0)
	s_delay_alu instid0(VALU_DEP_2) | instskip(NEXT) | instid1(VALU_DEP_2)
	v_fma_mix_f32 v4, v0, v3, v6 op_sel_hi:[0,1,0]
	v_fma_mix_f32 v6, v0, v3, v2 op_sel:[0,1,0] op_sel_hi:[0,1,0]
	s_delay_alu instid0(VALU_DEP_2) | instskip(NEXT) | instid1(VALU_DEP_2)
	v_div_scale_f32 v7, null, v5, v5, v4
	v_div_scale_f32 v8, null, v5, v5, v6
	v_div_scale_f32 v11, vcc_lo, v4, v5, v4
	s_delay_alu instid0(VALU_DEP_3) | instskip(NEXT) | instid1(VALU_DEP_2)
	v_rcp_f32_e32 v9, v7
	v_rcp_f32_e32 v10, v8
	v_div_scale_f32 v12, s5, v6, v5, v6
	s_waitcnt_depctr 0xfff
	v_fma_f32 v0, -v7, v9, 1.0
	v_fma_f32 v2, -v8, v10, 1.0
	s_delay_alu instid0(VALU_DEP_1) | instskip(SKIP_2) | instid1(VALU_DEP_2)
	v_dual_fmac_f32 v9, v0, v9 :: v_dual_fmac_f32 v10, v2, v10
	s_waitcnt vmcnt(0)
	v_mad_u64_u32 v[2:3], null, v1, s9, v[13:14]
	v_mul_f32_e32 v3, v11, v9
	s_delay_alu instid0(VALU_DEP_3) | instskip(NEXT) | instid1(VALU_DEP_2)
	v_mul_f32_e32 v13, v12, v10
	v_fma_f32 v14, -v7, v3, v11
	s_delay_alu instid0(VALU_DEP_4) | instskip(NEXT) | instid1(VALU_DEP_2)
	v_mad_u64_u32 v[0:1], null, v2, 40, v[108:109]
	v_fmac_f32_e32 v3, v14, v9
	s_delay_alu instid0(VALU_DEP_2) | instskip(NEXT) | instid1(VALU_DEP_2)
	v_ashrrev_i32_e32 v1, 31, v0
	v_fma_f32 v2, -v7, v3, v11
	s_delay_alu instid0(VALU_DEP_2) | instskip(NEXT) | instid1(VALU_DEP_2)
	v_lshlrev_b64 v[0:1], 3, v[0:1]
	v_div_fmas_f32 v2, v2, v9, v3
	s_mov_b32 vcc_lo, s5
	s_delay_alu instid0(VALU_DEP_1) | instskip(SKIP_2) | instid1(VALU_DEP_1)
	v_div_fixup_f32 v3, v2, v5, v4
	v_mov_b32_e32 v2, 0
	v_fma_f32 v15, -v8, v13, v12
	v_fmac_f32_e32 v13, v15, v10
	s_delay_alu instid0(VALU_DEP_1) | instskip(NEXT) | instid1(VALU_DEP_1)
	v_fma_f32 v7, -v8, v13, v12
	v_div_fmas_f32 v7, v7, v10, v13
	v_add_co_u32 v0, vcc_lo, s41, v0
	v_add_co_ci_u32_e32 v1, vcc_lo, s59, v1, vcc_lo
	s_delay_alu instid0(VALU_DEP_3)
	v_div_fixup_f32 v4, v7, v5, v6
	global_store_b64 v[0:1], v[3:4], off
.LBB9_234:                              ;   in Loop: Header=BB9_12 Depth=1
	s_or_b32 exec_lo, exec_lo, s56
	s_mov_b32 s5, -1
	s_mov_b32 s56, exec_lo
	v_cmpx_gt_i32_e32 0x47, v2
; %bb.235:                              ;   in Loop: Header=BB9_12 Depth=1
	v_cmp_eq_u32_e32 vcc_lo, 0, v2
	s_or_not1_b32 s5, vcc_lo, exec_lo
; %bb.236:                              ;   in Loop: Header=BB9_12 Depth=1
	s_or_b32 exec_lo, exec_lo, s56
	s_delay_alu instid0(SALU_CYCLE_1)
	s_and_b32 exec_lo, exec_lo, s5
	s_cbranch_execz .LBB9_304
; %bb.237:                              ;   in Loop: Header=BB9_12 Depth=1
	s_clause 0x1
	scratch_load_b32 v0, off, off offset:132
	scratch_load_b64 v[2:3], off, off offset:96
	s_waitcnt vmcnt(1)
	v_add_nc_u32_e32 v1, s66, v0
	s_waitcnt vmcnt(0)
	v_or_b32_e32 v0, s86, v2
	v_mov_b32_e32 v2, 0x47
	s_delay_alu instid0(VALU_DEP_3) | instskip(NEXT) | instid1(VALU_DEP_3)
	v_cmp_gt_i32_e32 vcc_lo, s8, v1
	v_cmp_gt_i32_e64 s5, s33, v0
	s_delay_alu instid0(VALU_DEP_1) | instskip(NEXT) | instid1(SALU_CYCLE_1)
	s_and_b32 s5, vcc_lo, s5
	s_and_saveexec_b32 s56, s5
	s_cbranch_execz .LBB9_239
; %bb.238:                              ;   in Loop: Header=BB9_12 Depth=1
	s_clause 0x1
	scratch_load_b32 v0, off, off offset:152
	scratch_load_b32 v2, off, off offset:156
	s_waitcnt vmcnt(1)
	v_add_nc_u32_e32 v0, 0, v0
	s_waitcnt vmcnt(0)
	ds_load_2addr_stride64_b32 v[2:3], v2 offset1:11
	ds_load_2addr_b32 v[4:5], v0 offset0:40 offset1:41
	ds_load_b32 v0, v0 offset:2976
	scratch_load_b64 v[13:14], off, off offset:96 ; 8-byte Folded Reload
	s_waitcnt lgkmcnt(1)
	v_fma_mix_f32 v6, v4, v2, 0 op_sel_hi:[0,1,0]
	v_fma_mix_f32 v2, v4, v2, 0 op_sel:[0,1,0] op_sel_hi:[0,1,0]
	s_waitcnt lgkmcnt(0)
	s_delay_alu instid0(VALU_DEP_2) | instskip(NEXT) | instid1(VALU_DEP_2)
	v_fma_mix_f32 v4, v0, v3, v6 op_sel_hi:[0,1,0]
	v_fma_mix_f32 v6, v0, v3, v2 op_sel:[0,1,0] op_sel_hi:[0,1,0]
	s_delay_alu instid0(VALU_DEP_2) | instskip(NEXT) | instid1(VALU_DEP_2)
	v_div_scale_f32 v7, null, v5, v5, v4
	v_div_scale_f32 v8, null, v5, v5, v6
	v_div_scale_f32 v11, vcc_lo, v4, v5, v4
	s_delay_alu instid0(VALU_DEP_3) | instskip(NEXT) | instid1(VALU_DEP_2)
	v_rcp_f32_e32 v9, v7
	v_rcp_f32_e32 v10, v8
	v_div_scale_f32 v12, s5, v6, v5, v6
	s_waitcnt_depctr 0xfff
	v_fma_f32 v0, -v7, v9, 1.0
	v_fma_f32 v2, -v8, v10, 1.0
	s_delay_alu instid0(VALU_DEP_1) | instskip(SKIP_2) | instid1(VALU_DEP_2)
	v_dual_fmac_f32 v9, v0, v9 :: v_dual_fmac_f32 v10, v2, v10
	s_waitcnt vmcnt(0)
	v_mad_u64_u32 v[2:3], null, v1, s9, v[13:14]
	v_mul_f32_e32 v3, v11, v9
	s_delay_alu instid0(VALU_DEP_3) | instskip(NEXT) | instid1(VALU_DEP_2)
	v_mul_f32_e32 v13, v12, v10
	v_fma_f32 v14, -v7, v3, v11
	s_delay_alu instid0(VALU_DEP_4) | instskip(NEXT) | instid1(VALU_DEP_2)
	v_mad_u64_u32 v[0:1], null, v2, 40, v[108:109]
	v_fmac_f32_e32 v3, v14, v9
	s_delay_alu instid0(VALU_DEP_2) | instskip(NEXT) | instid1(VALU_DEP_2)
	v_ashrrev_i32_e32 v1, 31, v0
	v_fma_f32 v2, -v7, v3, v11
	s_delay_alu instid0(VALU_DEP_2) | instskip(NEXT) | instid1(VALU_DEP_2)
	v_lshlrev_b64 v[0:1], 3, v[0:1]
	v_div_fmas_f32 v2, v2, v9, v3
	s_mov_b32 vcc_lo, s5
	s_delay_alu instid0(VALU_DEP_1) | instskip(SKIP_2) | instid1(VALU_DEP_1)
	v_div_fixup_f32 v3, v2, v5, v4
	v_mov_b32_e32 v2, 0
	v_fma_f32 v15, -v8, v13, v12
	v_fmac_f32_e32 v13, v15, v10
	s_delay_alu instid0(VALU_DEP_1) | instskip(NEXT) | instid1(VALU_DEP_1)
	v_fma_f32 v7, -v8, v13, v12
	v_div_fmas_f32 v7, v7, v10, v13
	v_add_co_u32 v0, vcc_lo, s41, v0
	v_add_co_ci_u32_e32 v1, vcc_lo, s59, v1, vcc_lo
	s_delay_alu instid0(VALU_DEP_3)
	v_div_fixup_f32 v4, v7, v5, v6
	global_store_b64 v[0:1], v[3:4], off
.LBB9_239:                              ;   in Loop: Header=BB9_12 Depth=1
	s_or_b32 exec_lo, exec_lo, s56
	s_mov_b32 s5, -1
	s_mov_b32 s56, exec_lo
	v_cmpx_gt_i32_e32 0x47, v2
; %bb.240:                              ;   in Loop: Header=BB9_12 Depth=1
	v_cmp_eq_u32_e32 vcc_lo, 0, v2
	s_or_not1_b32 s5, vcc_lo, exec_lo
; %bb.241:                              ;   in Loop: Header=BB9_12 Depth=1
	s_or_b32 exec_lo, exec_lo, s56
	s_delay_alu instid0(SALU_CYCLE_1)
	s_and_b32 exec_lo, exec_lo, s5
	s_cbranch_execz .LBB9_304
; %bb.242:                              ;   in Loop: Header=BB9_12 Depth=1
	s_clause 0x1
	scratch_load_b32 v0, off, off offset:168
	scratch_load_b64 v[2:3], off, off offset:136
	s_waitcnt vmcnt(1)
	v_add_nc_u32_e32 v1, s66, v0
	s_waitcnt vmcnt(0)
	v_or_b32_e32 v0, s86, v2
	v_mov_b32_e32 v2, 0x47
	s_delay_alu instid0(VALU_DEP_3) | instskip(NEXT) | instid1(VALU_DEP_3)
	v_cmp_gt_i32_e32 vcc_lo, s8, v1
	v_cmp_gt_i32_e64 s5, s33, v0
	s_delay_alu instid0(VALU_DEP_1) | instskip(NEXT) | instid1(SALU_CYCLE_1)
	s_and_b32 s5, vcc_lo, s5
	s_and_saveexec_b32 s56, s5
	s_cbranch_execz .LBB9_244
; %bb.243:                              ;   in Loop: Header=BB9_12 Depth=1
	s_clause 0x1
	scratch_load_b32 v0, off, off offset:184
	scratch_load_b32 v2, off, off offset:188
	s_waitcnt vmcnt(1)
	v_add_nc_u32_e32 v0, 0, v0
	s_waitcnt vmcnt(0)
	ds_load_2addr_stride64_b32 v[2:3], v2 offset1:11
	ds_load_2addr_b32 v[4:5], v0 offset0:40 offset1:41
	ds_load_b32 v0, v0 offset:2976
	scratch_load_b64 v[13:14], off, off offset:136 ; 8-byte Folded Reload
	s_waitcnt lgkmcnt(1)
	v_fma_mix_f32 v6, v4, v2, 0 op_sel_hi:[0,1,0]
	v_fma_mix_f32 v2, v4, v2, 0 op_sel:[0,1,0] op_sel_hi:[0,1,0]
	s_waitcnt lgkmcnt(0)
	s_delay_alu instid0(VALU_DEP_2) | instskip(NEXT) | instid1(VALU_DEP_2)
	v_fma_mix_f32 v4, v0, v3, v6 op_sel_hi:[0,1,0]
	v_fma_mix_f32 v6, v0, v3, v2 op_sel:[0,1,0] op_sel_hi:[0,1,0]
	s_delay_alu instid0(VALU_DEP_2) | instskip(NEXT) | instid1(VALU_DEP_2)
	v_div_scale_f32 v7, null, v5, v5, v4
	v_div_scale_f32 v8, null, v5, v5, v6
	v_div_scale_f32 v11, vcc_lo, v4, v5, v4
	s_delay_alu instid0(VALU_DEP_3) | instskip(NEXT) | instid1(VALU_DEP_2)
	v_rcp_f32_e32 v9, v7
	v_rcp_f32_e32 v10, v8
	v_div_scale_f32 v12, s5, v6, v5, v6
	s_waitcnt_depctr 0xfff
	v_fma_f32 v0, -v7, v9, 1.0
	v_fma_f32 v2, -v8, v10, 1.0
	s_delay_alu instid0(VALU_DEP_1) | instskip(SKIP_2) | instid1(VALU_DEP_2)
	v_dual_fmac_f32 v9, v0, v9 :: v_dual_fmac_f32 v10, v2, v10
	s_waitcnt vmcnt(0)
	v_mad_u64_u32 v[2:3], null, v1, s9, v[13:14]
	v_mul_f32_e32 v3, v11, v9
	s_delay_alu instid0(VALU_DEP_3) | instskip(NEXT) | instid1(VALU_DEP_2)
	v_mul_f32_e32 v13, v12, v10
	v_fma_f32 v14, -v7, v3, v11
	s_delay_alu instid0(VALU_DEP_4) | instskip(NEXT) | instid1(VALU_DEP_2)
	v_mad_u64_u32 v[0:1], null, v2, 40, v[108:109]
	v_fmac_f32_e32 v3, v14, v9
	s_delay_alu instid0(VALU_DEP_2) | instskip(NEXT) | instid1(VALU_DEP_2)
	v_ashrrev_i32_e32 v1, 31, v0
	v_fma_f32 v2, -v7, v3, v11
	s_delay_alu instid0(VALU_DEP_2) | instskip(NEXT) | instid1(VALU_DEP_2)
	v_lshlrev_b64 v[0:1], 3, v[0:1]
	v_div_fmas_f32 v2, v2, v9, v3
	s_mov_b32 vcc_lo, s5
	s_delay_alu instid0(VALU_DEP_1) | instskip(SKIP_2) | instid1(VALU_DEP_1)
	v_div_fixup_f32 v3, v2, v5, v4
	v_mov_b32_e32 v2, 0
	v_fma_f32 v15, -v8, v13, v12
	v_fmac_f32_e32 v13, v15, v10
	s_delay_alu instid0(VALU_DEP_1) | instskip(NEXT) | instid1(VALU_DEP_1)
	v_fma_f32 v7, -v8, v13, v12
	v_div_fmas_f32 v7, v7, v10, v13
	v_add_co_u32 v0, vcc_lo, s41, v0
	v_add_co_ci_u32_e32 v1, vcc_lo, s59, v1, vcc_lo
	s_delay_alu instid0(VALU_DEP_3)
	v_div_fixup_f32 v4, v7, v5, v6
	global_store_b64 v[0:1], v[3:4], off
.LBB9_244:                              ;   in Loop: Header=BB9_12 Depth=1
	s_or_b32 exec_lo, exec_lo, s56
	s_mov_b32 s5, -1
	s_mov_b32 s56, exec_lo
	v_cmpx_gt_i32_e32 0x47, v2
; %bb.245:                              ;   in Loop: Header=BB9_12 Depth=1
	v_cmp_eq_u32_e32 vcc_lo, 0, v2
	s_or_not1_b32 s5, vcc_lo, exec_lo
; %bb.246:                              ;   in Loop: Header=BB9_12 Depth=1
	s_or_b32 exec_lo, exec_lo, s56
	s_delay_alu instid0(SALU_CYCLE_1)
	s_and_b32 exec_lo, exec_lo, s5
	s_cbranch_execz .LBB9_304
; %bb.247:                              ;   in Loop: Header=BB9_12 Depth=1
	s_clause 0x1
	scratch_load_b32 v0, off, off offset:200
	scratch_load_b64 v[2:3], off, off offset:176
	s_waitcnt vmcnt(1)
	v_add_nc_u32_e32 v1, s66, v0
	s_waitcnt vmcnt(0)
	v_or_b32_e32 v0, s86, v2
	v_mov_b32_e32 v2, 0x47
	s_delay_alu instid0(VALU_DEP_3) | instskip(NEXT) | instid1(VALU_DEP_3)
	v_cmp_gt_i32_e32 vcc_lo, s8, v1
	v_cmp_gt_i32_e64 s5, s33, v0
	s_delay_alu instid0(VALU_DEP_1) | instskip(NEXT) | instid1(SALU_CYCLE_1)
	s_and_b32 s5, vcc_lo, s5
	s_and_saveexec_b32 s56, s5
	s_cbranch_execz .LBB9_249
; %bb.248:                              ;   in Loop: Header=BB9_12 Depth=1
	s_clause 0x1
	scratch_load_b32 v0, off, off offset:212
	scratch_load_b32 v2, off, off offset:216
	s_waitcnt vmcnt(1)
	v_add_nc_u32_e32 v0, 0, v0
	s_waitcnt vmcnt(0)
	ds_load_2addr_stride64_b32 v[2:3], v2 offset1:11
	ds_load_2addr_b32 v[4:5], v0 offset0:40 offset1:41
	ds_load_b32 v0, v0 offset:2976
	scratch_load_b64 v[13:14], off, off offset:176 ; 8-byte Folded Reload
	s_waitcnt lgkmcnt(1)
	v_fma_mix_f32 v6, v4, v2, 0 op_sel_hi:[0,1,0]
	v_fma_mix_f32 v2, v4, v2, 0 op_sel:[0,1,0] op_sel_hi:[0,1,0]
	s_waitcnt lgkmcnt(0)
	s_delay_alu instid0(VALU_DEP_2) | instskip(NEXT) | instid1(VALU_DEP_2)
	v_fma_mix_f32 v4, v0, v3, v6 op_sel_hi:[0,1,0]
	v_fma_mix_f32 v6, v0, v3, v2 op_sel:[0,1,0] op_sel_hi:[0,1,0]
	s_delay_alu instid0(VALU_DEP_2) | instskip(NEXT) | instid1(VALU_DEP_2)
	v_div_scale_f32 v7, null, v5, v5, v4
	v_div_scale_f32 v8, null, v5, v5, v6
	v_div_scale_f32 v11, vcc_lo, v4, v5, v4
	s_delay_alu instid0(VALU_DEP_3) | instskip(NEXT) | instid1(VALU_DEP_2)
	v_rcp_f32_e32 v9, v7
	v_rcp_f32_e32 v10, v8
	v_div_scale_f32 v12, s5, v6, v5, v6
	s_waitcnt_depctr 0xfff
	v_fma_f32 v0, -v7, v9, 1.0
	v_fma_f32 v2, -v8, v10, 1.0
	s_delay_alu instid0(VALU_DEP_1) | instskip(SKIP_2) | instid1(VALU_DEP_2)
	v_dual_fmac_f32 v9, v0, v9 :: v_dual_fmac_f32 v10, v2, v10
	s_waitcnt vmcnt(0)
	v_mad_u64_u32 v[2:3], null, v1, s9, v[13:14]
	v_mul_f32_e32 v3, v11, v9
	s_delay_alu instid0(VALU_DEP_3) | instskip(NEXT) | instid1(VALU_DEP_2)
	v_mul_f32_e32 v13, v12, v10
	v_fma_f32 v14, -v7, v3, v11
	s_delay_alu instid0(VALU_DEP_4) | instskip(NEXT) | instid1(VALU_DEP_2)
	v_mad_u64_u32 v[0:1], null, v2, 40, v[108:109]
	v_fmac_f32_e32 v3, v14, v9
	s_delay_alu instid0(VALU_DEP_2) | instskip(NEXT) | instid1(VALU_DEP_2)
	v_ashrrev_i32_e32 v1, 31, v0
	v_fma_f32 v2, -v7, v3, v11
	s_delay_alu instid0(VALU_DEP_2) | instskip(NEXT) | instid1(VALU_DEP_2)
	v_lshlrev_b64 v[0:1], 3, v[0:1]
	v_div_fmas_f32 v2, v2, v9, v3
	s_mov_b32 vcc_lo, s5
	s_delay_alu instid0(VALU_DEP_1) | instskip(SKIP_2) | instid1(VALU_DEP_1)
	v_div_fixup_f32 v3, v2, v5, v4
	v_mov_b32_e32 v2, 0
	v_fma_f32 v15, -v8, v13, v12
	v_fmac_f32_e32 v13, v15, v10
	s_delay_alu instid0(VALU_DEP_1) | instskip(NEXT) | instid1(VALU_DEP_1)
	v_fma_f32 v7, -v8, v13, v12
	v_div_fmas_f32 v7, v7, v10, v13
	v_add_co_u32 v0, vcc_lo, s41, v0
	v_add_co_ci_u32_e32 v1, vcc_lo, s59, v1, vcc_lo
	s_delay_alu instid0(VALU_DEP_3)
	v_div_fixup_f32 v4, v7, v5, v6
	global_store_b64 v[0:1], v[3:4], off
.LBB9_249:                              ;   in Loop: Header=BB9_12 Depth=1
	s_or_b32 exec_lo, exec_lo, s56
	s_mov_b32 s5, -1
	s_mov_b32 s56, exec_lo
	v_cmpx_gt_i32_e32 0x47, v2
; %bb.250:                              ;   in Loop: Header=BB9_12 Depth=1
	v_cmp_eq_u32_e32 vcc_lo, 0, v2
	s_or_not1_b32 s5, vcc_lo, exec_lo
; %bb.251:                              ;   in Loop: Header=BB9_12 Depth=1
	s_or_b32 exec_lo, exec_lo, s56
	s_delay_alu instid0(SALU_CYCLE_1)
	s_and_b32 exec_lo, exec_lo, s5
	s_cbranch_execz .LBB9_304
; %bb.252:                              ;   in Loop: Header=BB9_12 Depth=1
	s_clause 0x1
	scratch_load_b32 v0, off, off offset:220
	scratch_load_b64 v[2:3], off, off offset:204
	s_waitcnt vmcnt(1)
	v_add_nc_u32_e32 v1, s66, v0
	s_waitcnt vmcnt(0)
	v_or_b32_e32 v0, s86, v2
	v_mov_b32_e32 v2, 0x47
	s_delay_alu instid0(VALU_DEP_3) | instskip(NEXT) | instid1(VALU_DEP_3)
	v_cmp_gt_i32_e32 vcc_lo, s8, v1
	v_cmp_gt_i32_e64 s5, s33, v0
	s_delay_alu instid0(VALU_DEP_1) | instskip(NEXT) | instid1(SALU_CYCLE_1)
	s_and_b32 s5, vcc_lo, s5
	s_and_saveexec_b32 s56, s5
	s_cbranch_execz .LBB9_254
; %bb.253:                              ;   in Loop: Header=BB9_12 Depth=1
	s_clause 0x1
	scratch_load_b32 v0, off, off offset:232
	scratch_load_b32 v2, off, off offset:236
	s_waitcnt vmcnt(1)
	v_add_nc_u32_e32 v0, 0, v0
	s_waitcnt vmcnt(0)
	ds_load_2addr_stride64_b32 v[2:3], v2 offset1:11
	ds_load_2addr_b32 v[4:5], v0 offset0:40 offset1:41
	ds_load_b32 v0, v0 offset:2976
	scratch_load_b64 v[13:14], off, off offset:204 ; 8-byte Folded Reload
	s_waitcnt lgkmcnt(1)
	v_fma_mix_f32 v6, v4, v2, 0 op_sel_hi:[0,1,0]
	v_fma_mix_f32 v2, v4, v2, 0 op_sel:[0,1,0] op_sel_hi:[0,1,0]
	s_waitcnt lgkmcnt(0)
	s_delay_alu instid0(VALU_DEP_2) | instskip(NEXT) | instid1(VALU_DEP_2)
	v_fma_mix_f32 v4, v0, v3, v6 op_sel_hi:[0,1,0]
	v_fma_mix_f32 v6, v0, v3, v2 op_sel:[0,1,0] op_sel_hi:[0,1,0]
	s_delay_alu instid0(VALU_DEP_2) | instskip(NEXT) | instid1(VALU_DEP_2)
	v_div_scale_f32 v7, null, v5, v5, v4
	v_div_scale_f32 v8, null, v5, v5, v6
	v_div_scale_f32 v11, vcc_lo, v4, v5, v4
	s_delay_alu instid0(VALU_DEP_3) | instskip(NEXT) | instid1(VALU_DEP_2)
	v_rcp_f32_e32 v9, v7
	v_rcp_f32_e32 v10, v8
	v_div_scale_f32 v12, s5, v6, v5, v6
	s_waitcnt_depctr 0xfff
	v_fma_f32 v0, -v7, v9, 1.0
	v_fma_f32 v2, -v8, v10, 1.0
	s_delay_alu instid0(VALU_DEP_1) | instskip(SKIP_2) | instid1(VALU_DEP_2)
	v_dual_fmac_f32 v9, v0, v9 :: v_dual_fmac_f32 v10, v2, v10
	s_waitcnt vmcnt(0)
	v_mad_u64_u32 v[2:3], null, v1, s9, v[13:14]
	v_mul_f32_e32 v3, v11, v9
	s_delay_alu instid0(VALU_DEP_3) | instskip(NEXT) | instid1(VALU_DEP_2)
	v_mul_f32_e32 v13, v12, v10
	v_fma_f32 v14, -v7, v3, v11
	s_delay_alu instid0(VALU_DEP_4) | instskip(NEXT) | instid1(VALU_DEP_2)
	v_mad_u64_u32 v[0:1], null, v2, 40, v[108:109]
	v_fmac_f32_e32 v3, v14, v9
	s_delay_alu instid0(VALU_DEP_2) | instskip(NEXT) | instid1(VALU_DEP_2)
	v_ashrrev_i32_e32 v1, 31, v0
	v_fma_f32 v2, -v7, v3, v11
	s_delay_alu instid0(VALU_DEP_2) | instskip(NEXT) | instid1(VALU_DEP_2)
	v_lshlrev_b64 v[0:1], 3, v[0:1]
	v_div_fmas_f32 v2, v2, v9, v3
	s_mov_b32 vcc_lo, s5
	s_delay_alu instid0(VALU_DEP_1) | instskip(SKIP_2) | instid1(VALU_DEP_1)
	v_div_fixup_f32 v3, v2, v5, v4
	v_mov_b32_e32 v2, 0
	v_fma_f32 v15, -v8, v13, v12
	v_fmac_f32_e32 v13, v15, v10
	s_delay_alu instid0(VALU_DEP_1) | instskip(NEXT) | instid1(VALU_DEP_1)
	v_fma_f32 v7, -v8, v13, v12
	v_div_fmas_f32 v7, v7, v10, v13
	v_add_co_u32 v0, vcc_lo, s41, v0
	v_add_co_ci_u32_e32 v1, vcc_lo, s59, v1, vcc_lo
	s_delay_alu instid0(VALU_DEP_3)
	v_div_fixup_f32 v4, v7, v5, v6
	global_store_b64 v[0:1], v[3:4], off
.LBB9_254:                              ;   in Loop: Header=BB9_12 Depth=1
	s_or_b32 exec_lo, exec_lo, s56
	s_mov_b32 s5, -1
	s_mov_b32 s56, exec_lo
	v_cmpx_gt_i32_e32 0x47, v2
; %bb.255:                              ;   in Loop: Header=BB9_12 Depth=1
	v_cmp_eq_u32_e32 vcc_lo, 0, v2
	s_or_not1_b32 s5, vcc_lo, exec_lo
; %bb.256:                              ;   in Loop: Header=BB9_12 Depth=1
	s_or_b32 exec_lo, exec_lo, s56
	s_delay_alu instid0(SALU_CYCLE_1)
	s_and_b32 exec_lo, exec_lo, s5
	s_cbranch_execz .LBB9_304
; %bb.257:                              ;   in Loop: Header=BB9_12 Depth=1
	s_clause 0x1
	scratch_load_b32 v0, off, off offset:240
	scratch_load_b64 v[2:3], off, off offset:224
	s_waitcnt vmcnt(1)
	v_add_nc_u32_e32 v1, s66, v0
	s_waitcnt vmcnt(0)
	v_or_b32_e32 v0, s86, v2
	v_mov_b32_e32 v2, 0x47
	s_delay_alu instid0(VALU_DEP_3) | instskip(NEXT) | instid1(VALU_DEP_3)
	v_cmp_gt_i32_e32 vcc_lo, s8, v1
	v_cmp_gt_i32_e64 s5, s33, v0
	s_delay_alu instid0(VALU_DEP_1) | instskip(NEXT) | instid1(SALU_CYCLE_1)
	s_and_b32 s5, vcc_lo, s5
	s_and_saveexec_b32 s56, s5
	s_cbranch_execz .LBB9_259
; %bb.258:                              ;   in Loop: Header=BB9_12 Depth=1
	s_clause 0x1
	scratch_load_b32 v0, off, off offset:252
	scratch_load_b32 v2, off, off offset:256
	s_waitcnt vmcnt(1)
	v_add_nc_u32_e32 v0, 0, v0
	s_waitcnt vmcnt(0)
	ds_load_2addr_stride64_b32 v[2:3], v2 offset1:11
	ds_load_2addr_b32 v[4:5], v0 offset0:40 offset1:41
	ds_load_b32 v0, v0 offset:2976
	scratch_load_b64 v[13:14], off, off offset:224 ; 8-byte Folded Reload
	s_waitcnt lgkmcnt(1)
	v_fma_mix_f32 v6, v4, v2, 0 op_sel_hi:[0,1,0]
	v_fma_mix_f32 v2, v4, v2, 0 op_sel:[0,1,0] op_sel_hi:[0,1,0]
	s_waitcnt lgkmcnt(0)
	s_delay_alu instid0(VALU_DEP_2) | instskip(NEXT) | instid1(VALU_DEP_2)
	v_fma_mix_f32 v4, v0, v3, v6 op_sel_hi:[0,1,0]
	v_fma_mix_f32 v6, v0, v3, v2 op_sel:[0,1,0] op_sel_hi:[0,1,0]
	s_delay_alu instid0(VALU_DEP_2) | instskip(NEXT) | instid1(VALU_DEP_2)
	v_div_scale_f32 v7, null, v5, v5, v4
	v_div_scale_f32 v8, null, v5, v5, v6
	v_div_scale_f32 v11, vcc_lo, v4, v5, v4
	s_delay_alu instid0(VALU_DEP_3) | instskip(NEXT) | instid1(VALU_DEP_2)
	v_rcp_f32_e32 v9, v7
	v_rcp_f32_e32 v10, v8
	v_div_scale_f32 v12, s5, v6, v5, v6
	s_waitcnt_depctr 0xfff
	v_fma_f32 v0, -v7, v9, 1.0
	v_fma_f32 v2, -v8, v10, 1.0
	s_delay_alu instid0(VALU_DEP_1) | instskip(SKIP_2) | instid1(VALU_DEP_2)
	v_dual_fmac_f32 v9, v0, v9 :: v_dual_fmac_f32 v10, v2, v10
	s_waitcnt vmcnt(0)
	v_mad_u64_u32 v[2:3], null, v1, s9, v[13:14]
	v_mul_f32_e32 v3, v11, v9
	s_delay_alu instid0(VALU_DEP_3) | instskip(NEXT) | instid1(VALU_DEP_2)
	v_mul_f32_e32 v13, v12, v10
	v_fma_f32 v14, -v7, v3, v11
	s_delay_alu instid0(VALU_DEP_4) | instskip(NEXT) | instid1(VALU_DEP_2)
	v_mad_u64_u32 v[0:1], null, v2, 40, v[108:109]
	v_fmac_f32_e32 v3, v14, v9
	s_delay_alu instid0(VALU_DEP_2) | instskip(NEXT) | instid1(VALU_DEP_2)
	v_ashrrev_i32_e32 v1, 31, v0
	v_fma_f32 v2, -v7, v3, v11
	s_delay_alu instid0(VALU_DEP_2) | instskip(NEXT) | instid1(VALU_DEP_2)
	v_lshlrev_b64 v[0:1], 3, v[0:1]
	v_div_fmas_f32 v2, v2, v9, v3
	s_mov_b32 vcc_lo, s5
	s_delay_alu instid0(VALU_DEP_1) | instskip(SKIP_2) | instid1(VALU_DEP_1)
	v_div_fixup_f32 v3, v2, v5, v4
	v_mov_b32_e32 v2, 0
	v_fma_f32 v15, -v8, v13, v12
	v_fmac_f32_e32 v13, v15, v10
	s_delay_alu instid0(VALU_DEP_1) | instskip(NEXT) | instid1(VALU_DEP_1)
	v_fma_f32 v7, -v8, v13, v12
	v_div_fmas_f32 v7, v7, v10, v13
	v_add_co_u32 v0, vcc_lo, s41, v0
	v_add_co_ci_u32_e32 v1, vcc_lo, s59, v1, vcc_lo
	s_delay_alu instid0(VALU_DEP_3)
	v_div_fixup_f32 v4, v7, v5, v6
	global_store_b64 v[0:1], v[3:4], off
.LBB9_259:                              ;   in Loop: Header=BB9_12 Depth=1
	s_or_b32 exec_lo, exec_lo, s56
	s_mov_b32 s5, -1
	s_mov_b32 s56, exec_lo
	v_cmpx_gt_i32_e32 0x47, v2
; %bb.260:                              ;   in Loop: Header=BB9_12 Depth=1
	v_cmp_eq_u32_e32 vcc_lo, 0, v2
	s_or_not1_b32 s5, vcc_lo, exec_lo
; %bb.261:                              ;   in Loop: Header=BB9_12 Depth=1
	s_or_b32 exec_lo, exec_lo, s56
	s_delay_alu instid0(SALU_CYCLE_1)
	s_and_b32 exec_lo, exec_lo, s5
	s_cbranch_execz .LBB9_304
; %bb.262:                              ;   in Loop: Header=BB9_12 Depth=1
	s_clause 0x1
	scratch_load_b32 v0, off, off offset:260
	scratch_load_b64 v[2:3], off, off offset:244
	s_waitcnt vmcnt(1)
	v_add_nc_u32_e32 v1, s66, v0
	s_waitcnt vmcnt(0)
	v_or_b32_e32 v0, s86, v2
	v_mov_b32_e32 v2, 0x47
	s_delay_alu instid0(VALU_DEP_3) | instskip(NEXT) | instid1(VALU_DEP_3)
	v_cmp_gt_i32_e32 vcc_lo, s8, v1
	v_cmp_gt_i32_e64 s5, s33, v0
	s_delay_alu instid0(VALU_DEP_1) | instskip(NEXT) | instid1(SALU_CYCLE_1)
	s_and_b32 s5, vcc_lo, s5
	s_and_saveexec_b32 s56, s5
	s_cbranch_execz .LBB9_264
; %bb.263:                              ;   in Loop: Header=BB9_12 Depth=1
	s_clause 0x1
	scratch_load_b32 v0, off, off offset:264
	scratch_load_b32 v2, off, off offset:268
	s_waitcnt vmcnt(1)
	v_add_nc_u32_e32 v0, 0, v0
	s_waitcnt vmcnt(0)
	ds_load_2addr_stride64_b32 v[2:3], v2 offset1:11
	ds_load_2addr_b32 v[4:5], v0 offset0:40 offset1:41
	ds_load_b32 v0, v0 offset:2976
	scratch_load_b64 v[13:14], off, off offset:244 ; 8-byte Folded Reload
	s_waitcnt lgkmcnt(1)
	v_fma_mix_f32 v6, v4, v2, 0 op_sel_hi:[0,1,0]
	v_fma_mix_f32 v2, v4, v2, 0 op_sel:[0,1,0] op_sel_hi:[0,1,0]
	s_waitcnt lgkmcnt(0)
	s_delay_alu instid0(VALU_DEP_2) | instskip(NEXT) | instid1(VALU_DEP_2)
	v_fma_mix_f32 v4, v0, v3, v6 op_sel_hi:[0,1,0]
	v_fma_mix_f32 v6, v0, v3, v2 op_sel:[0,1,0] op_sel_hi:[0,1,0]
	s_delay_alu instid0(VALU_DEP_2) | instskip(NEXT) | instid1(VALU_DEP_2)
	v_div_scale_f32 v7, null, v5, v5, v4
	v_div_scale_f32 v8, null, v5, v5, v6
	v_div_scale_f32 v11, vcc_lo, v4, v5, v4
	s_delay_alu instid0(VALU_DEP_3) | instskip(NEXT) | instid1(VALU_DEP_2)
	v_rcp_f32_e32 v9, v7
	v_rcp_f32_e32 v10, v8
	v_div_scale_f32 v12, s5, v6, v5, v6
	s_waitcnt_depctr 0xfff
	v_fma_f32 v0, -v7, v9, 1.0
	v_fma_f32 v2, -v8, v10, 1.0
	s_delay_alu instid0(VALU_DEP_1) | instskip(SKIP_2) | instid1(VALU_DEP_2)
	v_dual_fmac_f32 v9, v0, v9 :: v_dual_fmac_f32 v10, v2, v10
	s_waitcnt vmcnt(0)
	v_mad_u64_u32 v[2:3], null, v1, s9, v[13:14]
	v_mul_f32_e32 v3, v11, v9
	s_delay_alu instid0(VALU_DEP_3) | instskip(NEXT) | instid1(VALU_DEP_2)
	v_mul_f32_e32 v13, v12, v10
	v_fma_f32 v14, -v7, v3, v11
	s_delay_alu instid0(VALU_DEP_4) | instskip(NEXT) | instid1(VALU_DEP_2)
	v_mad_u64_u32 v[0:1], null, v2, 40, v[108:109]
	v_fmac_f32_e32 v3, v14, v9
	s_delay_alu instid0(VALU_DEP_2) | instskip(NEXT) | instid1(VALU_DEP_2)
	v_ashrrev_i32_e32 v1, 31, v0
	v_fma_f32 v2, -v7, v3, v11
	s_delay_alu instid0(VALU_DEP_2) | instskip(NEXT) | instid1(VALU_DEP_2)
	v_lshlrev_b64 v[0:1], 3, v[0:1]
	v_div_fmas_f32 v2, v2, v9, v3
	s_mov_b32 vcc_lo, s5
	s_delay_alu instid0(VALU_DEP_1) | instskip(SKIP_2) | instid1(VALU_DEP_1)
	v_div_fixup_f32 v3, v2, v5, v4
	v_mov_b32_e32 v2, 0
	v_fma_f32 v15, -v8, v13, v12
	v_fmac_f32_e32 v13, v15, v10
	s_delay_alu instid0(VALU_DEP_1) | instskip(NEXT) | instid1(VALU_DEP_1)
	v_fma_f32 v7, -v8, v13, v12
	v_div_fmas_f32 v7, v7, v10, v13
	v_add_co_u32 v0, vcc_lo, s41, v0
	v_add_co_ci_u32_e32 v1, vcc_lo, s59, v1, vcc_lo
	s_delay_alu instid0(VALU_DEP_3)
	v_div_fixup_f32 v4, v7, v5, v6
	global_store_b64 v[0:1], v[3:4], off
.LBB9_264:                              ;   in Loop: Header=BB9_12 Depth=1
	s_or_b32 exec_lo, exec_lo, s56
	s_mov_b32 s5, -1
	s_mov_b32 s56, exec_lo
	v_cmpx_gt_i32_e32 0x47, v2
; %bb.265:                              ;   in Loop: Header=BB9_12 Depth=1
	v_cmp_eq_u32_e32 vcc_lo, 0, v2
	s_or_not1_b32 s5, vcc_lo, exec_lo
; %bb.266:                              ;   in Loop: Header=BB9_12 Depth=1
	s_or_b32 exec_lo, exec_lo, s56
	s_delay_alu instid0(SALU_CYCLE_1)
	s_and_b32 exec_lo, exec_lo, s5
	s_cbranch_execz .LBB9_304
; %bb.267:                              ;   in Loop: Header=BB9_12 Depth=1
	scratch_load_b32 v0, off, off offset:272 ; 4-byte Folded Reload
	s_waitcnt vmcnt(0)
	v_dual_mov_b32 v2, 0x47 :: v_dual_add_nc_u32 v1, s66, v0
	s_delay_alu instid0(VALU_DEP_1) | instskip(SKIP_1) | instid1(SALU_CYCLE_1)
	v_cmp_gt_i32_e32 vcc_lo, s8, v1
	s_and_b32 s4, vcc_lo, s4
	s_and_saveexec_b32 s5, s4
	s_cbranch_execz .LBB9_269
; %bb.268:                              ;   in Loop: Header=BB9_12 Depth=1
	s_clause 0x1
	scratch_load_b32 v0, off, off offset:284
	scratch_load_b32 v2, off, off offset:288
	s_waitcnt vmcnt(1)
	v_add_nc_u32_e32 v0, 0, v0
	s_waitcnt vmcnt(0)
	ds_load_2addr_stride64_b32 v[2:3], v2 offset1:11
	ds_load_2addr_b32 v[4:5], v0 offset0:40 offset1:41
	ds_load_b32 v0, v0 offset:2976
	s_waitcnt lgkmcnt(1)
	v_fma_mix_f32 v6, v4, v2, 0 op_sel_hi:[0,1,0]
	v_fma_mix_f32 v2, v4, v2, 0 op_sel:[0,1,0] op_sel_hi:[0,1,0]
	s_waitcnt lgkmcnt(0)
	s_delay_alu instid0(VALU_DEP_2) | instskip(NEXT) | instid1(VALU_DEP_2)
	v_fma_mix_f32 v4, v0, v3, v6 op_sel_hi:[0,1,0]
	v_fma_mix_f32 v6, v0, v3, v2 op_sel:[0,1,0] op_sel_hi:[0,1,0]
	s_delay_alu instid0(VALU_DEP_2) | instskip(NEXT) | instid1(VALU_DEP_2)
	v_div_scale_f32 v7, null, v5, v5, v4
	v_div_scale_f32 v8, null, v5, v5, v6
	v_div_scale_f32 v11, vcc_lo, v4, v5, v4
	s_delay_alu instid0(VALU_DEP_3) | instskip(NEXT) | instid1(VALU_DEP_2)
	v_rcp_f32_e32 v9, v7
	v_rcp_f32_e32 v10, v8
	v_div_scale_f32 v12, s4, v6, v5, v6
	s_waitcnt_depctr 0xfff
	v_fma_f32 v0, -v7, v9, 1.0
	v_fma_f32 v2, -v8, v10, 1.0
	s_delay_alu instid0(VALU_DEP_1) | instskip(SKIP_1) | instid1(VALU_DEP_2)
	v_dual_fmac_f32 v9, v0, v9 :: v_dual_fmac_f32 v10, v2, v10
	v_mad_u64_u32 v[2:3], null, v1, s9, v[144:145]
	v_mul_f32_e32 v3, v11, v9
	s_delay_alu instid0(VALU_DEP_3) | instskip(NEXT) | instid1(VALU_DEP_3)
	v_mul_f32_e32 v13, v12, v10
	v_mad_u64_u32 v[0:1], null, v2, 40, v[108:109]
	s_delay_alu instid0(VALU_DEP_3) | instskip(NEXT) | instid1(VALU_DEP_1)
	v_fma_f32 v14, -v7, v3, v11
	v_fmac_f32_e32 v3, v14, v9
	s_delay_alu instid0(VALU_DEP_3) | instskip(NEXT) | instid1(VALU_DEP_2)
	v_ashrrev_i32_e32 v1, 31, v0
	v_fma_f32 v2, -v7, v3, v11
	s_delay_alu instid0(VALU_DEP_2) | instskip(NEXT) | instid1(VALU_DEP_2)
	v_lshlrev_b64 v[0:1], 3, v[0:1]
	v_div_fmas_f32 v2, v2, v9, v3
	s_mov_b32 vcc_lo, s4
	s_delay_alu instid0(VALU_DEP_1) | instskip(SKIP_2) | instid1(VALU_DEP_1)
	v_div_fixup_f32 v3, v2, v5, v4
	v_mov_b32_e32 v2, 0
	v_fma_f32 v15, -v8, v13, v12
	v_fmac_f32_e32 v13, v15, v10
	s_delay_alu instid0(VALU_DEP_1) | instskip(NEXT) | instid1(VALU_DEP_1)
	v_fma_f32 v7, -v8, v13, v12
	v_div_fmas_f32 v7, v7, v10, v13
	v_add_co_u32 v0, vcc_lo, s41, v0
	v_add_co_ci_u32_e32 v1, vcc_lo, s59, v1, vcc_lo
	s_delay_alu instid0(VALU_DEP_3)
	v_div_fixup_f32 v4, v7, v5, v6
	global_store_b64 v[0:1], v[3:4], off
.LBB9_269:                              ;   in Loop: Header=BB9_12 Depth=1
	s_or_b32 exec_lo, exec_lo, s5
	s_mov_b32 s4, -1
	s_mov_b32 s5, exec_lo
	v_cmpx_gt_i32_e32 0x47, v2
; %bb.270:                              ;   in Loop: Header=BB9_12 Depth=1
	v_cmp_eq_u32_e32 vcc_lo, 0, v2
	s_or_not1_b32 s4, vcc_lo, exec_lo
; %bb.271:                              ;   in Loop: Header=BB9_12 Depth=1
	s_or_b32 exec_lo, exec_lo, s5
	s_delay_alu instid0(SALU_CYCLE_1)
	s_and_b32 exec_lo, exec_lo, s4
	s_cbranch_execz .LBB9_304
; %bb.272:                              ;   in Loop: Header=BB9_12 Depth=1
	s_clause 0x1
	scratch_load_b32 v0, off, off offset:292
	scratch_load_b64 v[2:3], off, off offset:276
	s_waitcnt vmcnt(1)
	v_add_nc_u32_e32 v1, s66, v0
	s_waitcnt vmcnt(0)
	v_or_b32_e32 v0, s86, v2
	v_mov_b32_e32 v2, 0x47
	s_delay_alu instid0(VALU_DEP_3) | instskip(NEXT) | instid1(VALU_DEP_3)
	v_cmp_gt_i32_e32 vcc_lo, s8, v1
	v_cmp_gt_i32_e64 s4, s33, v0
	s_delay_alu instid0(VALU_DEP_1) | instskip(NEXT) | instid1(SALU_CYCLE_1)
	s_and_b32 s4, vcc_lo, s4
	s_and_saveexec_b32 s5, s4
	s_cbranch_execz .LBB9_274
; %bb.273:                              ;   in Loop: Header=BB9_12 Depth=1
	s_clause 0x1
	scratch_load_b32 v0, off, off offset:304
	scratch_load_b32 v2, off, off offset:308
	s_waitcnt vmcnt(1)
	v_add_nc_u32_e32 v0, 0, v0
	s_waitcnt vmcnt(0)
	ds_load_2addr_stride64_b32 v[2:3], v2 offset1:11
	ds_load_2addr_b32 v[4:5], v0 offset0:40 offset1:41
	ds_load_b32 v0, v0 offset:2976
	scratch_load_b64 v[13:14], off, off offset:276 ; 8-byte Folded Reload
	s_waitcnt lgkmcnt(1)
	v_fma_mix_f32 v6, v4, v2, 0 op_sel_hi:[0,1,0]
	v_fma_mix_f32 v2, v4, v2, 0 op_sel:[0,1,0] op_sel_hi:[0,1,0]
	s_waitcnt lgkmcnt(0)
	s_delay_alu instid0(VALU_DEP_2) | instskip(NEXT) | instid1(VALU_DEP_2)
	v_fma_mix_f32 v4, v0, v3, v6 op_sel_hi:[0,1,0]
	v_fma_mix_f32 v6, v0, v3, v2 op_sel:[0,1,0] op_sel_hi:[0,1,0]
	s_delay_alu instid0(VALU_DEP_2) | instskip(NEXT) | instid1(VALU_DEP_2)
	v_div_scale_f32 v7, null, v5, v5, v4
	v_div_scale_f32 v8, null, v5, v5, v6
	v_div_scale_f32 v11, vcc_lo, v4, v5, v4
	s_delay_alu instid0(VALU_DEP_3) | instskip(NEXT) | instid1(VALU_DEP_2)
	v_rcp_f32_e32 v9, v7
	v_rcp_f32_e32 v10, v8
	v_div_scale_f32 v12, s4, v6, v5, v6
	s_waitcnt_depctr 0xfff
	v_fma_f32 v0, -v7, v9, 1.0
	v_fma_f32 v2, -v8, v10, 1.0
	s_delay_alu instid0(VALU_DEP_1) | instskip(SKIP_2) | instid1(VALU_DEP_2)
	v_dual_fmac_f32 v9, v0, v9 :: v_dual_fmac_f32 v10, v2, v10
	s_waitcnt vmcnt(0)
	v_mad_u64_u32 v[2:3], null, v1, s9, v[13:14]
	v_mul_f32_e32 v3, v11, v9
	s_delay_alu instid0(VALU_DEP_3) | instskip(NEXT) | instid1(VALU_DEP_2)
	v_mul_f32_e32 v13, v12, v10
	v_fma_f32 v14, -v7, v3, v11
	s_delay_alu instid0(VALU_DEP_4) | instskip(NEXT) | instid1(VALU_DEP_2)
	v_mad_u64_u32 v[0:1], null, v2, 40, v[108:109]
	v_fmac_f32_e32 v3, v14, v9
	s_delay_alu instid0(VALU_DEP_2) | instskip(NEXT) | instid1(VALU_DEP_2)
	v_ashrrev_i32_e32 v1, 31, v0
	v_fma_f32 v2, -v7, v3, v11
	s_delay_alu instid0(VALU_DEP_2) | instskip(NEXT) | instid1(VALU_DEP_2)
	v_lshlrev_b64 v[0:1], 3, v[0:1]
	v_div_fmas_f32 v2, v2, v9, v3
	s_mov_b32 vcc_lo, s4
	s_delay_alu instid0(VALU_DEP_1) | instskip(SKIP_2) | instid1(VALU_DEP_1)
	v_div_fixup_f32 v3, v2, v5, v4
	v_mov_b32_e32 v2, 0
	v_fma_f32 v15, -v8, v13, v12
	v_fmac_f32_e32 v13, v15, v10
	s_delay_alu instid0(VALU_DEP_1) | instskip(NEXT) | instid1(VALU_DEP_1)
	v_fma_f32 v7, -v8, v13, v12
	v_div_fmas_f32 v7, v7, v10, v13
	v_add_co_u32 v0, vcc_lo, s41, v0
	v_add_co_ci_u32_e32 v1, vcc_lo, s59, v1, vcc_lo
	s_delay_alu instid0(VALU_DEP_3)
	v_div_fixup_f32 v4, v7, v5, v6
	global_store_b64 v[0:1], v[3:4], off
.LBB9_274:                              ;   in Loop: Header=BB9_12 Depth=1
	s_or_b32 exec_lo, exec_lo, s5
	s_mov_b32 s4, -1
	s_mov_b32 s5, exec_lo
	v_cmpx_gt_i32_e32 0x47, v2
; %bb.275:                              ;   in Loop: Header=BB9_12 Depth=1
	v_cmp_eq_u32_e32 vcc_lo, 0, v2
	s_or_not1_b32 s4, vcc_lo, exec_lo
; %bb.276:                              ;   in Loop: Header=BB9_12 Depth=1
	s_or_b32 exec_lo, exec_lo, s5
	s_delay_alu instid0(SALU_CYCLE_1)
	s_and_b32 exec_lo, exec_lo, s4
	s_cbranch_execz .LBB9_304
; %bb.277:                              ;   in Loop: Header=BB9_12 Depth=1
	s_clause 0x1
	scratch_load_b32 v0, off, off offset:312
	scratch_load_b64 v[2:3], off, off offset:296
	s_waitcnt vmcnt(1)
	v_add_nc_u32_e32 v1, s66, v0
	s_waitcnt vmcnt(0)
	v_or_b32_e32 v0, s86, v2
	v_mov_b32_e32 v2, 0x47
	s_delay_alu instid0(VALU_DEP_3) | instskip(NEXT) | instid1(VALU_DEP_3)
	v_cmp_gt_i32_e32 vcc_lo, s8, v1
	v_cmp_gt_i32_e64 s4, s33, v0
	s_delay_alu instid0(VALU_DEP_1) | instskip(NEXT) | instid1(SALU_CYCLE_1)
	s_and_b32 s4, vcc_lo, s4
	s_and_saveexec_b32 s5, s4
	s_cbranch_execz .LBB9_279
; %bb.278:                              ;   in Loop: Header=BB9_12 Depth=1
	s_clause 0x1
	scratch_load_b32 v0, off, off offset:324
	scratch_load_b32 v2, off, off offset:328
	s_waitcnt vmcnt(1)
	v_add_nc_u32_e32 v0, 0, v0
	s_waitcnt vmcnt(0)
	ds_load_2addr_stride64_b32 v[2:3], v2 offset1:11
	ds_load_2addr_b32 v[4:5], v0 offset0:40 offset1:41
	ds_load_b32 v0, v0 offset:2976
	scratch_load_b64 v[13:14], off, off offset:296 ; 8-byte Folded Reload
	s_waitcnt lgkmcnt(1)
	v_fma_mix_f32 v6, v4, v2, 0 op_sel_hi:[0,1,0]
	v_fma_mix_f32 v2, v4, v2, 0 op_sel:[0,1,0] op_sel_hi:[0,1,0]
	s_waitcnt lgkmcnt(0)
	s_delay_alu instid0(VALU_DEP_2) | instskip(NEXT) | instid1(VALU_DEP_2)
	v_fma_mix_f32 v4, v0, v3, v6 op_sel_hi:[0,1,0]
	v_fma_mix_f32 v6, v0, v3, v2 op_sel:[0,1,0] op_sel_hi:[0,1,0]
	s_delay_alu instid0(VALU_DEP_2) | instskip(NEXT) | instid1(VALU_DEP_2)
	v_div_scale_f32 v7, null, v5, v5, v4
	v_div_scale_f32 v8, null, v5, v5, v6
	v_div_scale_f32 v11, vcc_lo, v4, v5, v4
	s_delay_alu instid0(VALU_DEP_3) | instskip(NEXT) | instid1(VALU_DEP_2)
	v_rcp_f32_e32 v9, v7
	v_rcp_f32_e32 v10, v8
	v_div_scale_f32 v12, s4, v6, v5, v6
	s_waitcnt_depctr 0xfff
	v_fma_f32 v0, -v7, v9, 1.0
	v_fma_f32 v2, -v8, v10, 1.0
	s_delay_alu instid0(VALU_DEP_1) | instskip(SKIP_2) | instid1(VALU_DEP_2)
	v_dual_fmac_f32 v9, v0, v9 :: v_dual_fmac_f32 v10, v2, v10
	s_waitcnt vmcnt(0)
	v_mad_u64_u32 v[2:3], null, v1, s9, v[13:14]
	v_mul_f32_e32 v3, v11, v9
	s_delay_alu instid0(VALU_DEP_3) | instskip(NEXT) | instid1(VALU_DEP_2)
	v_mul_f32_e32 v13, v12, v10
	v_fma_f32 v14, -v7, v3, v11
	s_delay_alu instid0(VALU_DEP_4) | instskip(NEXT) | instid1(VALU_DEP_2)
	v_mad_u64_u32 v[0:1], null, v2, 40, v[108:109]
	v_fmac_f32_e32 v3, v14, v9
	s_delay_alu instid0(VALU_DEP_2) | instskip(NEXT) | instid1(VALU_DEP_2)
	v_ashrrev_i32_e32 v1, 31, v0
	v_fma_f32 v2, -v7, v3, v11
	s_delay_alu instid0(VALU_DEP_2) | instskip(NEXT) | instid1(VALU_DEP_2)
	v_lshlrev_b64 v[0:1], 3, v[0:1]
	v_div_fmas_f32 v2, v2, v9, v3
	s_mov_b32 vcc_lo, s4
	s_delay_alu instid0(VALU_DEP_1) | instskip(SKIP_2) | instid1(VALU_DEP_1)
	v_div_fixup_f32 v3, v2, v5, v4
	v_mov_b32_e32 v2, 0
	v_fma_f32 v15, -v8, v13, v12
	v_fmac_f32_e32 v13, v15, v10
	s_delay_alu instid0(VALU_DEP_1) | instskip(NEXT) | instid1(VALU_DEP_1)
	v_fma_f32 v7, -v8, v13, v12
	v_div_fmas_f32 v7, v7, v10, v13
	v_add_co_u32 v0, vcc_lo, s41, v0
	v_add_co_ci_u32_e32 v1, vcc_lo, s59, v1, vcc_lo
	s_delay_alu instid0(VALU_DEP_3)
	v_div_fixup_f32 v4, v7, v5, v6
	global_store_b64 v[0:1], v[3:4], off
.LBB9_279:                              ;   in Loop: Header=BB9_12 Depth=1
	s_or_b32 exec_lo, exec_lo, s5
	s_mov_b32 s4, -1
	s_mov_b32 s5, exec_lo
	v_cmpx_gt_i32_e32 0x47, v2
; %bb.280:                              ;   in Loop: Header=BB9_12 Depth=1
	v_cmp_eq_u32_e32 vcc_lo, 0, v2
	s_or_not1_b32 s4, vcc_lo, exec_lo
; %bb.281:                              ;   in Loop: Header=BB9_12 Depth=1
	s_or_b32 exec_lo, exec_lo, s5
	s_delay_alu instid0(SALU_CYCLE_1)
	s_and_b32 exec_lo, exec_lo, s4
	s_cbranch_execz .LBB9_304
; %bb.282:                              ;   in Loop: Header=BB9_12 Depth=1
	s_clause 0x1
	scratch_load_b32 v0, off, off offset:332
	scratch_load_b64 v[2:3], off, off offset:316
	s_waitcnt vmcnt(1)
	v_add_nc_u32_e32 v1, s66, v0
	s_waitcnt vmcnt(0)
	v_or_b32_e32 v0, s86, v2
	v_mov_b32_e32 v2, 0x47
	s_delay_alu instid0(VALU_DEP_3) | instskip(NEXT) | instid1(VALU_DEP_3)
	v_cmp_gt_i32_e32 vcc_lo, s8, v1
	v_cmp_gt_i32_e64 s4, s33, v0
	s_delay_alu instid0(VALU_DEP_1) | instskip(NEXT) | instid1(SALU_CYCLE_1)
	s_and_b32 s4, vcc_lo, s4
	s_and_saveexec_b32 s5, s4
	s_cbranch_execz .LBB9_284
; %bb.283:                              ;   in Loop: Header=BB9_12 Depth=1
	s_clause 0x1
	scratch_load_b32 v0, off, off offset:344
	scratch_load_b32 v2, off, off offset:348
	s_waitcnt vmcnt(1)
	v_add_nc_u32_e32 v0, 0, v0
	s_waitcnt vmcnt(0)
	ds_load_2addr_stride64_b32 v[2:3], v2 offset1:11
	ds_load_2addr_b32 v[4:5], v0 offset0:40 offset1:41
	ds_load_b32 v0, v0 offset:2976
	scratch_load_b64 v[13:14], off, off offset:316 ; 8-byte Folded Reload
	s_waitcnt lgkmcnt(1)
	v_fma_mix_f32 v6, v4, v2, 0 op_sel_hi:[0,1,0]
	v_fma_mix_f32 v2, v4, v2, 0 op_sel:[0,1,0] op_sel_hi:[0,1,0]
	s_waitcnt lgkmcnt(0)
	s_delay_alu instid0(VALU_DEP_2) | instskip(NEXT) | instid1(VALU_DEP_2)
	v_fma_mix_f32 v4, v0, v3, v6 op_sel_hi:[0,1,0]
	v_fma_mix_f32 v6, v0, v3, v2 op_sel:[0,1,0] op_sel_hi:[0,1,0]
	s_delay_alu instid0(VALU_DEP_2) | instskip(NEXT) | instid1(VALU_DEP_2)
	v_div_scale_f32 v7, null, v5, v5, v4
	v_div_scale_f32 v8, null, v5, v5, v6
	v_div_scale_f32 v11, vcc_lo, v4, v5, v4
	s_delay_alu instid0(VALU_DEP_3) | instskip(NEXT) | instid1(VALU_DEP_2)
	v_rcp_f32_e32 v9, v7
	v_rcp_f32_e32 v10, v8
	v_div_scale_f32 v12, s4, v6, v5, v6
	s_waitcnt_depctr 0xfff
	v_fma_f32 v0, -v7, v9, 1.0
	v_fma_f32 v2, -v8, v10, 1.0
	s_delay_alu instid0(VALU_DEP_1) | instskip(SKIP_2) | instid1(VALU_DEP_2)
	v_dual_fmac_f32 v9, v0, v9 :: v_dual_fmac_f32 v10, v2, v10
	s_waitcnt vmcnt(0)
	v_mad_u64_u32 v[2:3], null, v1, s9, v[13:14]
	v_mul_f32_e32 v3, v11, v9
	s_delay_alu instid0(VALU_DEP_3) | instskip(NEXT) | instid1(VALU_DEP_2)
	v_mul_f32_e32 v13, v12, v10
	v_fma_f32 v14, -v7, v3, v11
	s_delay_alu instid0(VALU_DEP_4) | instskip(NEXT) | instid1(VALU_DEP_2)
	v_mad_u64_u32 v[0:1], null, v2, 40, v[108:109]
	v_fmac_f32_e32 v3, v14, v9
	s_delay_alu instid0(VALU_DEP_2) | instskip(NEXT) | instid1(VALU_DEP_2)
	v_ashrrev_i32_e32 v1, 31, v0
	v_fma_f32 v2, -v7, v3, v11
	s_delay_alu instid0(VALU_DEP_2) | instskip(NEXT) | instid1(VALU_DEP_2)
	v_lshlrev_b64 v[0:1], 3, v[0:1]
	v_div_fmas_f32 v2, v2, v9, v3
	s_mov_b32 vcc_lo, s4
	s_delay_alu instid0(VALU_DEP_1) | instskip(SKIP_2) | instid1(VALU_DEP_1)
	v_div_fixup_f32 v3, v2, v5, v4
	v_mov_b32_e32 v2, 0
	v_fma_f32 v15, -v8, v13, v12
	v_fmac_f32_e32 v13, v15, v10
	s_delay_alu instid0(VALU_DEP_1) | instskip(NEXT) | instid1(VALU_DEP_1)
	v_fma_f32 v7, -v8, v13, v12
	v_div_fmas_f32 v7, v7, v10, v13
	v_add_co_u32 v0, vcc_lo, s41, v0
	v_add_co_ci_u32_e32 v1, vcc_lo, s59, v1, vcc_lo
	s_delay_alu instid0(VALU_DEP_3)
	v_div_fixup_f32 v4, v7, v5, v6
	global_store_b64 v[0:1], v[3:4], off
.LBB9_284:                              ;   in Loop: Header=BB9_12 Depth=1
	s_or_b32 exec_lo, exec_lo, s5
	s_mov_b32 s4, -1
	s_mov_b32 s5, exec_lo
	v_cmpx_gt_i32_e32 0x47, v2
; %bb.285:                              ;   in Loop: Header=BB9_12 Depth=1
	v_cmp_eq_u32_e32 vcc_lo, 0, v2
	s_or_not1_b32 s4, vcc_lo, exec_lo
; %bb.286:                              ;   in Loop: Header=BB9_12 Depth=1
	s_or_b32 exec_lo, exec_lo, s5
	s_delay_alu instid0(SALU_CYCLE_1)
	s_and_b32 exec_lo, exec_lo, s4
	s_cbranch_execz .LBB9_304
; %bb.287:                              ;   in Loop: Header=BB9_12 Depth=1
	s_clause 0x1
	scratch_load_b32 v0, off, off offset:352
	scratch_load_b64 v[2:3], off, off offset:336
	s_waitcnt vmcnt(1)
	v_add_nc_u32_e32 v1, s66, v0
	s_waitcnt vmcnt(0)
	v_or_b32_e32 v0, s86, v2
	v_mov_b32_e32 v2, 0x47
	s_delay_alu instid0(VALU_DEP_3) | instskip(NEXT) | instid1(VALU_DEP_3)
	v_cmp_gt_i32_e32 vcc_lo, s8, v1
	v_cmp_gt_i32_e64 s4, s33, v0
	s_delay_alu instid0(VALU_DEP_1) | instskip(NEXT) | instid1(SALU_CYCLE_1)
	s_and_b32 s4, vcc_lo, s4
	s_and_saveexec_b32 s5, s4
	s_cbranch_execz .LBB9_289
; %bb.288:                              ;   in Loop: Header=BB9_12 Depth=1
	s_clause 0x1
	scratch_load_b32 v0, off, off offset:364
	scratch_load_b32 v2, off, off offset:368
	s_waitcnt vmcnt(1)
	v_add_nc_u32_e32 v0, 0, v0
	s_waitcnt vmcnt(0)
	ds_load_2addr_stride64_b32 v[2:3], v2 offset1:11
	ds_load_2addr_b32 v[4:5], v0 offset0:40 offset1:41
	ds_load_b32 v0, v0 offset:2976
	scratch_load_b64 v[13:14], off, off offset:336 ; 8-byte Folded Reload
	s_waitcnt lgkmcnt(1)
	v_fma_mix_f32 v6, v4, v2, 0 op_sel_hi:[0,1,0]
	v_fma_mix_f32 v2, v4, v2, 0 op_sel:[0,1,0] op_sel_hi:[0,1,0]
	s_waitcnt lgkmcnt(0)
	s_delay_alu instid0(VALU_DEP_2) | instskip(NEXT) | instid1(VALU_DEP_2)
	v_fma_mix_f32 v4, v0, v3, v6 op_sel_hi:[0,1,0]
	v_fma_mix_f32 v6, v0, v3, v2 op_sel:[0,1,0] op_sel_hi:[0,1,0]
	s_delay_alu instid0(VALU_DEP_2) | instskip(NEXT) | instid1(VALU_DEP_2)
	v_div_scale_f32 v7, null, v5, v5, v4
	v_div_scale_f32 v8, null, v5, v5, v6
	v_div_scale_f32 v11, vcc_lo, v4, v5, v4
	s_delay_alu instid0(VALU_DEP_3) | instskip(NEXT) | instid1(VALU_DEP_2)
	v_rcp_f32_e32 v9, v7
	v_rcp_f32_e32 v10, v8
	v_div_scale_f32 v12, s4, v6, v5, v6
	s_waitcnt_depctr 0xfff
	v_fma_f32 v0, -v7, v9, 1.0
	v_fma_f32 v2, -v8, v10, 1.0
	s_delay_alu instid0(VALU_DEP_1) | instskip(SKIP_2) | instid1(VALU_DEP_2)
	v_dual_fmac_f32 v9, v0, v9 :: v_dual_fmac_f32 v10, v2, v10
	s_waitcnt vmcnt(0)
	v_mad_u64_u32 v[2:3], null, v1, s9, v[13:14]
	v_mul_f32_e32 v3, v11, v9
	s_delay_alu instid0(VALU_DEP_3) | instskip(NEXT) | instid1(VALU_DEP_2)
	v_mul_f32_e32 v13, v12, v10
	v_fma_f32 v14, -v7, v3, v11
	s_delay_alu instid0(VALU_DEP_4) | instskip(NEXT) | instid1(VALU_DEP_2)
	v_mad_u64_u32 v[0:1], null, v2, 40, v[108:109]
	v_fmac_f32_e32 v3, v14, v9
	s_delay_alu instid0(VALU_DEP_2) | instskip(NEXT) | instid1(VALU_DEP_2)
	v_ashrrev_i32_e32 v1, 31, v0
	v_fma_f32 v2, -v7, v3, v11
	s_delay_alu instid0(VALU_DEP_2) | instskip(NEXT) | instid1(VALU_DEP_2)
	v_lshlrev_b64 v[0:1], 3, v[0:1]
	v_div_fmas_f32 v2, v2, v9, v3
	s_mov_b32 vcc_lo, s4
	s_delay_alu instid0(VALU_DEP_1) | instskip(SKIP_2) | instid1(VALU_DEP_1)
	v_div_fixup_f32 v3, v2, v5, v4
	v_mov_b32_e32 v2, 0
	v_fma_f32 v15, -v8, v13, v12
	v_fmac_f32_e32 v13, v15, v10
	s_delay_alu instid0(VALU_DEP_1) | instskip(NEXT) | instid1(VALU_DEP_1)
	v_fma_f32 v7, -v8, v13, v12
	v_div_fmas_f32 v7, v7, v10, v13
	v_add_co_u32 v0, vcc_lo, s41, v0
	v_add_co_ci_u32_e32 v1, vcc_lo, s59, v1, vcc_lo
	s_delay_alu instid0(VALU_DEP_3)
	v_div_fixup_f32 v4, v7, v5, v6
	global_store_b64 v[0:1], v[3:4], off
.LBB9_289:                              ;   in Loop: Header=BB9_12 Depth=1
	s_or_b32 exec_lo, exec_lo, s5
	s_mov_b32 s4, -1
	s_mov_b32 s5, exec_lo
	v_cmpx_gt_i32_e32 0x47, v2
; %bb.290:                              ;   in Loop: Header=BB9_12 Depth=1
	v_cmp_eq_u32_e32 vcc_lo, 0, v2
	s_or_not1_b32 s4, vcc_lo, exec_lo
; %bb.291:                              ;   in Loop: Header=BB9_12 Depth=1
	s_or_b32 exec_lo, exec_lo, s5
	s_delay_alu instid0(SALU_CYCLE_1)
	s_and_b32 exec_lo, exec_lo, s4
	s_cbranch_execz .LBB9_304
; %bb.292:                              ;   in Loop: Header=BB9_12 Depth=1
	s_clause 0x1
	scratch_load_b32 v0, off, off offset:372
	scratch_load_b64 v[2:3], off, off offset:356
	s_waitcnt vmcnt(1)
	v_add_nc_u32_e32 v1, s66, v0
	s_waitcnt vmcnt(0)
	v_or_b32_e32 v0, s86, v2
	v_mov_b32_e32 v2, 0x47
	s_delay_alu instid0(VALU_DEP_3) | instskip(NEXT) | instid1(VALU_DEP_3)
	v_cmp_gt_i32_e32 vcc_lo, s8, v1
	v_cmp_gt_i32_e64 s4, s33, v0
	s_delay_alu instid0(VALU_DEP_1) | instskip(NEXT) | instid1(SALU_CYCLE_1)
	s_and_b32 s4, vcc_lo, s4
	s_and_saveexec_b32 s5, s4
	s_cbranch_execz .LBB9_294
; %bb.293:                              ;   in Loop: Header=BB9_12 Depth=1
	s_clause 0x1
	scratch_load_b32 v0, off, off offset:384
	scratch_load_b32 v2, off, off offset:388
	s_waitcnt vmcnt(1)
	v_add_nc_u32_e32 v0, 0, v0
	s_waitcnt vmcnt(0)
	ds_load_2addr_stride64_b32 v[2:3], v2 offset1:11
	ds_load_2addr_b32 v[4:5], v0 offset0:40 offset1:41
	ds_load_b32 v0, v0 offset:2976
	scratch_load_b64 v[13:14], off, off offset:356 ; 8-byte Folded Reload
	s_waitcnt lgkmcnt(1)
	v_fma_mix_f32 v6, v4, v2, 0 op_sel_hi:[0,1,0]
	v_fma_mix_f32 v2, v4, v2, 0 op_sel:[0,1,0] op_sel_hi:[0,1,0]
	s_waitcnt lgkmcnt(0)
	s_delay_alu instid0(VALU_DEP_2) | instskip(NEXT) | instid1(VALU_DEP_2)
	v_fma_mix_f32 v4, v0, v3, v6 op_sel_hi:[0,1,0]
	v_fma_mix_f32 v6, v0, v3, v2 op_sel:[0,1,0] op_sel_hi:[0,1,0]
	s_delay_alu instid0(VALU_DEP_2) | instskip(NEXT) | instid1(VALU_DEP_2)
	v_div_scale_f32 v7, null, v5, v5, v4
	v_div_scale_f32 v8, null, v5, v5, v6
	v_div_scale_f32 v11, vcc_lo, v4, v5, v4
	s_delay_alu instid0(VALU_DEP_3) | instskip(NEXT) | instid1(VALU_DEP_2)
	v_rcp_f32_e32 v9, v7
	v_rcp_f32_e32 v10, v8
	v_div_scale_f32 v12, s4, v6, v5, v6
	s_waitcnt_depctr 0xfff
	v_fma_f32 v0, -v7, v9, 1.0
	v_fma_f32 v2, -v8, v10, 1.0
	s_delay_alu instid0(VALU_DEP_1) | instskip(SKIP_2) | instid1(VALU_DEP_2)
	v_dual_fmac_f32 v9, v0, v9 :: v_dual_fmac_f32 v10, v2, v10
	s_waitcnt vmcnt(0)
	v_mad_u64_u32 v[2:3], null, v1, s9, v[13:14]
	v_mul_f32_e32 v3, v11, v9
	s_delay_alu instid0(VALU_DEP_3) | instskip(NEXT) | instid1(VALU_DEP_2)
	v_mul_f32_e32 v13, v12, v10
	v_fma_f32 v14, -v7, v3, v11
	s_delay_alu instid0(VALU_DEP_4) | instskip(NEXT) | instid1(VALU_DEP_2)
	v_mad_u64_u32 v[0:1], null, v2, 40, v[108:109]
	v_fmac_f32_e32 v3, v14, v9
	s_delay_alu instid0(VALU_DEP_2) | instskip(NEXT) | instid1(VALU_DEP_2)
	v_ashrrev_i32_e32 v1, 31, v0
	v_fma_f32 v2, -v7, v3, v11
	s_delay_alu instid0(VALU_DEP_2) | instskip(NEXT) | instid1(VALU_DEP_2)
	v_lshlrev_b64 v[0:1], 3, v[0:1]
	v_div_fmas_f32 v2, v2, v9, v3
	s_mov_b32 vcc_lo, s4
	s_delay_alu instid0(VALU_DEP_1) | instskip(SKIP_2) | instid1(VALU_DEP_1)
	v_div_fixup_f32 v3, v2, v5, v4
	v_mov_b32_e32 v2, 0
	v_fma_f32 v15, -v8, v13, v12
	v_fmac_f32_e32 v13, v15, v10
	s_delay_alu instid0(VALU_DEP_1) | instskip(NEXT) | instid1(VALU_DEP_1)
	v_fma_f32 v7, -v8, v13, v12
	v_div_fmas_f32 v7, v7, v10, v13
	v_add_co_u32 v0, vcc_lo, s41, v0
	v_add_co_ci_u32_e32 v1, vcc_lo, s59, v1, vcc_lo
	s_delay_alu instid0(VALU_DEP_3)
	v_div_fixup_f32 v4, v7, v5, v6
	global_store_b64 v[0:1], v[3:4], off
.LBB9_294:                              ;   in Loop: Header=BB9_12 Depth=1
	s_or_b32 exec_lo, exec_lo, s5
	s_mov_b32 s4, -1
	s_mov_b32 s5, exec_lo
	v_cmpx_gt_i32_e32 0x47, v2
; %bb.295:                              ;   in Loop: Header=BB9_12 Depth=1
	v_cmp_eq_u32_e32 vcc_lo, 0, v2
	s_or_not1_b32 s4, vcc_lo, exec_lo
; %bb.296:                              ;   in Loop: Header=BB9_12 Depth=1
	s_or_b32 exec_lo, exec_lo, s5
	s_delay_alu instid0(SALU_CYCLE_1)
	s_and_b32 exec_lo, exec_lo, s4
	s_cbranch_execz .LBB9_304
; %bb.297:                              ;   in Loop: Header=BB9_12 Depth=1
	s_clause 0x1
	scratch_load_b32 v0, off, off offset:392
	scratch_load_b64 v[2:3], off, off offset:376
	s_waitcnt vmcnt(1)
	v_add_nc_u32_e32 v1, s66, v0
	s_waitcnt vmcnt(0)
	v_or_b32_e32 v0, s86, v2
	v_mov_b32_e32 v2, 0x47
	s_delay_alu instid0(VALU_DEP_3) | instskip(NEXT) | instid1(VALU_DEP_3)
	v_cmp_gt_i32_e32 vcc_lo, s8, v1
	v_cmp_gt_i32_e64 s4, s33, v0
	s_delay_alu instid0(VALU_DEP_1) | instskip(NEXT) | instid1(SALU_CYCLE_1)
	s_and_b32 s4, vcc_lo, s4
	s_and_saveexec_b32 s5, s4
	s_cbranch_execz .LBB9_299
; %bb.298:                              ;   in Loop: Header=BB9_12 Depth=1
	s_clause 0x1
	scratch_load_b32 v0, off, off offset:404
	scratch_load_b32 v2, off, off offset:408
	s_waitcnt vmcnt(1)
	v_add_nc_u32_e32 v0, 0, v0
	s_waitcnt vmcnt(0)
	ds_load_2addr_stride64_b32 v[2:3], v2 offset1:11
	ds_load_2addr_b32 v[4:5], v0 offset0:40 offset1:41
	ds_load_b32 v0, v0 offset:2976
	scratch_load_b64 v[13:14], off, off offset:376 ; 8-byte Folded Reload
	s_waitcnt lgkmcnt(1)
	v_fma_mix_f32 v6, v4, v2, 0 op_sel_hi:[0,1,0]
	v_fma_mix_f32 v2, v4, v2, 0 op_sel:[0,1,0] op_sel_hi:[0,1,0]
	s_waitcnt lgkmcnt(0)
	s_delay_alu instid0(VALU_DEP_2) | instskip(NEXT) | instid1(VALU_DEP_2)
	v_fma_mix_f32 v4, v0, v3, v6 op_sel_hi:[0,1,0]
	v_fma_mix_f32 v6, v0, v3, v2 op_sel:[0,1,0] op_sel_hi:[0,1,0]
	s_delay_alu instid0(VALU_DEP_2) | instskip(NEXT) | instid1(VALU_DEP_2)
	v_div_scale_f32 v7, null, v5, v5, v4
	v_div_scale_f32 v8, null, v5, v5, v6
	v_div_scale_f32 v11, vcc_lo, v4, v5, v4
	s_delay_alu instid0(VALU_DEP_3) | instskip(NEXT) | instid1(VALU_DEP_2)
	v_rcp_f32_e32 v9, v7
	v_rcp_f32_e32 v10, v8
	v_div_scale_f32 v12, s4, v6, v5, v6
	s_waitcnt_depctr 0xfff
	v_fma_f32 v0, -v7, v9, 1.0
	v_fma_f32 v2, -v8, v10, 1.0
	s_delay_alu instid0(VALU_DEP_1) | instskip(SKIP_2) | instid1(VALU_DEP_2)
	v_dual_fmac_f32 v9, v0, v9 :: v_dual_fmac_f32 v10, v2, v10
	s_waitcnt vmcnt(0)
	v_mad_u64_u32 v[2:3], null, v1, s9, v[13:14]
	v_mul_f32_e32 v3, v11, v9
	s_delay_alu instid0(VALU_DEP_3) | instskip(NEXT) | instid1(VALU_DEP_2)
	v_mul_f32_e32 v13, v12, v10
	v_fma_f32 v14, -v7, v3, v11
	s_delay_alu instid0(VALU_DEP_4) | instskip(NEXT) | instid1(VALU_DEP_2)
	v_mad_u64_u32 v[0:1], null, v2, 40, v[108:109]
	v_fmac_f32_e32 v3, v14, v9
	s_delay_alu instid0(VALU_DEP_2) | instskip(NEXT) | instid1(VALU_DEP_2)
	v_ashrrev_i32_e32 v1, 31, v0
	v_fma_f32 v2, -v7, v3, v11
	s_delay_alu instid0(VALU_DEP_2) | instskip(NEXT) | instid1(VALU_DEP_2)
	v_lshlrev_b64 v[0:1], 3, v[0:1]
	v_div_fmas_f32 v2, v2, v9, v3
	s_mov_b32 vcc_lo, s4
	s_delay_alu instid0(VALU_DEP_1) | instskip(SKIP_2) | instid1(VALU_DEP_1)
	v_div_fixup_f32 v3, v2, v5, v4
	v_mov_b32_e32 v2, 0
	v_fma_f32 v15, -v8, v13, v12
	v_fmac_f32_e32 v13, v15, v10
	s_delay_alu instid0(VALU_DEP_1) | instskip(NEXT) | instid1(VALU_DEP_1)
	v_fma_f32 v7, -v8, v13, v12
	v_div_fmas_f32 v7, v7, v10, v13
	v_add_co_u32 v0, vcc_lo, s41, v0
	v_add_co_ci_u32_e32 v1, vcc_lo, s59, v1, vcc_lo
	s_delay_alu instid0(VALU_DEP_3)
	v_div_fixup_f32 v4, v7, v5, v6
	global_store_b64 v[0:1], v[3:4], off
.LBB9_299:                              ;   in Loop: Header=BB9_12 Depth=1
	s_or_b32 exec_lo, exec_lo, s5
	s_mov_b32 s4, -1
	s_mov_b32 s5, exec_lo
	v_cmpx_gt_i32_e32 0x47, v2
; %bb.300:                              ;   in Loop: Header=BB9_12 Depth=1
	v_cmp_eq_u32_e32 vcc_lo, 0, v2
	s_or_not1_b32 s4, vcc_lo, exec_lo
; %bb.301:                              ;   in Loop: Header=BB9_12 Depth=1
	s_or_b32 exec_lo, exec_lo, s5
	s_delay_alu instid0(SALU_CYCLE_1)
	s_and_b32 exec_lo, exec_lo, s4
	s_cbranch_execz .LBB9_304
; %bb.302:                              ;   in Loop: Header=BB9_12 Depth=1
	s_clause 0x1
	scratch_load_b32 v0, off, off offset:412
	scratch_load_b64 v[2:3], off, off offset:396
	s_waitcnt vmcnt(1)
	v_add_nc_u32_e32 v1, s66, v0
	s_waitcnt vmcnt(0)
	v_or_b32_e32 v0, s86, v2
	s_delay_alu instid0(VALU_DEP_2) | instskip(NEXT) | instid1(VALU_DEP_2)
	v_cmp_gt_i32_e32 vcc_lo, s8, v1
	v_cmp_gt_i32_e64 s4, s33, v0
	s_delay_alu instid0(VALU_DEP_1) | instskip(NEXT) | instid1(SALU_CYCLE_1)
	s_and_b32 s4, vcc_lo, s4
	s_and_b32 exec_lo, exec_lo, s4
	s_cbranch_execz .LBB9_304
; %bb.303:                              ;   in Loop: Header=BB9_12 Depth=1
	s_clause 0x1
	scratch_load_b32 v0, off, off offset:416
	scratch_load_b32 v2, off, off offset:420
	s_waitcnt vmcnt(1)
	v_add_nc_u32_e32 v0, 0, v0
	s_waitcnt vmcnt(0)
	ds_load_2addr_stride64_b32 v[2:3], v2 offset1:11
	ds_load_2addr_b32 v[4:5], v0 offset0:40 offset1:41
	ds_load_b32 v0, v0 offset:2976
	scratch_load_b64 v[13:14], off, off offset:396 ; 8-byte Folded Reload
	s_waitcnt lgkmcnt(1)
	v_fma_mix_f32 v6, v4, v2, 0 op_sel_hi:[0,1,0]
	v_fma_mix_f32 v2, v4, v2, 0 op_sel:[0,1,0] op_sel_hi:[0,1,0]
	s_waitcnt lgkmcnt(0)
	s_delay_alu instid0(VALU_DEP_2) | instskip(NEXT) | instid1(VALU_DEP_2)
	v_fma_mix_f32 v4, v0, v3, v6 op_sel_hi:[0,1,0]
	v_fma_mix_f32 v6, v0, v3, v2 op_sel:[0,1,0] op_sel_hi:[0,1,0]
	s_delay_alu instid0(VALU_DEP_2) | instskip(NEXT) | instid1(VALU_DEP_2)
	v_div_scale_f32 v7, null, v5, v5, v4
	v_div_scale_f32 v8, null, v5, v5, v6
	v_div_scale_f32 v11, vcc_lo, v4, v5, v4
	s_delay_alu instid0(VALU_DEP_3) | instskip(NEXT) | instid1(VALU_DEP_2)
	v_rcp_f32_e32 v9, v7
	v_rcp_f32_e32 v10, v8
	v_div_scale_f32 v12, s4, v6, v5, v6
	s_waitcnt_depctr 0xfff
	v_fma_f32 v0, -v7, v9, 1.0
	v_fma_f32 v2, -v8, v10, 1.0
	s_delay_alu instid0(VALU_DEP_1) | instskip(SKIP_2) | instid1(VALU_DEP_2)
	v_dual_fmac_f32 v9, v0, v9 :: v_dual_fmac_f32 v10, v2, v10
	s_waitcnt vmcnt(0)
	v_mad_u64_u32 v[2:3], null, v1, s9, v[13:14]
	v_mul_f32_e32 v3, v11, v9
	s_delay_alu instid0(VALU_DEP_3) | instskip(NEXT) | instid1(VALU_DEP_2)
	v_mul_f32_e32 v13, v12, v10
	v_fma_f32 v14, -v7, v3, v11
	s_delay_alu instid0(VALU_DEP_4) | instskip(NEXT) | instid1(VALU_DEP_3)
	v_mad_u64_u32 v[0:1], null, v2, 40, v[108:109]
	v_fma_f32 v15, -v8, v13, v12
	s_delay_alu instid0(VALU_DEP_3) | instskip(NEXT) | instid1(VALU_DEP_2)
	v_fmac_f32_e32 v3, v14, v9
	v_fmac_f32_e32 v13, v15, v10
	s_delay_alu instid0(VALU_DEP_4) | instskip(NEXT) | instid1(VALU_DEP_3)
	v_ashrrev_i32_e32 v1, 31, v0
	v_fma_f32 v2, -v7, v3, v11
	s_delay_alu instid0(VALU_DEP_3) | instskip(NEXT) | instid1(VALU_DEP_3)
	v_fma_f32 v7, -v8, v13, v12
	v_lshlrev_b64 v[0:1], 3, v[0:1]
	s_delay_alu instid0(VALU_DEP_3) | instskip(SKIP_1) | instid1(VALU_DEP_3)
	v_div_fmas_f32 v2, v2, v9, v3
	s_mov_b32 vcc_lo, s4
	v_div_fmas_f32 v3, v7, v10, v13
	s_delay_alu instid0(VALU_DEP_3) | instskip(NEXT) | instid1(VALU_DEP_3)
	v_add_co_u32 v0, vcc_lo, s41, v0
	v_div_fixup_f32 v2, v2, v5, v4
	s_delay_alu instid0(VALU_DEP_3)
	v_div_fixup_f32 v3, v3, v5, v6
	v_add_co_ci_u32_e32 v1, vcc_lo, s59, v1, vcc_lo
	global_store_b64 v[0:1], v[2:3], off
.LBB9_304:                              ;   in Loop: Header=BB9_12 Depth=1
	s_or_b32 exec_lo, exec_lo, s7
	v_dual_mov_b32 v2, 0x47 :: v_dual_add_nc_u32 v1, s66, v151
	v_or_b32_e32 v0, s86, v149
	s_delay_alu instid0(VALU_DEP_2) | instskip(NEXT) | instid1(VALU_DEP_2)
	v_cmp_gt_i32_e32 vcc_lo, s8, v1
	v_cmp_gt_i32_e64 s4, s33, v0
	s_delay_alu instid0(VALU_DEP_1) | instskip(NEXT) | instid1(SALU_CYCLE_1)
	s_and_b32 s5, vcc_lo, s4
	s_and_saveexec_b32 s7, s5
	s_cbranch_execz .LBB9_306
; %bb.305:                              ;   in Loop: Header=BB9_12 Depth=1
	s_clause 0x1
	scratch_load_b32 v0, off, off offset:28
	scratch_load_b32 v2, off, off offset:24
	s_waitcnt vmcnt(1)
	v_add_nc_u32_e32 v0, 0x80, v0
	s_waitcnt vmcnt(0)
	v_add_nc_u32_e32 v6, 0, v2
	ds_load_2addr_stride64_b32 v[2:3], v0 offset1:11
	ds_load_2addr_b32 v[4:5], v6 offset0:40 offset1:41
	ds_load_b32 v0, v6 offset:2976
	s_waitcnt lgkmcnt(1)
	v_fma_mix_f32 v6, v4, v2, 0 op_sel_hi:[0,1,0]
	v_fma_mix_f32 v2, v4, v2, 0 op_sel:[0,1,0] op_sel_hi:[0,1,0]
	s_waitcnt lgkmcnt(0)
	s_delay_alu instid0(VALU_DEP_2) | instskip(NEXT) | instid1(VALU_DEP_2)
	v_fma_mix_f32 v4, v0, v3, v6 op_sel_hi:[0,1,0]
	v_fma_mix_f32 v6, v0, v3, v2 op_sel:[0,1,0] op_sel_hi:[0,1,0]
	v_mad_u64_u32 v[2:3], null, v1, s9, v[149:150]
	s_delay_alu instid0(VALU_DEP_3) | instskip(NEXT) | instid1(VALU_DEP_3)
	v_div_scale_f32 v7, null, v5, v5, v4
	v_div_scale_f32 v8, null, v5, v5, v6
	v_div_scale_f32 v11, s5, v6, v5, v6
	s_delay_alu instid0(VALU_DEP_3) | instskip(NEXT) | instid1(VALU_DEP_2)
	v_rcp_f32_e32 v9, v7
	v_rcp_f32_e32 v10, v8
	v_div_scale_f32 v3, vcc_lo, v4, v5, v4
	s_waitcnt_depctr 0xfff
	v_fma_f32 v0, -v7, v9, 1.0
	v_fma_f32 v1, -v8, v10, 1.0
	s_delay_alu instid0(VALU_DEP_1) | instskip(SKIP_1) | instid1(VALU_DEP_2)
	v_dual_fmac_f32 v9, v0, v9 :: v_dual_fmac_f32 v10, v1, v10
	v_mul_lo_u32 v0, v2, 40
	v_mul_f32_e32 v13, v11, v10
	s_delay_alu instid0(VALU_DEP_1) | instskip(NEXT) | instid1(VALU_DEP_1)
	v_fma_f32 v2, -v8, v13, v11
	v_dual_mul_f32 v12, v3, v9 :: v_dual_fmac_f32 v13, v2, v10
	s_delay_alu instid0(VALU_DEP_1) | instskip(NEXT) | instid1(VALU_DEP_1)
	v_fma_f32 v1, -v7, v12, v3
	v_fmac_f32_e32 v12, v1, v9
	v_ashrrev_i32_e32 v1, 31, v0
	v_or_b32_e32 v0, v0, v179
	s_delay_alu instid0(VALU_DEP_3) | instskip(NEXT) | instid1(VALU_DEP_3)
	v_fma_f32 v2, -v7, v12, v3
	v_or_b32_e32 v1, 0, v1
	v_fma_f32 v3, -v8, v13, v11
	s_delay_alu instid0(VALU_DEP_3) | instskip(NEXT) | instid1(VALU_DEP_3)
	v_div_fmas_f32 v2, v2, v9, v12
	v_lshlrev_b64 v[0:1], 3, v[0:1]
	s_mov_b32 vcc_lo, s5
	s_delay_alu instid0(VALU_DEP_3) | instskip(NEXT) | instid1(VALU_DEP_3)
	v_div_fmas_f32 v7, v3, v10, v13
	v_div_fixup_f32 v3, v2, v5, v4
	v_mov_b32_e32 v2, 0
	s_delay_alu instid0(VALU_DEP_4) | instskip(NEXT) | instid1(VALU_DEP_4)
	v_add_co_u32 v0, vcc_lo, s41, v0
	v_div_fixup_f32 v4, v7, v5, v6
	v_add_co_ci_u32_e32 v1, vcc_lo, s59, v1, vcc_lo
	global_store_b64 v[0:1], v[3:4], off offset:256
.LBB9_306:                              ;   in Loop: Header=BB9_12 Depth=1
	s_or_b32 exec_lo, exec_lo, s7
	s_mov_b32 s5, -1
	s_mov_b32 s7, exec_lo
	v_cmpx_gt_i32_e32 0x47, v2
; %bb.307:                              ;   in Loop: Header=BB9_12 Depth=1
	v_cmp_eq_u32_e32 vcc_lo, 0, v2
	s_or_not1_b32 s5, vcc_lo, exec_lo
; %bb.308:                              ;   in Loop: Header=BB9_12 Depth=1
	s_or_b32 exec_lo, exec_lo, s7
	s_delay_alu instid0(SALU_CYCLE_1)
	s_and_b32 exec_lo, exec_lo, s5
	s_cbranch_execz .LBB9_10
; %bb.309:                              ;   in Loop: Header=BB9_12 Depth=1
	s_clause 0x1
	scratch_load_b32 v0, off, off offset:36
	scratch_load_b64 v[2:3], off, off offset:8
	s_waitcnt vmcnt(1)
	v_add_nc_u32_e32 v1, s66, v0
	s_waitcnt vmcnt(0)
	v_or_b32_e32 v0, s86, v2
	v_mov_b32_e32 v2, 0x47
	s_delay_alu instid0(VALU_DEP_3) | instskip(NEXT) | instid1(VALU_DEP_3)
	v_cmp_gt_i32_e32 vcc_lo, s8, v1
	v_cmp_gt_i32_e64 s5, s33, v0
	s_delay_alu instid0(VALU_DEP_1) | instskip(NEXT) | instid1(SALU_CYCLE_1)
	s_and_b32 s5, vcc_lo, s5
	s_and_saveexec_b32 s7, s5
	s_cbranch_execz .LBB9_311
; %bb.310:                              ;   in Loop: Header=BB9_12 Depth=1
	s_clause 0x1
	scratch_load_b32 v0, off, off offset:124
	scratch_load_b32 v2, off, off offset:120
	s_waitcnt vmcnt(1)
	v_add_nc_u32_e32 v0, 0x80, v0
	s_waitcnt vmcnt(0)
	v_add_nc_u32_e32 v6, 0, v2
	ds_load_2addr_stride64_b32 v[2:3], v0 offset1:11
	ds_load_2addr_b32 v[4:5], v6 offset0:40 offset1:41
	ds_load_b32 v0, v6 offset:2976
	scratch_load_b64 v[11:12], off, off offset:8 ; 8-byte Folded Reload
	s_waitcnt lgkmcnt(1)
	v_fma_mix_f32 v6, v4, v2, 0 op_sel_hi:[0,1,0]
	v_fma_mix_f32 v2, v4, v2, 0 op_sel:[0,1,0] op_sel_hi:[0,1,0]
	s_waitcnt lgkmcnt(0)
	s_delay_alu instid0(VALU_DEP_2) | instskip(NEXT) | instid1(VALU_DEP_2)
	v_fma_mix_f32 v4, v0, v3, v6 op_sel_hi:[0,1,0]
	v_fma_mix_f32 v6, v0, v3, v2 op_sel:[0,1,0] op_sel_hi:[0,1,0]
	s_delay_alu instid0(VALU_DEP_2) | instskip(NEXT) | instid1(VALU_DEP_2)
	v_div_scale_f32 v7, null, v5, v5, v4
	v_div_scale_f32 v8, null, v5, v5, v6
	s_delay_alu instid0(VALU_DEP_2) | instskip(NEXT) | instid1(VALU_DEP_1)
	v_rcp_f32_e32 v9, v7
	v_rcp_f32_e32 v10, v8
	s_waitcnt_depctr 0xfff
	v_fma_f32 v0, -v7, v9, 1.0
	s_delay_alu instid0(VALU_DEP_1)
	v_fmac_f32_e32 v9, v0, v9
	s_waitcnt vmcnt(0)
	v_mad_u64_u32 v[2:3], null, v1, s9, v[11:12]
	v_fma_f32 v1, -v8, v10, 1.0
	v_div_scale_f32 v11, s5, v6, v5, v6
	v_div_scale_f32 v3, vcc_lo, v4, v5, v4
	s_delay_alu instid0(VALU_DEP_3) | instskip(SKIP_1) | instid1(VALU_DEP_2)
	v_fmac_f32_e32 v10, v1, v10
	v_mul_lo_u32 v0, v2, 40
	v_mul_f32_e32 v13, v11, v10
	s_delay_alu instid0(VALU_DEP_1) | instskip(NEXT) | instid1(VALU_DEP_1)
	v_fma_f32 v2, -v8, v13, v11
	v_dual_mul_f32 v12, v3, v9 :: v_dual_fmac_f32 v13, v2, v10
	s_delay_alu instid0(VALU_DEP_1) | instskip(NEXT) | instid1(VALU_DEP_1)
	v_fma_f32 v1, -v7, v12, v3
	v_fmac_f32_e32 v12, v1, v9
	v_ashrrev_i32_e32 v1, 31, v0
	v_or_b32_e32 v0, v0, v179
	s_delay_alu instid0(VALU_DEP_3) | instskip(NEXT) | instid1(VALU_DEP_3)
	v_fma_f32 v2, -v7, v12, v3
	v_or_b32_e32 v1, 0, v1
	v_fma_f32 v3, -v8, v13, v11
	s_delay_alu instid0(VALU_DEP_3) | instskip(NEXT) | instid1(VALU_DEP_3)
	v_div_fmas_f32 v2, v2, v9, v12
	v_lshlrev_b64 v[0:1], 3, v[0:1]
	s_mov_b32 vcc_lo, s5
	s_delay_alu instid0(VALU_DEP_3) | instskip(NEXT) | instid1(VALU_DEP_3)
	v_div_fmas_f32 v7, v3, v10, v13
	v_div_fixup_f32 v3, v2, v5, v4
	v_mov_b32_e32 v2, 0
	s_delay_alu instid0(VALU_DEP_4) | instskip(NEXT) | instid1(VALU_DEP_4)
	v_add_co_u32 v0, vcc_lo, s41, v0
	v_div_fixup_f32 v4, v7, v5, v6
	v_add_co_ci_u32_e32 v1, vcc_lo, s59, v1, vcc_lo
	global_store_b64 v[0:1], v[3:4], off offset:256
.LBB9_311:                              ;   in Loop: Header=BB9_12 Depth=1
	s_or_b32 exec_lo, exec_lo, s7
	s_mov_b32 s5, -1
	s_mov_b32 s7, exec_lo
	v_cmpx_gt_i32_e32 0x47, v2
; %bb.312:                              ;   in Loop: Header=BB9_12 Depth=1
	v_cmp_eq_u32_e32 vcc_lo, 0, v2
	s_or_not1_b32 s5, vcc_lo, exec_lo
; %bb.313:                              ;   in Loop: Header=BB9_12 Depth=1
	s_or_b32 exec_lo, exec_lo, s7
	s_delay_alu instid0(SALU_CYCLE_1)
	s_and_b32 exec_lo, exec_lo, s5
	s_cbranch_execz .LBB9_10
; %bb.314:                              ;   in Loop: Header=BB9_12 Depth=1
	scratch_load_b32 v0, off, off offset:128 ; 4-byte Folded Reload
	s_waitcnt vmcnt(0)
	v_dual_mov_b32 v2, 0x47 :: v_dual_add_nc_u32 v1, s66, v0
	s_delay_alu instid0(VALU_DEP_1) | instskip(SKIP_1) | instid1(SALU_CYCLE_1)
	v_cmp_gt_i32_e32 vcc_lo, s8, v1
	s_and_b32 s4, vcc_lo, s4
	s_and_saveexec_b32 s5, s4
	s_cbranch_execz .LBB9_316
; %bb.315:                              ;   in Loop: Header=BB9_12 Depth=1
	s_clause 0x1
	scratch_load_b32 v0, off, off offset:164
	scratch_load_b32 v2, off, off offset:160
	s_waitcnt vmcnt(1)
	v_add_nc_u32_e32 v0, 0x80, v0
	s_waitcnt vmcnt(0)
	v_add_nc_u32_e32 v6, 0, v2
	ds_load_2addr_stride64_b32 v[2:3], v0 offset1:11
	ds_load_2addr_b32 v[4:5], v6 offset0:40 offset1:41
	ds_load_b32 v0, v6 offset:2976
	s_waitcnt lgkmcnt(1)
	v_fma_mix_f32 v6, v4, v2, 0 op_sel_hi:[0,1,0]
	v_fma_mix_f32 v2, v4, v2, 0 op_sel:[0,1,0] op_sel_hi:[0,1,0]
	s_waitcnt lgkmcnt(0)
	s_delay_alu instid0(VALU_DEP_2) | instskip(NEXT) | instid1(VALU_DEP_2)
	v_fma_mix_f32 v4, v0, v3, v6 op_sel_hi:[0,1,0]
	v_fma_mix_f32 v6, v0, v3, v2 op_sel:[0,1,0] op_sel_hi:[0,1,0]
	v_mad_u64_u32 v[2:3], null, v1, s9, v[149:150]
	s_delay_alu instid0(VALU_DEP_3) | instskip(NEXT) | instid1(VALU_DEP_3)
	v_div_scale_f32 v7, null, v5, v5, v4
	v_div_scale_f32 v8, null, v5, v5, v6
	v_div_scale_f32 v11, s4, v6, v5, v6
	s_delay_alu instid0(VALU_DEP_3) | instskip(NEXT) | instid1(VALU_DEP_2)
	v_rcp_f32_e32 v9, v7
	v_rcp_f32_e32 v10, v8
	v_div_scale_f32 v3, vcc_lo, v4, v5, v4
	s_waitcnt_depctr 0xfff
	v_fma_f32 v0, -v7, v9, 1.0
	v_fma_f32 v1, -v8, v10, 1.0
	s_delay_alu instid0(VALU_DEP_1) | instskip(SKIP_1) | instid1(VALU_DEP_2)
	v_dual_fmac_f32 v9, v0, v9 :: v_dual_fmac_f32 v10, v1, v10
	v_mul_lo_u32 v0, v2, 40
	v_mul_f32_e32 v13, v11, v10
	s_delay_alu instid0(VALU_DEP_1) | instskip(NEXT) | instid1(VALU_DEP_1)
	v_fma_f32 v2, -v8, v13, v11
	v_dual_mul_f32 v12, v3, v9 :: v_dual_fmac_f32 v13, v2, v10
	s_delay_alu instid0(VALU_DEP_1) | instskip(NEXT) | instid1(VALU_DEP_1)
	v_fma_f32 v1, -v7, v12, v3
	v_fmac_f32_e32 v12, v1, v9
	v_ashrrev_i32_e32 v1, 31, v0
	v_or_b32_e32 v0, v0, v179
	s_delay_alu instid0(VALU_DEP_3) | instskip(NEXT) | instid1(VALU_DEP_3)
	v_fma_f32 v2, -v7, v12, v3
	v_or_b32_e32 v1, 0, v1
	v_fma_f32 v3, -v8, v13, v11
	s_delay_alu instid0(VALU_DEP_3) | instskip(NEXT) | instid1(VALU_DEP_3)
	v_div_fmas_f32 v2, v2, v9, v12
	v_lshlrev_b64 v[0:1], 3, v[0:1]
	s_mov_b32 vcc_lo, s4
	s_delay_alu instid0(VALU_DEP_3) | instskip(NEXT) | instid1(VALU_DEP_3)
	v_div_fmas_f32 v7, v3, v10, v13
	v_div_fixup_f32 v3, v2, v5, v4
	v_mov_b32_e32 v2, 0
	s_delay_alu instid0(VALU_DEP_4) | instskip(NEXT) | instid1(VALU_DEP_4)
	v_add_co_u32 v0, vcc_lo, s41, v0
	v_div_fixup_f32 v4, v7, v5, v6
	v_add_co_ci_u32_e32 v1, vcc_lo, s59, v1, vcc_lo
	global_store_b64 v[0:1], v[3:4], off offset:256
.LBB9_316:                              ;   in Loop: Header=BB9_12 Depth=1
	s_or_b32 exec_lo, exec_lo, s5
	s_mov_b32 s4, -1
	s_mov_b32 s5, exec_lo
	v_cmpx_gt_i32_e32 0x47, v2
; %bb.317:                              ;   in Loop: Header=BB9_12 Depth=1
	v_cmp_eq_u32_e32 vcc_lo, 0, v2
	s_or_not1_b32 s4, vcc_lo, exec_lo
; %bb.318:                              ;   in Loop: Header=BB9_12 Depth=1
	s_or_b32 exec_lo, exec_lo, s5
	s_delay_alu instid0(SALU_CYCLE_1)
	s_and_b32 exec_lo, exec_lo, s4
	s_cbranch_execz .LBB9_10
; %bb.319:                              ;   in Loop: Header=BB9_12 Depth=1
	s_clause 0x1
	scratch_load_b32 v0, off, off offset:172
	scratch_load_b64 v[2:3], off, off offset:144
	s_waitcnt vmcnt(1)
	v_add_nc_u32_e32 v1, s66, v0
	s_waitcnt vmcnt(0)
	v_or_b32_e32 v0, s86, v2
	s_delay_alu instid0(VALU_DEP_2) | instskip(NEXT) | instid1(VALU_DEP_2)
	v_cmp_gt_i32_e32 vcc_lo, s8, v1
	v_cmp_gt_i32_e64 s4, s33, v0
	s_delay_alu instid0(VALU_DEP_1) | instskip(NEXT) | instid1(SALU_CYCLE_1)
	s_and_b32 s4, vcc_lo, s4
	s_and_b32 exec_lo, exec_lo, s4
	s_cbranch_execz .LBB9_10
; %bb.320:                              ;   in Loop: Header=BB9_12 Depth=1
	s_clause 0x1
	scratch_load_b32 v0, off, off offset:196
	scratch_load_b32 v2, off, off offset:192
	s_waitcnt vmcnt(1)
	v_add_nc_u32_e32 v0, 0x80, v0
	s_waitcnt vmcnt(0)
	v_add_nc_u32_e32 v6, 0, v2
	ds_load_2addr_stride64_b32 v[2:3], v0 offset1:11
	ds_load_2addr_b32 v[4:5], v6 offset0:40 offset1:41
	ds_load_b32 v0, v6 offset:2976
	scratch_load_b64 v[11:12], off, off offset:144 ; 8-byte Folded Reload
	s_waitcnt lgkmcnt(1)
	v_fma_mix_f32 v6, v4, v2, 0 op_sel_hi:[0,1,0]
	v_fma_mix_f32 v2, v4, v2, 0 op_sel:[0,1,0] op_sel_hi:[0,1,0]
	s_waitcnt lgkmcnt(0)
	s_delay_alu instid0(VALU_DEP_2) | instskip(NEXT) | instid1(VALU_DEP_2)
	v_fma_mix_f32 v4, v0, v3, v6 op_sel_hi:[0,1,0]
	v_fma_mix_f32 v6, v0, v3, v2 op_sel:[0,1,0] op_sel_hi:[0,1,0]
	s_delay_alu instid0(VALU_DEP_2) | instskip(NEXT) | instid1(VALU_DEP_2)
	v_div_scale_f32 v7, null, v5, v5, v4
	v_div_scale_f32 v8, null, v5, v5, v6
	s_delay_alu instid0(VALU_DEP_2) | instskip(NEXT) | instid1(VALU_DEP_1)
	v_rcp_f32_e32 v9, v7
	v_rcp_f32_e32 v10, v8
	s_waitcnt_depctr 0xfff
	v_fma_f32 v0, -v7, v9, 1.0
	s_delay_alu instid0(VALU_DEP_1)
	v_fmac_f32_e32 v9, v0, v9
	s_waitcnt vmcnt(0)
	v_mad_u64_u32 v[2:3], null, v1, s9, v[11:12]
	v_fma_f32 v1, -v8, v10, 1.0
	v_div_scale_f32 v11, s4, v6, v5, v6
	v_div_scale_f32 v3, vcc_lo, v4, v5, v4
	s_delay_alu instid0(VALU_DEP_3) | instskip(SKIP_1) | instid1(VALU_DEP_2)
	v_fmac_f32_e32 v10, v1, v10
	v_mul_lo_u32 v0, v2, 40
	v_mul_f32_e32 v13, v11, v10
	s_delay_alu instid0(VALU_DEP_1) | instskip(NEXT) | instid1(VALU_DEP_1)
	v_fma_f32 v2, -v8, v13, v11
	v_dual_mul_f32 v12, v3, v9 :: v_dual_fmac_f32 v13, v2, v10
	s_delay_alu instid0(VALU_DEP_1) | instskip(NEXT) | instid1(VALU_DEP_1)
	v_fma_f32 v1, -v7, v12, v3
	v_fmac_f32_e32 v12, v1, v9
	v_ashrrev_i32_e32 v1, 31, v0
	v_or_b32_e32 v0, v0, v179
	s_delay_alu instid0(VALU_DEP_3) | instskip(NEXT) | instid1(VALU_DEP_3)
	v_fma_f32 v2, -v7, v12, v3
	v_or_b32_e32 v1, 0, v1
	v_fma_f32 v3, -v8, v13, v11
	s_delay_alu instid0(VALU_DEP_3) | instskip(NEXT) | instid1(VALU_DEP_3)
	v_div_fmas_f32 v2, v2, v9, v12
	v_lshlrev_b64 v[0:1], 3, v[0:1]
	s_mov_b32 vcc_lo, s4
	s_delay_alu instid0(VALU_DEP_3) | instskip(NEXT) | instid1(VALU_DEP_3)
	v_div_fmas_f32 v3, v3, v10, v13
	v_div_fixup_f32 v2, v2, v5, v4
	s_delay_alu instid0(VALU_DEP_3) | instskip(NEXT) | instid1(VALU_DEP_3)
	v_add_co_u32 v0, vcc_lo, s41, v0
	v_div_fixup_f32 v3, v3, v5, v6
	v_add_co_ci_u32_e32 v1, vcc_lo, s59, v1, vcc_lo
	global_store_b64 v[0:1], v[2:3], off offset:256
	s_branch .LBB9_10
.LBB9_321:
	v_lshlrev_b32_e32 v215, 1, v148
	v_lshlrev_b32_e32 v216, 4, v148
	v_lshlrev_b32_e32 v217, 3, v148
	v_and_b32_e32 v218, 1, v148
	v_add_nc_u32_e32 v67, 14, v148
	v_add_nc_u32_e32 v68, 12, v148
	;; [unrolled: 1-line block ×7, first 2 shown]
	s_and_not1_b32 vcc_lo, exec_lo, s4
	s_cbranch_vccnz .LBB9_8
.LBB9_322:
	s_abs_i32 s0, s71
	s_abs_i32 s3, s50
	v_cvt_f32_u32_e32 v0, s0
	s_sub_i32 s2, 0, s0
	v_mov_b32_e32 v24, s92
	s_delay_alu instid0(VALU_DEP_2) | instskip(SKIP_2) | instid1(VALU_DEP_1)
	v_rcp_iflag_f32_e32 v0, v0
	s_waitcnt_depctr 0xfff
	v_mul_f32_e32 v0, 0x4f7ffffe, v0
	v_cvt_u32_f32_e32 v0, v0
	s_delay_alu instid0(VALU_DEP_1) | instskip(NEXT) | instid1(VALU_DEP_1)
	v_readfirstlane_b32 s1, v0
	s_mul_i32 s2, s2, s1
	s_delay_alu instid0(SALU_CYCLE_1) | instskip(NEXT) | instid1(SALU_CYCLE_1)
	s_mul_hi_u32 s2, s1, s2
	s_add_i32 s1, s1, s2
	s_xor_b32 s2, s50, s71
	s_mul_hi_u32 s1, s3, s1
	s_ashr_i32 s2, s2, 31
	s_mul_i32 s4, s1, s0
	s_delay_alu instid0(SALU_CYCLE_1)
	s_sub_i32 s3, s3, s4
	s_add_i32 s4, s1, 1
	s_sub_i32 s5, s3, s0
	s_cmp_ge_u32 s3, s0
	s_cselect_b32 s1, s4, s1
	s_cselect_b32 s3, s5, s3
	s_add_i32 s4, s1, 1
	s_cmp_ge_u32 s3, s0
	s_cselect_b32 s0, s4, s1
	s_abs_i32 s3, s70
	s_xor_b32 s0, s0, s2
	v_cvt_f32_u32_e32 v0, s3
	s_sub_i32 s1, s0, s2
	s_sub_i32 s0, 0, s3
	s_mul_i32 s2, s1, s71
	s_delay_alu instid0(VALU_DEP_1) | instskip(SKIP_1) | instid1(SALU_CYCLE_1)
	v_rcp_iflag_f32_e32 v0, v0
	s_sub_i32 s5, s50, s2
	s_abs_i32 s2, s5
	s_waitcnt_depctr 0xfff
	v_mul_f32_e32 v0, 0x4f7ffffe, v0
	s_delay_alu instid0(VALU_DEP_1) | instskip(NEXT) | instid1(VALU_DEP_1)
	v_cvt_u32_f32_e32 v0, v0
	v_readfirstlane_b32 s4, v0
	s_delay_alu instid0(VALU_DEP_1) | instskip(NEXT) | instid1(SALU_CYCLE_1)
	s_mul_i32 s0, s0, s4
	s_mul_hi_u32 s0, s4, s0
	s_delay_alu instid0(SALU_CYCLE_1) | instskip(NEXT) | instid1(SALU_CYCLE_1)
	s_add_i32 s4, s4, s0
	s_mul_hi_u32 s0, s2, s4
	s_xor_b32 s4, s5, s70
	s_mul_i32 s6, s0, s3
	s_ashr_i32 s4, s4, 31
	s_sub_i32 s2, s2, s6
	s_add_i32 s6, s0, 1
	s_sub_i32 s7, s2, s3
	s_cmp_ge_u32 s2, s3
	s_cselect_b32 s0, s6, s0
	s_cselect_b32 s2, s7, s2
	s_add_i32 s6, s0, 1
	s_cmp_ge_u32 s2, s3
	s_cselect_b32 s0, s6, s0
	s_abs_i32 s3, s69
	s_xor_b32 s0, s0, s4
	v_cvt_f32_u32_e32 v0, s3
	s_sub_i32 s2, s0, s4
	s_sub_i32 s0, 0, s3
	s_mul_i32 s4, s2, s70
	s_delay_alu instid0(VALU_DEP_1) | instskip(SKIP_1) | instid1(SALU_CYCLE_1)
	v_rcp_iflag_f32_e32 v0, v0
	s_sub_i32 s4, s5, s4
	s_abs_i32 s5, s4
	s_waitcnt_depctr 0xfff
	v_mul_f32_e32 v0, 0x4f7ffffe, v0
	s_delay_alu instid0(VALU_DEP_1) | instskip(NEXT) | instid1(VALU_DEP_1)
	v_cvt_u32_f32_e32 v0, v0
	v_readfirstlane_b32 s6, v0
	s_delay_alu instid0(VALU_DEP_1) | instskip(NEXT) | instid1(SALU_CYCLE_1)
	s_mul_i32 s0, s0, s6
	s_mul_hi_u32 s0, s6, s0
	s_delay_alu instid0(SALU_CYCLE_1) | instskip(NEXT) | instid1(SALU_CYCLE_1)
	s_add_i32 s6, s6, s0
	s_mul_hi_u32 s0, s5, s6
	s_xor_b32 s6, s4, s69
	s_mul_i32 s7, s0, s3
	s_ashr_i32 s6, s6, 31
	s_sub_i32 s5, s5, s7
	s_add_i32 s7, s0, 1
	s_sub_i32 s9, s5, s3
	s_cmp_ge_u32 s5, s3
	s_cselect_b32 s0, s7, s0
	s_cselect_b32 s5, s9, s5
	s_add_i32 s7, s0, 1
	s_cmp_ge_u32 s5, s3
	s_cselect_b32 s0, s7, s0
	s_delay_alu instid0(SALU_CYCLE_1) | instskip(NEXT) | instid1(SALU_CYCLE_1)
	s_xor_b32 s0, s0, s6
	s_sub_i32 s0, s0, s6
	s_delay_alu instid0(SALU_CYCLE_1) | instskip(NEXT) | instid1(SALU_CYCLE_1)
	s_mul_i32 s3, s0, s69
	s_sub_i32 s3, s4, s3
	s_delay_alu instid0(SALU_CYCLE_1) | instskip(SKIP_4) | instid1(SALU_CYCLE_1)
	s_abs_i32 s4, s3
	s_ashr_i32 s3, s3, 31
	s_mul_hi_u32 s5, s4, s75
	s_xor_b32 s9, s3, s74
	s_mul_i32 s6, s5, s73
	s_sub_i32 s3, s4, s6
	s_add_i32 s4, s5, 1
	s_sub_i32 s6, s3, s73
	s_cmp_ge_u32 s3, s73
	s_cselect_b32 s4, s4, s5
	s_cselect_b32 s3, s6, s3
	s_add_i32 s5, s4, 1
	s_cmp_ge_u32 s3, s73
	s_cselect_b32 s4, s5, s4
	s_abs_i32 s3, s52
	s_xor_b32 s4, s4, s9
	v_cvt_f32_u32_e32 v0, s3
	s_sub_i32 s5, s4, s9
	s_cmp_eq_u64 s[26:27], 0
	s_delay_alu instid0(VALU_DEP_1) | instskip(SKIP_2) | instid1(VALU_DEP_1)
	v_rcp_iflag_f32_e32 v0, v0
	s_waitcnt_depctr 0xfff
	v_mul_f32_e32 v0, 0x4f7ffffe, v0
	v_cvt_u32_f32_e32 v0, v0
	s_delay_alu instid0(VALU_DEP_1)
	v_readfirstlane_b32 s7, v0
	s_cbranch_scc1 .LBB9_324
; %bb.323:
	s_mul_i32 s4, s1, s68
	v_mov_b32_e32 v0, 0
	s_add_i32 s24, s5, s4
	s_delay_alu instid0(SALU_CYCLE_1) | instskip(NEXT) | instid1(SALU_CYCLE_1)
	s_ashr_i32 s25, s24, 31
	s_lshl_b64 s[24:25], s[24:25], 2
	s_delay_alu instid0(SALU_CYCLE_1) | instskip(SKIP_4) | instid1(VALU_DEP_1)
	s_add_u32 s24, s26, s24
	s_addc_u32 s25, s27, s25
	global_load_b32 v0, v0, s[24:25]
	s_waitcnt vmcnt(0)
	v_ashrrev_i32_e32 v1, 31, v0
	v_lshrrev_b32_e32 v1, 27, v1
	s_delay_alu instid0(VALU_DEP_1) | instskip(NEXT) | instid1(VALU_DEP_1)
	v_add_nc_u32_e32 v0, v0, v1
	v_ashrrev_i32_e32 v0, 5, v0
	s_delay_alu instid0(VALU_DEP_1)
	v_min_i32_e32 v24, s92, v0
.LBB9_324:
	s_mul_i32 s4, s2, s33
	s_lshl_b32 s11, s0, 3
	s_mul_i32 s0, s1, s49
	s_add_i32 s4, s11, s4
	s_ashr_i32 s6, s0, 31
	s_mul_i32 s4, s4, s48
	s_add_u32 s0, s16, s0
	s_addc_u32 s6, s17, s6
	s_ashr_i32 s9, s4, 31
	s_add_u32 s4, s0, s4
	s_addc_u32 s6, s6, s9
	s_lshl_b32 s9, s5, 1
	v_or_b32_e32 v1, s11, v157
	v_add_nc_u32_e32 v0, s9, v161
	s_delay_alu instid0(VALU_DEP_2) | instskip(NEXT) | instid1(VALU_DEP_2)
	v_cmp_gt_i32_e32 vcc_lo, s33, v1
	v_cmp_le_i32_e64 s0, s8, v0
	s_xor_b32 s16, vcc_lo, -1
	s_delay_alu instid0(VALU_DEP_1) | instid1(SALU_CYCLE_1)
	s_or_b32 s0, s0, s16
	s_delay_alu instid0(SALU_CYCLE_1) | instskip(NEXT) | instid1(SALU_CYCLE_1)
	s_and_saveexec_b32 s17, s0
	s_xor_b32 s0, exec_lo, s17
	s_cbranch_execz .LBB9_326
; %bb.325:
	v_mad_u32_u24 v0, v148, 44, v108
	v_mov_b32_e32 v1, 0
	s_delay_alu instid0(VALU_DEP_2)
	v_lshl_add_u32 v0, v0, 2, 0
	ds_store_b32 v0, v1
                                        ; implicit-def: $vgpr0
.LBB9_326:
	s_and_not1_saveexec_b32 s0, s0
	s_cbranch_execz .LBB9_328
; %bb.327:
	v_mul_lo_u32 v0, v0, s51
	v_mul_lo_u32 v1, v157, s55
	s_delay_alu instid0(VALU_DEP_1) | instskip(NEXT) | instid1(VALU_DEP_1)
	v_add3_u32 v0, v1, v108, v0
	v_ashrrev_i32_e32 v1, 31, v0
	s_delay_alu instid0(VALU_DEP_1) | instskip(NEXT) | instid1(VALU_DEP_1)
	v_lshlrev_b64 v[0:1], 3, v[0:1]
	v_add_co_u32 v0, vcc_lo, s4, v0
	s_delay_alu instid0(VALU_DEP_2) | instskip(SKIP_4) | instid1(VALU_DEP_1)
	v_add_co_ci_u32_e32 v1, vcc_lo, s6, v1, vcc_lo
	global_load_b64 v[0:1], v[0:1], off
	s_waitcnt vmcnt(0)
	v_cvt_f16_f32_e32 v0, v0
	v_cvt_f16_f32_e32 v1, v1
	v_pack_b32_f16 v0, v0, v1
	v_mad_u32_u24 v1, v148, 44, v108
	s_delay_alu instid0(VALU_DEP_2) | instskip(NEXT) | instid1(VALU_DEP_2)
	v_pk_mul_f16 v0, v152, v0
	v_lshl_add_u32 v1, v1, 2, 0
	ds_store_b32 v1, v0
.LBB9_328:
	s_or_b32 exec_lo, exec_lo, s0
	v_lshrrev_b32_e32 v1, 3, v73
	v_and_b32_e32 v0, 7, v73
	s_delay_alu instid0(VALU_DEP_2) | instskip(NEXT) | instid1(VALU_DEP_2)
	v_add_nc_u32_e32 v1, s9, v1
	v_or_b32_e32 v2, s11, v0
	s_delay_alu instid0(VALU_DEP_2) | instskip(NEXT) | instid1(VALU_DEP_2)
	v_cmp_le_i32_e32 vcc_lo, s8, v1
	v_cmp_le_i32_e64 s0, s33, v2
	s_delay_alu instid0(VALU_DEP_1) | instskip(NEXT) | instid1(SALU_CYCLE_1)
	s_or_b32 s0, vcc_lo, s0
	s_and_saveexec_b32 s17, s0
	s_delay_alu instid0(SALU_CYCLE_1)
	s_xor_b32 s0, exec_lo, s17
	s_cbranch_execz .LBB9_330
; %bb.329:
	v_mad_u32_u24 v0, v73, 44, v108
	v_mov_b32_e32 v1, 0
                                        ; implicit-def: $vgpr73
	s_delay_alu instid0(VALU_DEP_2)
	v_lshl_add_u32 v0, v0, 2, 0
	ds_store_b32 v0, v1
                                        ; implicit-def: $vgpr1
                                        ; implicit-def: $vgpr0
.LBB9_330:
	s_and_not1_saveexec_b32 s0, s0
	s_cbranch_execz .LBB9_332
; %bb.331:
	v_mul_lo_u32 v1, v1, s51
	v_mul_lo_u32 v0, v0, s55
	s_delay_alu instid0(VALU_DEP_1) | instskip(NEXT) | instid1(VALU_DEP_1)
	v_add3_u32 v0, v0, v108, v1
	v_ashrrev_i32_e32 v1, 31, v0
	s_delay_alu instid0(VALU_DEP_1) | instskip(NEXT) | instid1(VALU_DEP_1)
	v_lshlrev_b64 v[0:1], 3, v[0:1]
	v_add_co_u32 v0, vcc_lo, s4, v0
	s_delay_alu instid0(VALU_DEP_2) | instskip(SKIP_4) | instid1(VALU_DEP_1)
	v_add_co_ci_u32_e32 v1, vcc_lo, s6, v1, vcc_lo
	global_load_b64 v[0:1], v[0:1], off
	s_waitcnt vmcnt(0)
	v_cvt_f16_f32_e32 v0, v0
	v_cvt_f16_f32_e32 v1, v1
	v_pack_b32_f16 v0, v0, v1
	v_mad_u32_u24 v1, v73, 44, v108
	s_delay_alu instid0(VALU_DEP_2) | instskip(NEXT) | instid1(VALU_DEP_2)
	v_pk_mul_f16 v0, v152, v0
	v_lshl_add_u32 v1, v1, 2, 0
	ds_store_b32 v1, v0
.LBB9_332:
	s_or_b32 exec_lo, exec_lo, s0
	v_lshrrev_b32_e32 v1, 3, v72
	v_and_b32_e32 v0, 7, v72
	s_delay_alu instid0(VALU_DEP_2) | instskip(NEXT) | instid1(VALU_DEP_2)
	v_add_nc_u32_e32 v1, s9, v1
	v_or_b32_e32 v2, s11, v0
	s_delay_alu instid0(VALU_DEP_2) | instskip(NEXT) | instid1(VALU_DEP_2)
	v_cmp_le_i32_e32 vcc_lo, s8, v1
	v_cmp_le_i32_e64 s0, s33, v2
	s_delay_alu instid0(VALU_DEP_1) | instskip(NEXT) | instid1(SALU_CYCLE_1)
	s_or_b32 s0, vcc_lo, s0
	s_and_saveexec_b32 s17, s0
	s_delay_alu instid0(SALU_CYCLE_1)
	s_xor_b32 s0, exec_lo, s17
	s_cbranch_execz .LBB9_334
; %bb.333:
	v_mad_u32_u24 v0, v72, 44, v108
	v_mov_b32_e32 v1, 0
                                        ; implicit-def: $vgpr72
	s_delay_alu instid0(VALU_DEP_2)
	v_lshl_add_u32 v0, v0, 2, 0
	ds_store_b32 v0, v1
                                        ; implicit-def: $vgpr1
                                        ; implicit-def: $vgpr0
.LBB9_334:
	s_and_not1_saveexec_b32 s0, s0
	s_cbranch_execz .LBB9_336
; %bb.335:
	v_mul_lo_u32 v1, v1, s51
	v_mul_lo_u32 v0, v0, s55
	s_delay_alu instid0(VALU_DEP_1) | instskip(NEXT) | instid1(VALU_DEP_1)
	v_add3_u32 v0, v0, v108, v1
	v_ashrrev_i32_e32 v1, 31, v0
	s_delay_alu instid0(VALU_DEP_1) | instskip(NEXT) | instid1(VALU_DEP_1)
	v_lshlrev_b64 v[0:1], 3, v[0:1]
	v_add_co_u32 v0, vcc_lo, s4, v0
	s_delay_alu instid0(VALU_DEP_2) | instskip(SKIP_4) | instid1(VALU_DEP_1)
	v_add_co_ci_u32_e32 v1, vcc_lo, s6, v1, vcc_lo
	global_load_b64 v[0:1], v[0:1], off
	s_waitcnt vmcnt(0)
	v_cvt_f16_f32_e32 v0, v0
	v_cvt_f16_f32_e32 v1, v1
	v_pack_b32_f16 v0, v0, v1
	v_mad_u32_u24 v1, v72, 44, v108
	s_delay_alu instid0(VALU_DEP_2) | instskip(NEXT) | instid1(VALU_DEP_2)
	v_pk_mul_f16 v0, v152, v0
	v_lshl_add_u32 v1, v1, 2, 0
	ds_store_b32 v1, v0
.LBB9_336:
	s_or_b32 exec_lo, exec_lo, s0
	v_lshrrev_b32_e32 v1, 3, v71
	v_and_b32_e32 v0, 7, v71
	s_delay_alu instid0(VALU_DEP_2) | instskip(NEXT) | instid1(VALU_DEP_2)
	v_add_nc_u32_e32 v1, s9, v1
	v_or_b32_e32 v2, s11, v0
	s_delay_alu instid0(VALU_DEP_2) | instskip(NEXT) | instid1(VALU_DEP_2)
	v_cmp_le_i32_e32 vcc_lo, s8, v1
	v_cmp_le_i32_e64 s0, s33, v2
	s_delay_alu instid0(VALU_DEP_1) | instskip(NEXT) | instid1(SALU_CYCLE_1)
	s_or_b32 s0, vcc_lo, s0
	s_and_saveexec_b32 s17, s0
	s_delay_alu instid0(SALU_CYCLE_1)
	s_xor_b32 s0, exec_lo, s17
	s_cbranch_execz .LBB9_338
; %bb.337:
	v_mad_u32_u24 v0, v71, 44, v108
	v_mov_b32_e32 v1, 0
                                        ; implicit-def: $vgpr71
	s_delay_alu instid0(VALU_DEP_2)
	v_lshl_add_u32 v0, v0, 2, 0
	ds_store_b32 v0, v1
                                        ; implicit-def: $vgpr1
                                        ; implicit-def: $vgpr0
.LBB9_338:
	s_and_not1_saveexec_b32 s0, s0
	s_cbranch_execz .LBB9_340
; %bb.339:
	v_mul_lo_u32 v1, v1, s51
	v_mul_lo_u32 v0, v0, s55
	s_delay_alu instid0(VALU_DEP_1) | instskip(NEXT) | instid1(VALU_DEP_1)
	v_add3_u32 v0, v0, v108, v1
	v_ashrrev_i32_e32 v1, 31, v0
	s_delay_alu instid0(VALU_DEP_1) | instskip(NEXT) | instid1(VALU_DEP_1)
	v_lshlrev_b64 v[0:1], 3, v[0:1]
	v_add_co_u32 v0, vcc_lo, s4, v0
	s_delay_alu instid0(VALU_DEP_2) | instskip(SKIP_4) | instid1(VALU_DEP_1)
	v_add_co_ci_u32_e32 v1, vcc_lo, s6, v1, vcc_lo
	global_load_b64 v[0:1], v[0:1], off
	s_waitcnt vmcnt(0)
	v_cvt_f16_f32_e32 v0, v0
	v_cvt_f16_f32_e32 v1, v1
	v_pack_b32_f16 v0, v0, v1
	v_mad_u32_u24 v1, v71, 44, v108
	s_delay_alu instid0(VALU_DEP_2) | instskip(NEXT) | instid1(VALU_DEP_2)
	v_pk_mul_f16 v0, v152, v0
	v_lshl_add_u32 v1, v1, 2, 0
	ds_store_b32 v1, v0
.LBB9_340:
	s_or_b32 exec_lo, exec_lo, s0
	v_lshrrev_b32_e32 v0, 3, v70
	s_delay_alu instid0(VALU_DEP_1) | instskip(NEXT) | instid1(VALU_DEP_1)
	v_add_nc_u32_e32 v0, s9, v0
	v_cmp_le_i32_e32 vcc_lo, s8, v0
	s_or_b32 s0, vcc_lo, s16
	s_delay_alu instid0(SALU_CYCLE_1) | instskip(NEXT) | instid1(SALU_CYCLE_1)
	s_and_saveexec_b32 s16, s0
	s_xor_b32 s0, exec_lo, s16
	s_cbranch_execz .LBB9_342
; %bb.341:
	v_mad_u32_u24 v0, v70, 44, v108
	v_mov_b32_e32 v1, 0
                                        ; implicit-def: $vgpr157
                                        ; implicit-def: $vgpr70
	s_delay_alu instid0(VALU_DEP_2)
	v_lshl_add_u32 v0, v0, 2, 0
	ds_store_b32 v0, v1
                                        ; implicit-def: $vgpr0
.LBB9_342:
	s_and_not1_saveexec_b32 s0, s0
	s_cbranch_execz .LBB9_344
; %bb.343:
	v_mul_lo_u32 v0, v0, s51
	v_mul_lo_u32 v1, v157, s55
	s_delay_alu instid0(VALU_DEP_1) | instskip(NEXT) | instid1(VALU_DEP_1)
	v_add3_u32 v0, v1, v108, v0
	v_ashrrev_i32_e32 v1, 31, v0
	s_delay_alu instid0(VALU_DEP_1) | instskip(NEXT) | instid1(VALU_DEP_1)
	v_lshlrev_b64 v[0:1], 3, v[0:1]
	v_add_co_u32 v0, vcc_lo, s4, v0
	s_delay_alu instid0(VALU_DEP_2) | instskip(SKIP_4) | instid1(VALU_DEP_1)
	v_add_co_ci_u32_e32 v1, vcc_lo, s6, v1, vcc_lo
	global_load_b64 v[0:1], v[0:1], off
	s_waitcnt vmcnt(0)
	v_cvt_f16_f32_e32 v0, v0
	v_cvt_f16_f32_e32 v1, v1
	v_pack_b32_f16 v0, v0, v1
	v_mad_u32_u24 v1, v70, 44, v108
	s_delay_alu instid0(VALU_DEP_2) | instskip(NEXT) | instid1(VALU_DEP_2)
	v_pk_mul_f16 v0, v152, v0
	v_lshl_add_u32 v1, v1, 2, 0
	ds_store_b32 v1, v0
.LBB9_344:
	s_or_b32 exec_lo, exec_lo, s0
	v_lshrrev_b32_e32 v1, 3, v69
	v_and_b32_e32 v0, 7, v69
	s_delay_alu instid0(VALU_DEP_2) | instskip(NEXT) | instid1(VALU_DEP_2)
	v_add_nc_u32_e32 v1, s9, v1
	v_or_b32_e32 v2, s11, v0
	s_delay_alu instid0(VALU_DEP_2) | instskip(NEXT) | instid1(VALU_DEP_2)
	v_cmp_le_i32_e32 vcc_lo, s8, v1
	v_cmp_le_i32_e64 s0, s33, v2
	s_delay_alu instid0(VALU_DEP_1) | instskip(NEXT) | instid1(SALU_CYCLE_1)
	s_or_b32 s0, vcc_lo, s0
	s_and_saveexec_b32 s16, s0
	s_delay_alu instid0(SALU_CYCLE_1)
	s_xor_b32 s0, exec_lo, s16
	s_cbranch_execz .LBB9_346
; %bb.345:
	v_mad_u32_u24 v0, v69, 44, v108
	v_mov_b32_e32 v1, 0
                                        ; implicit-def: $vgpr69
	s_delay_alu instid0(VALU_DEP_2)
	v_lshl_add_u32 v0, v0, 2, 0
	ds_store_b32 v0, v1
                                        ; implicit-def: $vgpr1
                                        ; implicit-def: $vgpr0
.LBB9_346:
	s_and_not1_saveexec_b32 s0, s0
	s_cbranch_execz .LBB9_348
; %bb.347:
	v_mul_lo_u32 v1, v1, s51
	v_mul_lo_u32 v0, v0, s55
	s_delay_alu instid0(VALU_DEP_1) | instskip(NEXT) | instid1(VALU_DEP_1)
	v_add3_u32 v0, v0, v108, v1
	v_ashrrev_i32_e32 v1, 31, v0
	s_delay_alu instid0(VALU_DEP_1) | instskip(NEXT) | instid1(VALU_DEP_1)
	v_lshlrev_b64 v[0:1], 3, v[0:1]
	v_add_co_u32 v0, vcc_lo, s4, v0
	s_delay_alu instid0(VALU_DEP_2) | instskip(SKIP_4) | instid1(VALU_DEP_1)
	v_add_co_ci_u32_e32 v1, vcc_lo, s6, v1, vcc_lo
	global_load_b64 v[0:1], v[0:1], off
	s_waitcnt vmcnt(0)
	v_cvt_f16_f32_e32 v0, v0
	v_cvt_f16_f32_e32 v1, v1
	v_pack_b32_f16 v0, v0, v1
	v_mad_u32_u24 v1, v69, 44, v108
	s_delay_alu instid0(VALU_DEP_2) | instskip(NEXT) | instid1(VALU_DEP_2)
	v_pk_mul_f16 v0, v152, v0
	v_lshl_add_u32 v1, v1, 2, 0
	ds_store_b32 v1, v0
.LBB9_348:
	s_or_b32 exec_lo, exec_lo, s0
	v_lshrrev_b32_e32 v1, 3, v68
	v_and_b32_e32 v0, 7, v68
	s_delay_alu instid0(VALU_DEP_2) | instskip(NEXT) | instid1(VALU_DEP_2)
	v_add_nc_u32_e32 v1, s9, v1
	v_or_b32_e32 v2, s11, v0
	s_delay_alu instid0(VALU_DEP_2) | instskip(NEXT) | instid1(VALU_DEP_2)
	v_cmp_le_i32_e32 vcc_lo, s8, v1
	v_cmp_le_i32_e64 s0, s33, v2
	s_delay_alu instid0(VALU_DEP_1) | instskip(NEXT) | instid1(SALU_CYCLE_1)
	s_or_b32 s0, vcc_lo, s0
	s_and_saveexec_b32 s16, s0
	s_delay_alu instid0(SALU_CYCLE_1)
	s_xor_b32 s0, exec_lo, s16
	s_cbranch_execz .LBB9_350
; %bb.349:
	v_mad_u32_u24 v0, v68, 44, v108
	v_mov_b32_e32 v1, 0
                                        ; implicit-def: $vgpr68
	s_delay_alu instid0(VALU_DEP_2)
	v_lshl_add_u32 v0, v0, 2, 0
	ds_store_b32 v0, v1
                                        ; implicit-def: $vgpr1
                                        ; implicit-def: $vgpr0
.LBB9_350:
	s_and_not1_saveexec_b32 s0, s0
	s_cbranch_execz .LBB9_352
; %bb.351:
	v_mul_lo_u32 v1, v1, s51
	v_mul_lo_u32 v0, v0, s55
	s_delay_alu instid0(VALU_DEP_1) | instskip(NEXT) | instid1(VALU_DEP_1)
	v_add3_u32 v0, v0, v108, v1
	v_ashrrev_i32_e32 v1, 31, v0
	s_delay_alu instid0(VALU_DEP_1) | instskip(NEXT) | instid1(VALU_DEP_1)
	v_lshlrev_b64 v[0:1], 3, v[0:1]
	v_add_co_u32 v0, vcc_lo, s4, v0
	s_delay_alu instid0(VALU_DEP_2) | instskip(SKIP_4) | instid1(VALU_DEP_1)
	v_add_co_ci_u32_e32 v1, vcc_lo, s6, v1, vcc_lo
	global_load_b64 v[0:1], v[0:1], off
	s_waitcnt vmcnt(0)
	v_cvt_f16_f32_e32 v0, v0
	v_cvt_f16_f32_e32 v1, v1
	v_pack_b32_f16 v0, v0, v1
	v_mad_u32_u24 v1, v68, 44, v108
	s_delay_alu instid0(VALU_DEP_2) | instskip(NEXT) | instid1(VALU_DEP_2)
	v_pk_mul_f16 v0, v152, v0
	v_lshl_add_u32 v1, v1, 2, 0
	ds_store_b32 v1, v0
.LBB9_352:
	s_or_b32 exec_lo, exec_lo, s0
	v_lshrrev_b32_e32 v1, 3, v67
	v_and_b32_e32 v0, 7, v67
	s_sub_i32 s16, 0, s3
	s_delay_alu instid0(VALU_DEP_2) | instskip(NEXT) | instid1(VALU_DEP_2)
	v_add_nc_u32_e32 v1, s9, v1
	v_or_b32_e32 v2, s11, v0
	s_delay_alu instid0(VALU_DEP_2) | instskip(NEXT) | instid1(VALU_DEP_2)
	v_cmp_le_i32_e32 vcc_lo, s8, v1
	v_cmp_le_i32_e64 s0, s33, v2
	s_delay_alu instid0(VALU_DEP_1) | instskip(NEXT) | instid1(SALU_CYCLE_1)
	s_or_b32 s0, vcc_lo, s0
	s_and_saveexec_b32 s17, s0
	s_delay_alu instid0(SALU_CYCLE_1)
	s_xor_b32 s0, exec_lo, s17
	s_cbranch_execz .LBB9_354
; %bb.353:
	v_mad_u32_u24 v0, v67, 44, v108
	v_mov_b32_e32 v1, 0
                                        ; implicit-def: $vgpr67
	s_delay_alu instid0(VALU_DEP_2)
	v_lshl_add_u32 v0, v0, 2, 0
	ds_store_b32 v0, v1
                                        ; implicit-def: $vgpr1
                                        ; implicit-def: $vgpr0
.LBB9_354:
	s_or_saveexec_b32 s0, s0
	s_mul_i32 s16, s16, s7
	s_xor_b32 exec_lo, exec_lo, s0
	s_cbranch_execz .LBB9_356
; %bb.355:
	v_mul_lo_u32 v1, v1, s51
	v_mul_lo_u32 v0, v0, s55
	s_delay_alu instid0(VALU_DEP_1) | instskip(NEXT) | instid1(VALU_DEP_1)
	v_add3_u32 v0, v0, v108, v1
	v_ashrrev_i32_e32 v1, 31, v0
	s_delay_alu instid0(VALU_DEP_1) | instskip(NEXT) | instid1(VALU_DEP_1)
	v_lshlrev_b64 v[0:1], 3, v[0:1]
	v_add_co_u32 v0, vcc_lo, s4, v0
	s_delay_alu instid0(VALU_DEP_2) | instskip(SKIP_4) | instid1(VALU_DEP_1)
	v_add_co_ci_u32_e32 v1, vcc_lo, s6, v1, vcc_lo
	global_load_b64 v[0:1], v[0:1], off
	s_waitcnt vmcnt(0)
	v_cvt_f16_f32_e32 v0, v0
	v_cvt_f16_f32_e32 v1, v1
	v_pack_b32_f16 v0, v0, v1
	v_mad_u32_u24 v1, v67, 44, v108
	s_delay_alu instid0(VALU_DEP_2) | instskip(NEXT) | instid1(VALU_DEP_2)
	v_pk_mul_f16 v0, v152, v0
	v_lshl_add_u32 v1, v1, 2, 0
	ds_store_b32 v1, v0
.LBB9_356:
	s_or_b32 exec_lo, exec_lo, s0
	v_lshrrev_b32_e32 v134, 3, v108
	v_and_b32_e32 v133, 7, v108
	s_mul_hi_u32 s17, s7, s16
	s_delay_alu instid0(VALU_DEP_2) | instskip(NEXT) | instid1(VALU_DEP_1)
	v_lshl_add_u32 v25, v148, 2, v134
	v_and_b32_e32 v0, 7, v25
	v_lshrrev_b32_e32 v1, 3, v25
	s_delay_alu instid0(VALU_DEP_2) | instskip(NEXT) | instid1(VALU_DEP_2)
	v_or_b32_e32 v3, s11, v0
	v_add_nc_u32_e32 v2, s9, v1
	s_delay_alu instid0(VALU_DEP_2) | instskip(NEXT) | instid1(VALU_DEP_2)
	v_cmp_gt_i32_e32 vcc_lo, s33, v3
	v_cmp_le_i32_e64 s0, s8, v2
	s_xor_b32 s11, vcc_lo, -1
	s_delay_alu instid0(VALU_DEP_1) | instid1(SALU_CYCLE_1)
	s_or_b32 s0, s0, s11
	s_delay_alu instid0(SALU_CYCLE_1) | instskip(NEXT) | instid1(SALU_CYCLE_1)
	s_and_saveexec_b32 s16, s0
	s_xor_b32 s0, exec_lo, s16
	s_cbranch_execz .LBB9_358
; %bb.357:
	v_mad_u32_u24 v1, v25, 44, v133
	v_mov_b32_e32 v2, 0
	s_delay_alu instid0(VALU_DEP_2)
	v_lshl_add_u32 v1, v1, 2, 0
	ds_store_b32 v1, v2 offset:128
                                        ; implicit-def: $vgpr2
.LBB9_358:
	s_or_saveexec_b32 s16, s0
	v_or_b32_e32 v1, 32, v133
	s_abs_i32 s0, s1
	s_add_i32 s7, s7, s17
	s_xor_b32 exec_lo, exec_lo, s16
	s_cbranch_execz .LBB9_360
; %bb.359:
	v_mul_lo_u32 v2, v2, s51
	v_mul_lo_u32 v3, v0, s55
	s_delay_alu instid0(VALU_DEP_1) | instskip(NEXT) | instid1(VALU_DEP_1)
	v_add3_u32 v2, v3, v1, v2
	v_ashrrev_i32_e32 v3, 31, v2
	s_delay_alu instid0(VALU_DEP_1) | instskip(NEXT) | instid1(VALU_DEP_1)
	v_lshlrev_b64 v[2:3], 3, v[2:3]
	v_add_co_u32 v2, vcc_lo, s4, v2
	s_delay_alu instid0(VALU_DEP_2) | instskip(SKIP_4) | instid1(VALU_DEP_1)
	v_add_co_ci_u32_e32 v3, vcc_lo, s6, v3, vcc_lo
	global_load_b64 v[2:3], v[2:3], off
	s_waitcnt vmcnt(0)
	v_cvt_f16_f32_e32 v2, v2
	v_cvt_f16_f32_e32 v3, v3
	v_pack_b32_f16 v2, v2, v3
	v_mad_u32_u24 v3, v25, 44, v133
	s_delay_alu instid0(VALU_DEP_2) | instskip(NEXT) | instid1(VALU_DEP_2)
	v_pk_mul_f16 v2, v152, v2
	v_lshl_add_u32 v3, v3, 2, 0
	ds_store_b32 v3, v2 offset:128
.LBB9_360:
	s_or_b32 exec_lo, exec_lo, s16
	v_add_nc_u32_e32 v2, 8, v25
	s_mul_hi_u32 s7, s0, s7
	s_delay_alu instid0(VALU_DEP_1) | instskip(NEXT) | instid1(VALU_DEP_1)
	v_lshrrev_b32_e32 v3, 3, v2
	v_add_nc_u32_e32 v3, s9, v3
	s_delay_alu instid0(VALU_DEP_1) | instskip(SKIP_1) | instid1(SALU_CYCLE_1)
	v_cmp_le_i32_e32 vcc_lo, s8, v3
	s_or_b32 s9, vcc_lo, s11
	s_and_saveexec_b32 s11, s9
	s_delay_alu instid0(SALU_CYCLE_1)
	s_xor_b32 s9, exec_lo, s11
	s_cbranch_execz .LBB9_362
; %bb.361:
	v_mad_u32_u24 v0, v2, 44, v133
	v_mov_b32_e32 v1, 0
                                        ; implicit-def: $vgpr3
                                        ; implicit-def: $vgpr152
                                        ; implicit-def: $vgpr2
	s_delay_alu instid0(VALU_DEP_2)
	v_lshl_add_u32 v0, v0, 2, 0
	ds_store_b32 v0, v1 offset:128
                                        ; implicit-def: $vgpr0
                                        ; implicit-def: $vgpr1
.LBB9_362:
	s_or_saveexec_b32 s11, s9
	s_ashr_i32 s9, s1, 31
	s_xor_b32 exec_lo, exec_lo, s11
	s_cbranch_execz .LBB9_364
; %bb.363:
	v_mul_lo_u32 v3, v3, s51
	v_mul_lo_u32 v0, v0, s55
	s_delay_alu instid0(VALU_DEP_1) | instskip(NEXT) | instid1(VALU_DEP_1)
	v_add3_u32 v0, v0, v1, v3
	v_ashrrev_i32_e32 v1, 31, v0
	s_delay_alu instid0(VALU_DEP_1) | instskip(NEXT) | instid1(VALU_DEP_1)
	v_lshlrev_b64 v[0:1], 3, v[0:1]
	v_add_co_u32 v0, vcc_lo, s4, v0
	s_delay_alu instid0(VALU_DEP_2) | instskip(SKIP_4) | instid1(VALU_DEP_1)
	v_add_co_ci_u32_e32 v1, vcc_lo, s6, v1, vcc_lo
	global_load_b64 v[0:1], v[0:1], off
	s_waitcnt vmcnt(0)
	v_cvt_f16_f32_e32 v0, v0
	v_cvt_f16_f32_e32 v1, v1
	v_pack_b32_f16 v0, v0, v1
	v_mad_u32_u24 v1, v2, 44, v133
	s_delay_alu instid0(VALU_DEP_2) | instskip(NEXT) | instid1(VALU_DEP_2)
	v_pk_mul_f16 v0, v152, v0
	v_lshl_add_u32 v1, v1, 2, 0
	ds_store_b32 v1, v0 offset:128
.LBB9_364:
	s_or_b32 exec_lo, exec_lo, s11
	s_mul_i32 s4, s1, s37
	s_mul_hi_u32 s6, s1, s36
	s_mul_i32 s11, s1, s36
	s_add_i32 s4, s6, s4
	s_mul_i32 s6, s9, s36
	v_dual_mov_b32 v31, 0 :: v_dual_and_b32 v26, 0x1ff0, v217
	s_add_i32 s4, s4, s6
	v_dual_mov_b32 v100, 0xfeffffff :: v_dual_and_b32 v135, 15, v108
	s_add_u32 s6, s18, s11
	s_mul_i32 s11, s2, s47
	s_addc_u32 s4, s19, s4
	s_ashr_i32 s17, s11, 31
	s_mul_i32 s7, s7, s3
	s_add_u32 s16, s6, s11
	s_addc_u32 s17, s4, s17
	s_sub_i32 s0, s0, s7
	v_mul_u32_u24_e32 v0, 0xb0, v26
	v_mul_u32_u24_e32 v140, 0xb0, v135
	s_sub_i32 s4, s0, s3
	s_cmp_ge_u32 s0, s3
	s_waitcnt lgkmcnt(0)
	s_cselect_b32 s0, s4, s0
	v_add3_u32 v27, 0, v0, v140
	s_sub_i32 s4, s0, s3
	s_cmp_ge_u32 s0, s3
	s_barrier
	s_cselect_b32 s0, s4, s0
	buffer_gl0_inv
	ds_load_b128 v[8:11], v27
	ds_load_b128 v[12:15], v27 offset:16
	ds_load_b128 v[0:3], v27 offset:32
	;; [unrolled: 1-line block ×5, first 2 shown]
	s_xor_b32 s0, s0, s9
	ds_load_b128 v[40:43], v27 offset:96
	ds_load_b128 v[44:47], v27 offset:112
	s_sub_i32 s0, s0, s9
	ds_load_b128 v[32:35], v27 offset:128
	ds_load_b128 v[36:39], v27 offset:144
	s_mul_i32 s3, s0, s45
	s_mul_hi_u32 s4, s0, s44
	s_ashr_i32 s6, s0, 31
	s_add_i32 s3, s4, s3
	s_mul_i32 s6, s6, s44
	s_mul_i32 s0, s0, s44
	v_lshrrev_b32_e32 v137, 4, v108
	s_add_i32 s3, s3, s6
	s_add_u32 s18, s22, s0
	s_mul_i32 s0, s1, s43
	s_mul_hi_u32 s4, s1, s42
	v_mul_lo_u32 v111, s34, v25
	v_mul_lo_u32 v109, s10, v25
	v_add_nc_u32_e32 v145, -1, v24
	s_addc_u32 s19, s23, s3
	s_add_i32 s0, s4, s0
	s_mul_i32 s9, s9, s42
	s_mul_i32 s1, s1, s42
	v_add_nc_u32_e32 v144, v215, v137
	s_add_i32 s0, s0, s9
	s_mul_i32 s2, s2, s39
	s_add_u32 s1, s20, s1
	s_addc_u32 s0, s21, s0
	s_ashr_i32 s3, s2, 31
	v_cmp_ge_i32_e32 vcc_lo, s102, v145
	s_add_u32 s9, s1, s2
	s_addc_u32 s11, s0, s3
	v_cmp_gt_u32_e64 s0, 2, v144
	v_lshrrev_b32_e32 v143, 1, v108
	v_mul_u32_u24_e32 v142, 0xb0, v25
	v_ashrrev_i32_e32 v112, 31, v111
	v_and_or_b32 v141, v108, 8, v26
	v_lshlrev_b32_e32 v136, 1, v137
	v_mbcnt_lo_u32_b32 v139, -1, 0
	v_xor_b32_e32 v138, 1, v137
	v_ashrrev_i32_e32 v110, 31, v109
	s_waitcnt lgkmcnt(0)
	s_barrier
	buffer_gl0_inv
	s_cbranch_vccnz .LBB9_371
; %bb.365:
	v_xor_b32_e32 v49, 16, v139
	v_dual_mov_b32 v80, 0 :: v_dual_lshlrev_b32 v25, 2, v108
	v_dual_mov_b32 v170, 0xfeffffff :: v_dual_and_b32 v31, 16, v216
	s_delay_alu instid0(VALU_DEP_3) | instskip(SKIP_1) | instid1(VALU_DEP_4)
	v_cmp_gt_i32_e32 vcc_lo, 32, v49
	v_add_nc_u32_e32 v24, s5, v148
	v_dual_mov_b32 v69, v80 :: v_dual_and_b32 v56, 60, v25
	v_dual_mov_b32 v64, 0 :: v_dual_and_b32 v57, 4, v25
	v_cndmask_b32_e32 v49, v139, v49, vcc_lo
	s_delay_alu instid0(VALU_DEP_4) | instskip(SKIP_3) | instid1(VALU_DEP_4)
	v_lshl_add_u32 v29, v24, 1, v137
	v_dual_mov_b32 v73, v80 :: v_dual_and_b32 v58, 28, v25
	v_lshrrev_b32_e32 v48, 3, v141
	v_mad_u32_u24 v53, 0xb0, v31, 0
	v_mul_hi_u32 v28, s12, v29
	v_dual_mov_b32 v66, v80 :: v_dual_lshlrev_b32 v31, 1, v31
	s_delay_alu instid0(VALU_DEP_4) | instskip(SKIP_3) | instid1(VALU_DEP_4)
	v_mad_u32_u24 v51, 0x50, v48, 0
	v_mul_u32_u24_e32 v27, 0x50, v144
	v_dual_mov_b32 v169, 0 :: v_dual_add_nc_u32 v30, v216, v143
	v_dual_mov_b32 v71, v80 :: v_dual_add_nc_u32 v50, v29, v28
	v_add3_u32 v153, v51, v31, v136
	s_lshl_b32 s1, s34, 3
	s_lshl_b32 s2, s10, 3
	v_dual_mov_b32 v65, v80 :: v_dual_add_nc_u32 v24, s1, v111
	v_lshrrev_b32_e32 v25, s13, v50
	v_dual_mov_b32 v67, v80 :: v_dual_add_nc_u32 v26, s2, v109
	v_mad_u32_u24 v54, 0xb0, v30, 0
	v_add3_u32 v146, 0, v27, v56
	s_delay_alu instid0(VALU_DEP_4)
	v_mul_lo_u32 v52, v25, s8
	v_dual_mov_b32 v68, v80 :: v_dual_lshlrev_b32 v27, 2, v57
	v_dual_mov_b32 v75, v80 :: v_dual_add_nc_u32 v48, s1, v24
	v_dual_mov_b32 v77, v80 :: v_dual_add_nc_u32 v50, s2, v26
	v_mul_lo_u32 v28, s34, v30
	v_sub_nc_u32_e32 v29, v29, v52
	v_mul_lo_u32 v30, s10, v30
	v_add3_u32 v156, v54, v27, 0x80
	v_dual_mov_b32 v79, v80 :: v_dual_add_nc_u32 v152, v53, v140
	s_delay_alu instid0(VALU_DEP_4)
	v_mad_i64_i32 v[51:52], null, v29, s40, 0
	v_lshl_add_u32 v60, v135, 1, v53
	v_dual_mov_b32 v72, 0 :: v_dual_add_nc_u32 v53, s1, v48
	v_dual_mov_b32 v74, v80 :: v_dual_add_nc_u32 v55, s2, v50
	v_dual_mov_b32 v70, v80 :: v_dual_lshlrev_b32 v59, 2, v58
	v_lshlrev_b64 v[51:52], 1, v[51:52]
	v_ashrrev_i32_e32 v25, 31, v24
	v_lshlrev_b32_e32 v154, 2, v49
	v_ashrrev_i32_e32 v49, 31, v48
	v_ashrrev_i32_e32 v29, 31, v28
	v_ashrrev_i32_e32 v31, 31, v30
	v_add_co_u32 v27, vcc_lo, s18, v51
	v_add_co_ci_u32_e32 v51, vcc_lo, s19, v52, vcc_lo
	v_ashrrev_i32_e32 v54, 31, v53
	s_delay_alu instid0(VALU_DEP_3) | instskip(NEXT) | instid1(VALU_DEP_3)
	v_add_co_u32 v160, vcc_lo, v27, v56
	v_add_co_ci_u32_e32 v161, vcc_lo, 0, v51, vcc_lo
	v_ashrrev_i32_e32 v27, 31, v26
	v_ashrrev_i32_e32 v51, 31, v50
	;; [unrolled: 1-line block ×3, first 2 shown]
	v_add3_u32 v155, 0, v142, v59
	v_lshlrev_b64 v[113:114], 2, v[28:29]
	v_lshlrev_b64 v[115:116], 2, v[111:112]
	;; [unrolled: 1-line block ×10, first 2 shown]
	v_dual_mov_b32 v76, v80 :: v_dual_add_nc_u32 v157, 0x580, v155
	v_dual_mov_b32 v59, v80 :: v_dual_add_nc_u32 v158, 0xb00, v155
	;; [unrolled: 1-line block ×3, first 2 shown]
	v_mad_i32_i24 v162, 0xffffff52, v135, v152
	v_dual_mov_b32 v56, 0 :: v_dual_add_nc_u32 v163, 32, v60
	v_dual_mov_b32 v61, v80 :: v_dual_add_nc_u32 v164, 64, v60
	v_add_nc_u32_e32 v165, 0x60, v60
	v_dual_mov_b32 v63, v80 :: v_dual_add_nc_u32 v166, 0x80, v60
	v_dual_mov_b32 v60, v80 :: v_dual_lshlrev_b32 v167, 2, v57
	v_dual_mov_b32 v49, v80 :: v_dual_lshlrev_b32 v168, 2, v58
	v_mov_b32_e32 v57, v80
	v_mov_b32_e32 v58, v80
	;; [unrolled: 1-line block ×3, first 2 shown]
	v_dual_mov_b32 v48, 0 :: v_dual_mov_b32 v51, v80
	v_mov_b32_e32 v50, v80
	v_mov_b32_e32 v52, v80
	v_dual_mov_b32 v53, v80 :: v_dual_mov_b32 v24, 0
	v_mov_b32_e32 v54, v80
	v_mov_b32_e32 v55, v80
	;; [unrolled: 1-line block ×9, first 2 shown]
	s_lshl_b32 s6, s102, 5
	s_delay_alu instid0(SALU_CYCLE_1)
	s_ashr_i32 s7, s6, 31
	s_and_saveexec_b32 s1, s0
	s_cbranch_execz .LBB9_367
.LBB9_366:
	s_lshl_b64 s[2:3], s[6:7], 1
	s_delay_alu instid0(SALU_CYCLE_1)
	v_add_co_u32 v81, vcc_lo, v160, s2
	v_add_co_ci_u32_e32 v82, vcc_lo, s3, v161, vcc_lo
	global_load_b32 v81, v[81:82], off
	s_waitcnt vmcnt(0)
	ds_store_b32 v146, v81 offset:5632
.LBB9_367:                              ; =>This Inner Loop Header: Depth=1
	s_or_b32 exec_lo, exec_lo, s1
	s_mul_hi_i32 s3, s6, s34
	s_mul_i32 s2, s6, s34
	v_cmp_eq_u32_e64 s4, 1, v137
	s_lshl_b64 s[2:3], s[2:3], 2
	s_delay_alu instid0(SALU_CYCLE_1) | instskip(SKIP_4) | instid1(VALU_DEP_2)
	s_add_u32 s1, s16, s2
	s_addc_u32 s2, s17, s3
	v_add_co_u32 v81, vcc_lo, s1, v113
	v_add_co_ci_u32_e32 v82, vcc_lo, s2, v114, vcc_lo
	s_mul_hi_i32 s3, s6, s10
	v_add_co_u32 v81, vcc_lo, v81, v167
	s_delay_alu instid0(VALU_DEP_2) | instskip(SKIP_4) | instid1(VALU_DEP_4)
	v_add_co_ci_u32_e32 v82, vcc_lo, 0, v82, vcc_lo
	v_add_co_u32 v83, vcc_lo, s1, v115
	v_add_co_ci_u32_e32 v84, vcc_lo, s2, v116, vcc_lo
	v_add_co_u32 v85, vcc_lo, s1, v117
	;; [unrolled: 2-line block ×3, first 2 shown]
	s_delay_alu instid0(VALU_DEP_4) | instskip(NEXT) | instid1(VALU_DEP_4)
	v_add_co_ci_u32_e32 v84, vcc_lo, 0, v84, vcc_lo
	v_add_co_u32 v85, vcc_lo, v85, v168
	s_delay_alu instid0(VALU_DEP_4) | instskip(SKIP_4) | instid1(VALU_DEP_4)
	v_add_co_ci_u32_e32 v86, vcc_lo, 0, v86, vcc_lo
	v_add_co_u32 v87, vcc_lo, s1, v119
	v_add_co_ci_u32_e32 v88, vcc_lo, s2, v120, vcc_lo
	v_add_co_u32 v89, vcc_lo, s1, v121
	;; [unrolled: 2-line block ×3, first 2 shown]
	s_delay_alu instid0(VALU_DEP_4) | instskip(NEXT) | instid1(VALU_DEP_4)
	v_add_co_ci_u32_e32 v101, vcc_lo, 0, v88, vcc_lo
	v_add_co_u32 v104, vcc_lo, v89, v168
	s_delay_alu instid0(VALU_DEP_4)
	v_add_co_ci_u32_e32 v105, vcc_lo, 0, v90, vcc_lo
	s_clause 0x4
	global_load_b128 v[88:91], v[81:82], off offset:128
	global_load_b128 v[92:95], v[83:84], off
	global_load_b128 v[96:99], v[85:86], off
	;; [unrolled: 1-line block ×4, first 2 shown]
	v_mov_b32_e32 v87, v80
	s_mul_i32 s2, s6, s10
	v_mov_b32_e32 v81, v80
	v_mov_b32_e32 v82, v80
	v_mov_b32_e32 v83, v80
	v_mov_b32_e32 v84, v80
	v_mov_b32_e32 v85, v80
	v_mov_b32_e32 v86, v80
	s_lshl_b64 s[2:3], s[2:3], 2
	v_mov_b32_e32 v178, v87
	s_add_u32 s1, s9, s2
	v_dual_mov_b32 v176, v85 :: v_dual_mov_b32 v175, v84
	v_dual_mov_b32 v177, v86 :: v_dual_mov_b32 v174, v83
	;; [unrolled: 1-line block ×3, first 2 shown]
	v_mov_b32_e32 v171, v80
	s_addc_u32 s2, s11, s3
	v_add_co_u32 v81, vcc_lo, s1, v123
	v_add_co_ci_u32_e32 v82, vcc_lo, s2, v124, vcc_lo
	v_add_co_u32 v83, vcc_lo, s1, v125
	v_add_co_ci_u32_e32 v84, vcc_lo, s2, v126, vcc_lo
	;; [unrolled: 2-line block ×10, first 2 shown]
	v_cmp_eq_u32_e64 s2, 1, v138
	v_cmp_eq_u32_e64 s3, 0, v137
	s_add_i32 s102, s102, 1
	s_add_i32 s6, s6, 32
	v_cmp_lt_i32_e32 vcc_lo, s102, v145
	s_waitcnt vmcnt(4)
	ds_store_b128 v156, v[88:91]
	s_waitcnt vmcnt(3)
	ds_store_b128 v155, v[92:95]
	;; [unrolled: 2-line block ×5, first 2 shown]
	s_waitcnt lgkmcnt(0)
	s_barrier
	buffer_gl0_inv
	ds_load_b128 v[81:84], v152
	ds_load_b128 v[85:88], v152 offset:16
	ds_load_b128 v[89:92], v152 offset:32
	;; [unrolled: 1-line block ×9, first 2 shown]
	s_waitcnt lgkmcnt(0)
	s_barrier
	buffer_gl0_inv
	s_clause 0x4
	global_load_b128 v[195:198], v[149:150], off offset:128
	global_load_b128 v[199:202], v[199:200], off
	global_load_b128 v[203:206], v[203:204], off
	;; [unrolled: 1-line block ×4, first 2 shown]
	ds_load_u16 v105, v153 offset:5632
	ds_load_u16 v106, v153 offset:5636
	;; [unrolled: 1-line block ×3, first 2 shown]
	s_and_b32 vcc_lo, exec_lo, vcc_lo
	v_wmma_f32_16x16x16_f16 v[171:178], v[81:88], v[8:15], v[171:178]
	ds_load_u16 v81, v153 offset:5644
	ds_load_u16 v82, v153 offset:5648
	ds_load_u16 v83, v153 offset:5652
	ds_load_u16 v84, v153 offset:5656
	ds_load_u16 v85, v153 offset:5660
	s_waitcnt vmcnt(4)
	ds_store_b128 v156, v[195:198]
	s_waitcnt vmcnt(3)
	ds_store_b128 v155, v[199:202]
	;; [unrolled: 2-line block ×5, first 2 shown]
	v_wmma_f32_16x16x16_f16 v[171:178], v[89:96], v[0:7], v[171:178]
	s_waitcnt lgkmcnt(12)
	v_cvt_f32_f16_e32 v86, v105
	s_waitcnt lgkmcnt(11)
	v_cvt_f32_f16_e32 v87, v106
	;; [unrolled: 2-line block ×3, first 2 shown]
	v_cvt_f32_f16_e32 v88, v107
	v_wmma_f32_16x16x16_f16 v[171:178], v[97:104], v[16:23], v[171:178]
	s_waitcnt lgkmcnt(8)
	v_cvt_f32_f16_e32 v82, v82
	s_waitcnt lgkmcnt(7)
	v_cvt_f32_f16_e32 v83, v83
	;; [unrolled: 2-line block ×4, first 2 shown]
	v_wmma_f32_16x16x16_f16 v[171:178], v[179:186], v[40:47], v[171:178]
	s_waitcnt lgkmcnt(0)
	s_barrier
	buffer_gl0_inv
	v_wmma_f32_16x16x16_f16 v[171:178], v[187:194], v[32:39], v[171:178]
	s_delay_alu instid0(VALU_DEP_1) | instskip(NEXT) | instid1(VALU_DEP_2)
	v_dual_add_f32 v86, v171, v86 :: v_dual_add_f32 v81, v174, v81
	v_dual_add_f32 v87, v172, v87 :: v_dual_add_f32 v88, v173, v88
	s_delay_alu instid0(VALU_DEP_3) | instskip(NEXT) | instid1(VALU_DEP_3)
	v_add_f32_e32 v82, v175, v82
	v_dual_add_f32 v89, 0x40051340, v86 :: v_dual_add_f32 v92, 0x40051340, v81
	s_delay_alu instid0(VALU_DEP_3) | instskip(SKIP_3) | instid1(VALU_DEP_4)
	v_add_f32_e32 v90, 0x40051340, v87
	v_dual_add_f32 v83, v176, v83 :: v_dual_add_f32 v84, v177, v84
	v_add_f32_e32 v91, 0x40051340, v88
	v_add_f32_e32 v85, v178, v85
	v_max3_f32 v89, v170, v89, v90
	s_delay_alu instid0(VALU_DEP_4) | instskip(NEXT) | instid1(VALU_DEP_2)
	v_dual_add_f32 v90, 0x40051340, v82 :: v_dual_add_f32 v93, 0x40051340, v83
	v_max3_f32 v89, v89, v91, v92
	s_delay_alu instid0(VALU_DEP_4) | instskip(NEXT) | instid1(VALU_DEP_2)
	v_dual_add_f32 v92, 0x40051340, v85 :: v_dual_add_f32 v91, 0x40051340, v84
	v_max3_f32 v89, v89, v90, v93
	s_delay_alu instid0(VALU_DEP_1) | instskip(SKIP_3) | instid1(VALU_DEP_1)
	v_max3_f32 v89, v89, v91, v92
	ds_bpermute_b32 v90, v154, v89
	s_waitcnt lgkmcnt(0)
	v_max_f32_e32 v90, v90, v90
	v_max_f32_e32 v100, v89, v90
	s_delay_alu instid0(VALU_DEP_1) | instskip(NEXT) | instid1(VALU_DEP_1)
	v_sub_f32_e32 v87, v87, v100
	v_mul_f32_e32 v91, 0x3fb8aa3b, v87
	v_sub_f32_e32 v85, v85, v100
	v_sub_f32_e32 v82, v82, v100
	s_delay_alu instid0(VALU_DEP_3) | instskip(NEXT) | instid1(VALU_DEP_3)
	v_rndne_f32_e32 v103, v91
	v_mul_f32_e32 v97, 0x3fb8aa3b, v85
	s_delay_alu instid0(VALU_DEP_3) | instskip(SKIP_1) | instid1(VALU_DEP_3)
	v_dual_sub_f32 v81, v81, v100 :: v_dual_mul_f32 v94, 0x3fb8aa3b, v82
	v_sub_f32_e32 v86, v86, v100
	v_rndne_f32_e32 v173, v97
	s_delay_alu instid0(VALU_DEP_3) | instskip(NEXT) | instid1(VALU_DEP_4)
	v_mul_f32_e32 v93, 0x3fb8aa3b, v81
	v_fma_f32 v147, 0x3fb8aa3b, v82, -v94
	s_delay_alu instid0(VALU_DEP_4)
	v_mul_f32_e32 v90, 0x3fb8aa3b, v86
	v_fma_f32 v102, 0x3fb8aa3b, v87, -v91
	v_sub_f32_e32 v89, v170, v100
	v_fma_f32 v106, 0x3fb8aa3b, v81, -v93
	v_sub_f32_e32 v91, v91, v103
	v_fma_f32 v99, 0x3fb8aa3b, v86, -v90
	v_dual_fmac_f32 v102, 0x32a5705f, v87 :: v_dual_sub_f32 v83, v83, v100
	v_mul_f32_e32 v98, 0x3fb8aa3b, v89
	v_sub_f32_e32 v88, v88, v100
	v_rndne_f32_e32 v101, v90
	v_dual_sub_f32 v84, v84, v100 :: v_dual_fmac_f32 v99, 0x32a5705f, v86
	s_delay_alu instid0(VALU_DEP_3) | instskip(NEXT) | instid1(VALU_DEP_3)
	v_dual_mul_f32 v95, 0x3fb8aa3b, v83 :: v_dual_mul_f32 v92, 0x3fb8aa3b, v88
	v_sub_f32_e32 v90, v90, v101
	v_rndne_f32_e32 v107, v93
	v_dual_fmac_f32 v106, 0x32a5705f, v81 :: v_dual_add_f32 v91, v91, v102
	s_delay_alu instid0(VALU_DEP_4)
	v_fma_f32 v104, 0x3fb8aa3b, v88, -v92
	v_rndne_f32_e32 v105, v92
	v_add_f32_e32 v90, v90, v99
	v_rndne_f32_e32 v151, v95
	v_dual_mul_f32 v96, 0x3fb8aa3b, v84 :: v_dual_sub_f32 v93, v93, v107
	v_dual_fmac_f32 v104, 0x32a5705f, v88 :: v_dual_fmac_f32 v147, 0x32a5705f, v82
	v_sub_f32_e32 v92, v92, v105
	v_exp_f32_e32 v90, v90
	v_rndne_f32_e32 v149, v94
	v_fma_f32 v150, 0x3fb8aa3b, v83, -v95
	v_sub_f32_e32 v95, v95, v151
	v_cvt_i32_f32_e32 v101, v101
	v_add_f32_e32 v92, v92, v104
	v_exp_f32_e32 v91, v91
	v_cvt_i32_f32_e32 v103, v103
	v_dual_sub_f32 v94, v94, v149 :: v_dual_add_f32 v93, v93, v106
	s_delay_alu instid0(VALU_DEP_3)
	v_exp_f32_e32 v92, v92
	v_ldexp_f32 v90, v90, v101
	v_cmp_ngt_f32_e64 s1, 0xc2ce8ed0, v86
	v_fma_f32 v170, 0x3fb8aa3b, v84, -v96
	v_rndne_f32_e32 v171, v96
	v_fma_f32 v172, 0x3fb8aa3b, v85, -v97
	v_cvt_i32_f32_e32 v105, v105
	v_dual_fmac_f32 v150, 0x32a5705f, v83 :: v_dual_sub_f32 v97, v97, v173
	v_add_f32_e32 v94, v94, v147
	v_exp_f32_e32 v93, v93
	v_ldexp_f32 v91, v91, v103
	v_cndmask_b32_e64 v90, 0, v90, s1
	v_cmp_ngt_f32_e64 s1, 0xc2ce8ed0, v87
	v_cvt_i32_f32_e32 v107, v107
	v_dual_fmac_f32 v170, 0x32a5705f, v84 :: v_dual_add_f32 v95, v95, v150
	v_fmac_f32_e32 v172, 0x32a5705f, v85
	v_sub_f32_e32 v96, v96, v171
	v_exp_f32_e32 v94, v94
	v_ldexp_f32 v92, v92, v105
	v_cndmask_b32_e64 v91, 0, v91, s1
	v_add_f32_e32 v97, v97, v172
	v_cmp_ngt_f32_e64 s1, 0xc2ce8ed0, v88
	v_fma_f32 v174, 0x3fb8aa3b, v89, -v98
	v_rndne_f32_e32 v175, v98
	v_cvt_i32_f32_e32 v149, v149
	v_add_f32_e32 v96, v96, v170
	v_exp_f32_e32 v95, v95
	v_ldexp_f32 v93, v93, v107
	v_cndmask_b32_e64 v92, 0, v92, s1
	v_cmp_ngt_f32_e64 s1, 0xc2ce8ed0, v81
	v_cvt_i32_f32_e32 v151, v151
	v_fmac_f32_e32 v174, 0x32a5705f, v89
	v_sub_f32_e32 v98, v98, v175
	v_exp_f32_e32 v96, v96
	v_ldexp_f32 v94, v94, v149
	v_cndmask_b32_e64 v93, 0, v93, s1
	v_cmp_ngt_f32_e64 s1, 0xc2ce8ed0, v82
	v_cvt_i32_f32_e32 v171, v171
	v_add_f32_e32 v98, v98, v174
	v_exp_f32_e32 v97, v97
	v_ldexp_f32 v95, v95, v151
	v_cndmask_b32_e64 v94, 0, v94, s1
	v_cmp_ngt_f32_e64 s1, 0xc2ce8ed0, v83
	v_cvt_i32_f32_e32 v173, v173
	v_exp_f32_e32 v98, v98
	v_ldexp_f32 v96, v96, v171
	v_cvt_i32_f32_e32 v99, v175
	v_cndmask_b32_e64 v95, 0, v95, s1
	v_cmp_ngt_f32_e64 s1, 0xc2ce8ed0, v84
	v_ldexp_f32 v97, v97, v173
	s_delay_alu instid0(VALU_DEP_2) | instskip(SKIP_1) | instid1(TRANS32_DEP_1)
	v_cndmask_b32_e64 v96, 0, v96, s1
	v_cmp_ngt_f32_e64 s1, 0xc2ce8ed0, v85
	v_ldexp_f32 v98, v98, v99
	s_delay_alu instid0(VALU_DEP_2) | instskip(SKIP_1) | instid1(VALU_DEP_1)
	v_cndmask_b32_e64 v97, 0, v97, s1
	v_cmp_ngt_f32_e64 s1, 0xc2ce8ed0, v89
	v_cndmask_b32_e64 v98, 0, v98, s1
	v_cmp_nlt_f32_e64 s1, 0x42b17218, v86
	s_delay_alu instid0(VALU_DEP_1) | instskip(SKIP_1) | instid1(VALU_DEP_1)
	v_cndmask_b32_e64 v86, 0x7f800000, v90, s1
	v_cmp_nlt_f32_e64 s1, 0x42b17218, v87
	v_cndmask_b32_e64 v87, 0x7f800000, v91, s1
	v_cmp_nlt_f32_e64 s1, 0x42b17218, v88
	s_delay_alu instid0(VALU_DEP_2) | instskip(NEXT) | instid1(VALU_DEP_2)
	v_add_f32_e32 v91, v86, v87
	v_cndmask_b32_e64 v88, 0x7f800000, v92, s1
	v_cmp_nlt_f32_e64 s1, 0x42b17218, v81
	ds_bpermute_b32 v92, v154, v88
	v_cndmask_b32_e64 v81, 0x7f800000, v93, s1
	v_cmp_nlt_f32_e64 s1, 0x42b17218, v82
	v_add_f32_e32 v91, v88, v91
	ds_bpermute_b32 v93, v154, v81
	v_cndmask_b32_e64 v82, 0x7f800000, v94, s1
	v_cmp_nlt_f32_e64 s1, 0x42b17218, v83
	v_add_f32_e32 v91, v81, v91
	;; [unrolled: 4-line block ×4, first 2 shown]
	ds_bpermute_b32 v96, v154, v84
	v_cndmask_b32_e64 v90, 0x7f800000, v98, s1
	v_cmp_nlt_f32_e64 s1, 0x42b17218, v85
	s_delay_alu instid0(VALU_DEP_1)
	v_cndmask_b32_e64 v85, 0x7f800000, v97, s1
	v_cmp_le_f32_e64 s1, 0xc1a00000, v89
	ds_bpermute_b32 v89, v154, v86
	ds_bpermute_b32 v98, v154, v85
	v_cndmask_b32_e64 v97, 0, v90, s1
	ds_bpermute_b32 v90, v154, v87
	v_cmp_eq_u32_e64 s1, 0, v138
	v_mul_f32_e32 v67, v67, v97
	v_mul_f32_e32 v72, v72, v97
	;; [unrolled: 1-line block ×11, first 2 shown]
	s_waitcnt lgkmcnt(2)
	v_cndmask_b32_e64 v99, v86, v89, s1
	v_cndmask_b32_e64 v86, v86, v89, s2
	v_mul_f32_e32 v66, v66, v97
	v_mul_f32_e32 v68, v68, v97
	;; [unrolled: 1-line block ×3, first 2 shown]
	v_cndmask_b32_e64 v89, v99, v87, s3
	v_cndmask_b32_e64 v87, v86, v87, s4
	v_cvt_f16_f32_e32 v86, v86
	v_mul_f32_e32 v70, v70, v97
	v_mul_f32_e32 v71, v71, v97
	s_waitcnt lgkmcnt(0)
	v_cndmask_b32_e64 v89, v89, v90, s1
	v_cndmask_b32_e64 v87, v87, v90, s2
	v_mul_f32_e32 v56, v56, v97
	v_mul_f32_e32 v57, v57, v97
	v_mul_f32_e32 v58, v58, v97
	v_cndmask_b32_e64 v90, v89, v88, s3
	v_cndmask_b32_e64 v88, v87, v88, s4
	v_mul_f32_e32 v59, v59, v97
	v_mul_f32_e32 v60, v60, v97
	v_mul_f32_e32 v61, v61, v97
	;; [unrolled: 5-line block ×3, first 2 shown]
	v_cndmask_b32_e64 v92, v90, v81, s3
	v_cndmask_b32_e64 v81, v88, v81, s4
	v_cvt_f16_f32_e32 v88, v88
	v_mul_f32_e32 v49, v49, v97
	v_mul_f32_e32 v50, v50, v97
	v_cndmask_b32_e64 v92, v92, v93, s1
	v_cndmask_b32_e64 v93, v81, v93, s2
	v_mul_f32_e32 v51, v51, v97
	v_mul_f32_e32 v52, v52, v97
	;; [unrolled: 1-line block ×3, first 2 shown]
	v_cndmask_b32_e64 v81, v92, v82, s3
	v_cndmask_b32_e64 v82, v93, v82, s4
	v_mul_f32_e32 v54, v54, v97
	v_mul_f32_e32 v55, v55, v97
	;; [unrolled: 1-line block ×3, first 2 shown]
	v_cndmask_b32_e64 v102, v81, v94, s1
	v_add_f32_e32 v81, v84, v91
	v_cndmask_b32_e64 v91, v82, v94, s2
	v_cvt_f16_f32_e32 v94, v99
	v_mul_f32_e32 v25, v25, v97
	v_cndmask_b32_e64 v82, v102, v83, s3
	v_add_f32_e32 v101, v85, v81
	v_cndmask_b32_e64 v81, v91, v83, s4
	v_cvt_f16_f32_e32 v104, v91
	v_cvt_f16_f32_e32 v83, v87
	v_cndmask_b32_e64 v99, v82, v95, s1
	v_cvt_f16_f32_e32 v82, v89
	v_cndmask_b32_e64 v103, v81, v95, s2
	v_pack_b32_f16 v81, v94, v86
	v_cvt_f16_f32_e32 v87, v90
	v_cndmask_b32_e64 v89, v99, v84, s3
	v_pack_b32_f16 v82, v82, v83
	v_cndmask_b32_e64 v84, v103, v84, s4
	v_cvt_f16_f32_e32 v102, v102
	v_pack_b32_f16 v83, v87, v88
	v_cndmask_b32_e64 v86, v89, v96, s1
	v_cvt_f16_f32_e32 v87, v92
	v_cndmask_b32_e64 v84, v84, v96, s2
	v_cvt_f16_f32_e32 v88, v93
	v_cvt_f16_f32_e32 v99, v99
	v_cndmask_b32_e64 v89, v86, v85, s3
	v_mul_f32_e32 v26, v26, v97
	v_cndmask_b32_e64 v85, v84, v85, s4
	v_cvt_f16_f32_e32 v106, v84
	v_mul_f32_e32 v27, v27, v97
	v_cndmask_b32_e64 v105, v89, v98, s1
	ds_load_u16 v95, v162 offset:2112
	ds_load_u16 v96, v162 offset:2464
	;; [unrolled: 1-line block ×30, first 2 shown]
	ds_load_u16 v89, v162
	ds_load_u16 v170, v162 offset:32
	ds_load_u16 v178, v162 offset:64
	;; [unrolled: 1-line block ×4, first 2 shown]
	s_waitcnt lgkmcnt(31)
	ds_load_u16_d16_hi v172, v162 offset:912
	ds_load_u16 v92, v162 offset:1056
	s_waitcnt lgkmcnt(32)
	ds_load_u16_d16_hi v173, v162 offset:1264
	s_waitcnt lgkmcnt(32)
	ds_load_u16_d16_hi v174, v162 offset:1616
	ds_load_u16 v94, v162 offset:1760
	s_waitcnt lgkmcnt(33)
	ds_load_u16_d16_hi v175, v162 offset:1968
	s_waitcnt lgkmcnt(32)
	ds_load_u16_d16_hi v177, v162 offset:2672
	ds_load_u16_d16_hi v176, v162 offset:2320
	s_waitcnt lgkmcnt(26)
	ds_load_u16_d16_hi v192, v162 offset:2384
	ds_load_u16_d16_hi v191, v162 offset:2032
	;; [unrolled: 1-line block ×4, first 2 shown]
	s_waitcnt lgkmcnt(23)
	ds_load_u16_d16_hi v200, v162 offset:2416
	ds_load_u16_d16_hi v96, v162 offset:2640
	;; [unrolled: 1-line block ×4, first 2 shown]
	s_waitcnt lgkmcnt(21)
	ds_load_u16_d16_hi v201, v162 offset:2768
	ds_load_u16 v90, v162 offset:352
	ds_load_u16_d16_hi v171, v162 offset:560
	ds_load_u16_d16_hi v187, v162 offset:624
	ds_load_u16 v93, v162 offset:1408
	ds_load_u16_d16_hi v189, v162 offset:1328
	ds_load_u16_d16_hi v188, v162 offset:976
	ds_load_u16 v194, v162 offset:128
	s_waitcnt lgkmcnt(24)
	ds_load_u16_d16_hi v91, v162 offset:880
	ds_load_u16_d16_hi v180, v162 offset:944
	s_waitcnt lgkmcnt(24)
	ds_load_u16_d16_hi v92, v162 offset:1232
	ds_load_u16_d16_hi v181, v162 offset:1296
	;; [unrolled: 1-line block ×5, first 2 shown]
	s_waitcnt lgkmcnt(26)
	ds_load_u16_d16_hi v94, v162 offset:1936
	ds_load_u16_d16_hi v183, v162 offset:2000
	;; [unrolled: 1-line block ×6, first 2 shown]
	s_waitcnt lgkmcnt(19)
	ds_load_u16_d16_hi v90, v162 offset:528
	ds_load_u16_d16_hi v179, v162 offset:592
	;; [unrolled: 1-line block ×3, first 2 shown]
	s_waitcnt lgkmcnt(19)
	ds_load_u16_d16_hi v93, v162 offset:1584
	ds_load_u16_d16_hi v197, v162 offset:1360
	;; [unrolled: 1-line block ×4, first 2 shown]
	s_waitcnt lgkmcnt(20)
	ds_load_u16_d16_hi v194, v162 offset:304
	v_cndmask_b32_e64 v85, v85, v98, s2
	v_cvt_f16_f32_e32 v98, v103
	v_cvt_f16_f32_e32 v103, v86
	;; [unrolled: 1-line block ×3, first 2 shown]
	v_mul_f32_e32 v28, v28, v97
	v_cvt_f16_f32_e32 v107, v85
	v_pack_b32_f16 v84, v87, v88
	v_pack_b32_f16 v85, v102, v104
	;; [unrolled: 1-line block ×5, first 2 shown]
	v_mul_f32_e32 v29, v29, v97
	v_mul_f32_e32 v30, v30, v97
	;; [unrolled: 1-line block ×3, first 2 shown]
	v_fmac_f32_e32 v101, v169, v97
	s_waitcnt lgkmcnt(4)
	v_wmma_f32_16x16x16_f16 v[72:79], v[89:96], v[81:88], v[72:79]
	v_wmma_f32_16x16x16_f16 v[64:71], v[170:177], v[81:88], v[64:71]
	;; [unrolled: 1-line block ×4, first 2 shown]
	s_waitcnt lgkmcnt(0)
	v_wmma_f32_16x16x16_f16 v[24:31], v[194:201], v[81:88], v[24:31]
	s_barrier
	buffer_gl0_inv
	s_cbranch_vccz .LBB9_372
; %bb.368:                              ;   in Loop: Header=BB9_367 Depth=1
	v_dual_mov_b32 v169, v101 :: v_dual_mov_b32 v170, v100
	s_ashr_i32 s7, s6, 31
	s_and_saveexec_b32 s1, s0
	s_cbranch_execnz .LBB9_366
	s_branch .LBB9_367
.LBB9_369:
                                        ; implicit-def: $sgpr50_sgpr51
	s_load_b64 s[48:49], s[0:1], 0x74
	v_cvt_f32_u32_e32 v2, s14
	s_branch .LBB9_2
.LBB9_370:
                                        ; implicit-def: $sgpr54_sgpr55
	s_load_b64 s[12:13], s[0:1], 0x5c
	s_branch .LBB9_5
.LBB9_371:
	v_mov_b32_e32 v30, v31
	v_mov_b32_e32 v29, v31
	;; [unrolled: 1-line block ×40, first 2 shown]
.LBB9_372:
	s_lshl_b32 s0, s102, 5
	s_mov_b32 s2, exec_lo
	s_ashr_i32 s1, s0, 31
	v_cmpx_gt_u32_e32 2, v144
	s_cbranch_execz .LBB9_374
; %bb.373:
	v_add_nc_u32_e32 v80, s5, v148
	s_lshl_b64 s[4:5], s[0:1], 1
	s_delay_alu instid0(SALU_CYCLE_1) | instskip(SKIP_1) | instid1(VALU_DEP_1)
	s_add_u32 s1, s18, s4
	s_addc_u32 s3, s19, s5
	v_lshl_or_b32 v80, v80, 1, v137
	s_delay_alu instid0(VALU_DEP_1) | instskip(NEXT) | instid1(VALU_DEP_1)
	v_mul_hi_u32 v81, s12, v80
	v_add_nc_u32_e32 v81, v80, v81
	s_delay_alu instid0(VALU_DEP_1) | instskip(NEXT) | instid1(VALU_DEP_1)
	v_lshrrev_b32_e32 v81, s13, v81
	v_mul_lo_u32 v81, v81, s8
	s_delay_alu instid0(VALU_DEP_1) | instskip(NEXT) | instid1(VALU_DEP_1)
	v_sub_nc_u32_e32 v82, v80, v81
	v_mad_i64_i32 v[80:81], null, v82, s40, 0
	v_lshlrev_b32_e32 v82, 2, v108
	s_delay_alu instid0(VALU_DEP_1) | instskip(NEXT) | instid1(VALU_DEP_3)
	v_and_b32_e32 v82, 60, v82
	v_lshlrev_b64 v[80:81], 1, v[80:81]
	s_delay_alu instid0(VALU_DEP_1) | instskip(NEXT) | instid1(VALU_DEP_2)
	v_add_co_u32 v80, vcc_lo, s1, v80
	v_add_co_ci_u32_e32 v81, vcc_lo, s3, v81, vcc_lo
	s_delay_alu instid0(VALU_DEP_2) | instskip(NEXT) | instid1(VALU_DEP_2)
	v_add_co_u32 v80, vcc_lo, v80, v82
	v_add_co_ci_u32_e32 v81, vcc_lo, 0, v81, vcc_lo
	global_load_b32 v80, v[80:81], off
	v_mul_u32_u24_e32 v81, 0x50, v144
	s_delay_alu instid0(VALU_DEP_1)
	v_add3_u32 v81, 0, v81, v82
	s_waitcnt vmcnt(0)
	ds_store_b32 v81, v80 offset:5632
.LBB9_374:
	s_or_b32 exec_lo, exec_lo, s2
	v_add_nc_u32_e32 v104, v216, v143
	v_and_b32_e32 v105, 16, v216
	s_mul_hi_i32 s3, s0, s34
	s_mul_i32 s2, s0, s34
	v_lshlrev_b64 v[82:83], 2, v[111:112]
	v_mul_lo_u32 v80, s34, v104
	v_mad_u32_u24 v165, 0xb0, v105, 0
	s_lshl_b64 s[2:3], s[2:3], 2
	v_lshlrev_b64 v[106:107], 2, v[109:110]
	s_add_u32 s1, s16, s2
	s_addc_u32 s2, s17, s3
	v_dual_mov_b32 v140, 0 :: v_dual_add_nc_u32 v129, v165, v140
	s_delay_alu instid0(VALU_DEP_4) | instskip(SKIP_3) | instid1(VALU_DEP_3)
	v_ashrrev_i32_e32 v81, 31, v80
	v_lshlrev_b32_e32 v84, 4, v108
	s_lshl_b32 s3, s34, 3
	v_add_co_u32 v86, vcc_lo, s1, v82
	v_lshlrev_b64 v[80:81], 2, v[80:81]
	s_delay_alu instid0(VALU_DEP_3) | instskip(SKIP_4) | instid1(VALU_DEP_3)
	v_and_b32_e32 v103, 16, v84
	v_and_b32_e32 v102, 0x70, v84
	v_add_nc_u32_e32 v84, s3, v111
	v_add_co_ci_u32_e32 v83, vcc_lo, s2, v83, vcc_lo
	v_add_co_u32 v87, vcc_lo, s1, v80
	v_ashrrev_i32_e32 v85, 31, v84
	v_add_co_ci_u32_e32 v88, vcc_lo, s2, v81, vcc_lo
	v_add_nc_u32_e32 v82, s3, v84
	v_mul_lo_u32 v110, s10, v104
	s_delay_alu instid0(VALU_DEP_4)
	v_lshlrev_b64 v[80:81], 2, v[84:85]
	v_add_co_u32 v84, vcc_lo, v87, v103
	v_add_co_ci_u32_e32 v85, vcc_lo, 0, v88, vcc_lo
	v_add_co_u32 v86, vcc_lo, v86, v102
	v_add_nc_u32_e32 v88, s3, v82
	v_add_co_ci_u32_e32 v87, vcc_lo, 0, v83, vcc_lo
	v_ashrrev_i32_e32 v83, 31, v82
	v_add_co_u32 v90, vcc_lo, s1, v80
	s_delay_alu instid0(VALU_DEP_4) | instskip(SKIP_1) | instid1(VALU_DEP_4)
	v_ashrrev_i32_e32 v89, 31, v88
	v_add_co_ci_u32_e32 v91, vcc_lo, s2, v81, vcc_lo
	v_lshlrev_b64 v[80:81], 2, v[82:83]
	s_delay_alu instid0(VALU_DEP_4) | instskip(NEXT) | instid1(VALU_DEP_4)
	v_add_co_u32 v90, vcc_lo, v90, v102
	v_lshlrev_b64 v[82:83], 2, v[88:89]
	s_delay_alu instid0(VALU_DEP_4) | instskip(NEXT) | instid1(VALU_DEP_4)
	v_add_co_ci_u32_e32 v91, vcc_lo, 0, v91, vcc_lo
	v_add_co_u32 v80, vcc_lo, s1, v80
	v_add_co_ci_u32_e32 v81, vcc_lo, s2, v81, vcc_lo
	s_delay_alu instid0(VALU_DEP_4) | instskip(SKIP_1) | instid1(VALU_DEP_4)
	v_add_co_u32 v82, vcc_lo, s1, v82
	v_add_co_ci_u32_e32 v83, vcc_lo, s2, v83, vcc_lo
	v_add_co_u32 v92, vcc_lo, v80, v102
	s_delay_alu instid0(VALU_DEP_4) | instskip(NEXT) | instid1(VALU_DEP_4)
	v_add_co_ci_u32_e32 v93, vcc_lo, 0, v81, vcc_lo
	v_add_co_u32 v96, vcc_lo, v82, v102
	s_delay_alu instid0(VALU_DEP_4)
	v_add_co_ci_u32_e32 v97, vcc_lo, 0, v83, vcc_lo
	s_clause 0x4
	global_load_b128 v[80:83], v[84:85], off offset:128
	global_load_b128 v[84:87], v[86:87], off
	global_load_b128 v[88:91], v[90:91], off
	global_load_b128 v[92:95], v[92:93], off
	global_load_b128 v[96:99], v[96:97], off
	s_mul_hi_i32 s1, s0, s10
	s_mul_i32 s0, s0, s10
	v_mul_u32_u24_e32 v111, 0xb0, v104
	s_lshl_b64 s[0:1], s[0:1], 2
	v_add3_u32 v167, 0, v142, v102
	s_add_u32 s0, s9, s0
	s_addc_u32 s1, s11, s1
	s_lshl_b32 s2, s10, 3
	v_add3_u32 v166, 0, v111, v103
	v_add_nc_u32_e32 v112, s2, v109
	v_ashrrev_i32_e32 v111, 31, v110
	v_add_co_u32 v104, vcc_lo, s0, v106
	v_add_co_ci_u32_e32 v107, vcc_lo, s1, v107, vcc_lo
	s_delay_alu instid0(VALU_DEP_4) | instskip(SKIP_3) | instid1(VALU_DEP_4)
	v_ashrrev_i32_e32 v113, 31, v112
	v_add_nc_u32_e32 v106, s2, v112
	v_lshlrev_b64 v[109:110], 2, v[110:111]
	v_add_co_u32 v142, vcc_lo, v104, v102
	v_lshlrev_b64 v[113:114], 2, v[112:113]
	v_add_co_ci_u32_e32 v143, vcc_lo, 0, v107, vcc_lo
	v_add_nc_u32_e32 v111, s2, v106
	v_add_co_u32 v104, vcc_lo, s0, v109
	v_ashrrev_i32_e32 v107, 31, v106
	v_add_co_ci_u32_e32 v109, vcc_lo, s1, v110, vcc_lo
	v_add_co_u32 v113, vcc_lo, s0, v113
	v_ashrrev_i32_e32 v112, 31, v111
	v_add_co_ci_u32_e32 v114, vcc_lo, s1, v114, vcc_lo
	v_lshlrev_b64 v[106:107], 2, v[106:107]
	v_add_co_u32 v103, vcc_lo, v104, v103
	v_add_co_ci_u32_e32 v104, vcc_lo, 0, v109, vcc_lo
	v_lshlrev_b64 v[109:110], 2, v[111:112]
	v_add_co_u32 v144, vcc_lo, v113, v102
	v_add_co_ci_u32_e32 v145, vcc_lo, 0, v114, vcc_lo
	v_add_co_u32 v106, vcc_lo, s0, v106
	v_add_co_ci_u32_e32 v107, vcc_lo, s1, v107, vcc_lo
	;; [unrolled: 2-line block ×3, first 2 shown]
	s_delay_alu instid0(VALU_DEP_4) | instskip(NEXT) | instid1(VALU_DEP_4)
	v_add_co_u32 v106, vcc_lo, v106, v102
	v_add_co_ci_u32_e32 v107, vcc_lo, 0, v107, vcc_lo
	s_delay_alu instid0(VALU_DEP_4) | instskip(NEXT) | instid1(VALU_DEP_4)
	v_add_co_u32 v146, vcc_lo, v109, v102
	v_add_co_ci_u32_e32 v147, vcc_lo, 0, v110, vcc_lo
	v_lshrrev_b32_e32 v102, 3, v141
	v_mov_b32_e32 v141, v140
	v_cmp_eq_u32_e64 s0, 1, v138
	v_cmp_eq_u32_e64 s1, 0, v137
	;; [unrolled: 1-line block ×3, first 2 shown]
	v_mad_u32_u24 v102, 0x50, v102, 0
	s_waitcnt vmcnt(4)
	ds_store_b128 v166, v[80:83] offset:128
	s_waitcnt vmcnt(3)
	ds_store_b128 v167, v[84:87]
	s_waitcnt vmcnt(2)
	ds_store_b128 v167, v[88:91] offset:1408
	s_waitcnt vmcnt(1)
	ds_store_b128 v167, v[92:95] offset:2816
	;; [unrolled: 2-line block ×3, first 2 shown]
	s_waitcnt lgkmcnt(0)
	s_barrier
	buffer_gl0_inv
	ds_load_b128 v[80:83], v129
	ds_load_b128 v[84:87], v129 offset:16
	ds_load_b128 v[88:91], v129 offset:32
	;; [unrolled: 1-line block ×9, first 2 shown]
	s_waitcnt lgkmcnt(0)
	s_barrier
	buffer_gl0_inv
	s_clause 0x4
	global_load_b128 v[96:99], v[103:104], off offset:128
	global_load_b128 v[149:152], v[142:143], off
	global_load_b128 v[153:156], v[144:145], off
	;; [unrolled: 1-line block ×4, first 2 shown]
	v_mov_b32_e32 v146, v140
	v_mov_b32_e32 v142, v140
	;; [unrolled: 1-line block ×6, first 2 shown]
	s_delay_alu instid0(VALU_DEP_1) | instskip(NEXT) | instid1(VALU_DEP_1)
	v_wmma_f32_16x16x16_f16 v[140:147], v[80:87], v[8:15], v[140:147]
	v_wmma_f32_16x16x16_f16 v[140:147], v[88:95], v[0:7], v[140:147]
	v_xor_b32_e32 v1, 16, v139
	v_lshl_add_u32 v91, v135, 1, v165
	s_delay_alu instid0(VALU_DEP_3) | instskip(NEXT) | instid1(VALU_DEP_3)
	v_wmma_f32_16x16x16_f16 v[140:147], v[109:116], v[16:23], v[140:147]
	v_cmp_gt_i32_e32 vcc_lo, 32, v1
	s_delay_alu instid0(VALU_DEP_2) | instskip(SKIP_1) | instid1(VALU_DEP_2)
	v_wmma_f32_16x16x16_f16 v[140:147], v[117:124], v[40:47], v[140:147]
	v_cndmask_b32_e32 v1, v139, v1, vcc_lo
	v_wmma_f32_16x16x16_f16 v[140:147], v[125:132], v[32:39], v[140:147]
	v_lshlrev_b32_e32 v103, 1, v105
	s_delay_alu instid0(VALU_DEP_3) | instskip(NEXT) | instid1(VALU_DEP_2)
	v_lshlrev_b32_e32 v88, 2, v1
	v_add3_u32 v102, v102, v103, v136
	ds_load_u16 v103, v102 offset:5632
	ds_load_u16 v104, v102 offset:5636
	;; [unrolled: 1-line block ×8, first 2 shown]
	s_waitcnt vmcnt(4)
	ds_store_b128 v166, v[96:99] offset:128
	s_waitcnt vmcnt(3)
	ds_store_b128 v167, v[149:152]
	s_waitcnt vmcnt(2)
	ds_store_b128 v167, v[153:156] offset:1408
	s_waitcnt vmcnt(1)
	ds_store_b128 v167, v[157:160] offset:2816
	;; [unrolled: 2-line block ×3, first 2 shown]
	s_waitcnt lgkmcnt(12)
	v_cvt_f32_f16_e32 v2, v103
	s_waitcnt lgkmcnt(11)
	v_cvt_f32_f16_e32 v3, v104
	;; [unrolled: 2-line block ×3, first 2 shown]
	v_cvt_f32_f16_e32 v4, v105
	v_cvt_f32_f16_e32 v5, v8
	v_dual_add_f32 v2, v140, v2 :: v_dual_add_f32 v3, v141, v3
	s_delay_alu instid0(VALU_DEP_4)
	v_add_f32_e32 v7, v145, v7
	v_cvt_f32_f16_e32 v6, v9
	s_waitcnt lgkmcnt(6)
	v_cvt_f32_f16_e32 v8, v11
	v_dual_add_f32 v4, v142, v4 :: v_dual_add_f32 v5, v143, v5
	v_add_f32_e32 v13, 0x40051340, v7
	v_dual_add_f32 v9, 0x40051340, v2 :: v_dual_add_f32 v10, 0x40051340, v3
	s_delay_alu instid0(VALU_DEP_3)
	v_add_f32_e32 v11, 0x40051340, v4
	s_waitcnt lgkmcnt(5)
	v_cvt_f32_f16_e32 v0, v0
	v_add_f32_e32 v6, v144, v6
	v_add_f32_e32 v8, v146, v8
	v_add_f32_e32 v12, 0x40051340, v5
	v_max3_f32 v9, v100, v9, v10
	v_add_f32_e32 v0, v147, v0
	v_add_f32_e32 v10, 0x40051340, v6
	s_waitcnt lgkmcnt(0)
	s_barrier
	v_max3_f32 v9, v9, v11, v12
	v_add_f32_e32 v11, 0x40051340, v8
	v_add_f32_e32 v12, 0x40051340, v0
	buffer_gl0_inv
	v_max3_f32 v9, v9, v10, v13
	s_delay_alu instid0(VALU_DEP_1) | instskip(SKIP_3) | instid1(VALU_DEP_1)
	v_max3_f32 v1, v9, v11, v12
	ds_bpermute_b32 v9, v88, v1
	s_waitcnt lgkmcnt(0)
	v_max_f32_e32 v9, v9, v9
	v_max_f32_e32 v89, v1, v9
	s_delay_alu instid0(VALU_DEP_1)
	v_sub_f32_e32 v1, v2, v89
	v_sub_f32_e32 v2, v3, v89
	v_sub_f32_e32 v3, v4, v89
	v_sub_f32_e32 v4, v5, v89
	v_sub_f32_e32 v5, v6, v89
	v_mul_f32_e32 v9, 0x3fb8aa3b, v1
	v_cmp_ngt_f32_e32 vcc_lo, 0xc2ce8ed0, v1
	v_mul_f32_e32 v11, 0x3fb8aa3b, v3
	s_delay_alu instid0(VALU_DEP_3)
	v_rndne_f32_e32 v19, v9
	v_sub_f32_e32 v6, v7, v89
	v_sub_f32_e32 v7, v8, v89
	;; [unrolled: 1-line block ×3, first 2 shown]
	v_fma_f32 v18, 0x3fb8aa3b, v1, -v9
	v_rndne_f32_e32 v23, v11
	v_sub_f32_e32 v0, v0, v89
	v_fma_f32 v22, 0x3fb8aa3b, v3, -v11
	v_mul_f32_e32 v17, 0x3fb8aa3b, v8
	s_delay_alu instid0(VALU_DEP_4) | instskip(SKIP_3) | instid1(VALU_DEP_3)
	v_dual_mul_f32 v12, 0x3fb8aa3b, v4 :: v_dual_sub_f32 v11, v11, v23
	v_dual_mul_f32 v15, 0x3fb8aa3b, v7 :: v_dual_mul_f32 v10, 0x3fb8aa3b, v2
	v_dual_mul_f32 v13, 0x3fb8aa3b, v5 :: v_dual_mul_f32 v16, 0x3fb8aa3b, v0
	v_sub_f32_e32 v9, v9, v19
	v_rndne_f32_e32 v39, v15
	s_delay_alu instid0(VALU_DEP_4)
	v_rndne_f32_e32 v21, v10
	v_fmac_f32_e32 v18, 0x32a5705f, v1
	v_fma_f32 v20, 0x3fb8aa3b, v2, -v10
	v_rndne_f32_e32 v35, v13
	v_fma_f32 v38, 0x3fb8aa3b, v7, -v15
	v_dual_sub_f32 v15, v15, v39 :: v_dual_sub_f32 v10, v10, v21
	v_add_f32_e32 v9, v9, v18
	v_fma_f32 v34, 0x3fb8aa3b, v5, -v13
	v_rndne_f32_e32 v43, v17
	v_sub_f32_e32 v13, v13, v35
	v_fma_f32 v42, 0x3fb8aa3b, v8, -v17
	v_exp_f32_e32 v9, v9
	v_mul_f32_e32 v14, 0x3fb8aa3b, v6
	v_cvt_i32_f32_e32 v19, v19
	v_dual_fmac_f32 v20, 0x32a5705f, v2 :: v_dual_sub_f32 v17, v17, v43
	v_fmac_f32_e32 v42, 0x32a5705f, v8
	v_fmac_f32_e32 v34, 0x32a5705f, v5
	v_fma_f32 v36, 0x3fb8aa3b, v6, -v14
	v_fma_f32 v32, 0x3fb8aa3b, v4, -v12
	v_rndne_f32_e32 v33, v12
	v_dual_add_f32 v17, v17, v42 :: v_dual_fmac_f32 v22, 0x32a5705f, v3
	v_add_f32_e32 v13, v13, v34
	v_ldexp_f32 v9, v9, v19
	v_fmac_f32_e32 v36, 0x32a5705f, v6
	s_delay_alu instid0(VALU_DEP_4) | instskip(NEXT) | instid1(VALU_DEP_4)
	v_dual_fmac_f32 v32, 0x32a5705f, v4 :: v_dual_add_f32 v11, v11, v22
	v_exp_f32_e32 v13, v13
	s_delay_alu instid0(VALU_DEP_3)
	v_dual_cndmask_b32 v9, 0, v9 :: v_dual_add_f32 v10, v10, v20
	v_cvt_i32_f32_e32 v35, v35
	v_cvt_i32_f32_e32 v21, v21
	v_exp_f32_e32 v11, v11
	v_rndne_f32_e32 v37, v14
	v_exp_f32_e32 v10, v10
	v_cvt_i32_f32_e32 v23, v23
	v_cmp_ngt_f32_e32 vcc_lo, 0xc2ce8ed0, v2
	s_delay_alu instid0(TRANS32_DEP_3)
	v_ldexp_f32 v13, v13, v35
	v_fmac_f32_e32 v38, 0x32a5705f, v7
	v_sub_f32_e32 v12, v12, v33
	v_cvt_i32_f32_e32 v33, v33
	v_fma_f32 v40, 0x3fb8aa3b, v0, -v16
	v_ldexp_f32 v11, v11, v23
	s_delay_alu instid0(VALU_DEP_4) | instskip(SKIP_3) | instid1(VALU_DEP_4)
	v_dual_add_f32 v15, v15, v38 :: v_dual_add_f32 v12, v12, v32
	v_ldexp_f32 v10, v10, v21
	v_rndne_f32_e32 v41, v16
	v_cvt_i32_f32_e32 v39, v39
	v_exp_f32_e32 v15, v15
	v_exp_f32_e32 v12, v12
	v_cndmask_b32_e32 v10, 0, v10, vcc_lo
	v_cmp_ngt_f32_e32 vcc_lo, 0xc2ce8ed0, v3
	v_sub_f32_e32 v14, v14, v37
	v_cvt_i32_f32_e32 v37, v37
	v_exp_f32_e32 v17, v17
	v_cvt_i32_f32_e32 v18, v43
	s_delay_alu instid0(VALU_DEP_3) | instskip(SKIP_1) | instid1(TRANS32_DEP_2)
	v_dual_cndmask_b32 v11, 0, v11 :: v_dual_add_f32 v14, v14, v36
	v_cmp_ngt_f32_e32 vcc_lo, 0xc2ce8ed0, v4
	v_ldexp_f32 v12, v12, v33
	v_ldexp_f32 v15, v15, v39
	s_delay_alu instid0(VALU_DEP_4) | instskip(NEXT) | instid1(VALU_DEP_2)
	v_exp_f32_e32 v14, v14
	v_cndmask_b32_e32 v12, 0, v12, vcc_lo
	v_cmp_ngt_f32_e32 vcc_lo, 0xc2ce8ed0, v5
	v_sub_f32_e32 v16, v16, v41
	v_cvt_i32_f32_e32 v41, v41
	v_ldexp_f32 v17, v17, v18
	v_cndmask_b32_e32 v13, 0, v13, vcc_lo
	v_cmp_ngt_f32_e32 vcc_lo, 0xc2ce8ed0, v6
	s_delay_alu instid0(TRANS32_DEP_1) | instskip(NEXT) | instid1(VALU_DEP_1)
	v_ldexp_f32 v14, v14, v37
	v_cndmask_b32_e32 v14, 0, v14, vcc_lo
	v_cmp_ngt_f32_e32 vcc_lo, 0xc2ce8ed0, v7
	v_dual_fmac_f32 v40, 0x32a5705f, v0 :: v_dual_cndmask_b32 v15, 0, v15
	s_delay_alu instid0(VALU_DEP_1) | instskip(SKIP_1) | instid1(VALU_DEP_2)
	v_add_f32_e32 v16, v16, v40
	v_cmp_ngt_f32_e32 vcc_lo, 0xc2ce8ed0, v0
	v_exp_f32_e32 v16, v16
	s_waitcnt_depctr 0xfff
	v_ldexp_f32 v16, v16, v41
	s_delay_alu instid0(VALU_DEP_1)
	v_cndmask_b32_e32 v16, 0, v16, vcc_lo
	v_cmp_ngt_f32_e32 vcc_lo, 0xc2ce8ed0, v8
	v_cndmask_b32_e32 v17, 0, v17, vcc_lo
	v_cmp_nlt_f32_e32 vcc_lo, 0x42b17218, v1
	v_cndmask_b32_e32 v1, 0x7f800000, v9, vcc_lo
	v_cmp_nlt_f32_e32 vcc_lo, 0x42b17218, v2
	;; [unrolled: 2-line block ×5, first 2 shown]
	ds_bpermute_b32 v84, v88, v81
	v_cndmask_b32_e32 v82, 0x7f800000, v13, vcc_lo
	v_cmp_nlt_f32_e32 vcc_lo, 0x42b17218, v6
	v_cndmask_b32_e32 v86, 0x7f800000, v14, vcc_lo
	v_cmp_nlt_f32_e32 vcc_lo, 0x42b17218, v7
	;; [unrolled: 2-line block ×4, first 2 shown]
	v_dual_add_f32 v0, v1, v2 :: v_dual_cndmask_b32 v93, 0x7f800000, v16
	v_cmp_le_f32_e32 vcc_lo, 0xc1a00000, v8
	ds_bpermute_b32 v102, v88, v93
	v_cndmask_b32_e32 v94, 0, v3, vcc_lo
	ds_bpermute_b32 v3, v88, v1
	v_cmp_eq_u32_e32 vcc_lo, 0, v138
	v_mul_f32_e32 v33, v65, v94
	v_add_f32_e32 v5, v80, v0
	ds_bpermute_b32 v83, v88, v80
	v_mul_f32_e32 v8, v48, v94
	v_mul_f32_e32 v9, v49, v94
	v_dual_mul_f32 v0, v24, v94 :: v_dual_add_f32 v5, v81, v5
	ds_bpermute_b32 v4, v88, v2
	v_mul_f32_e32 v35, v67, v94
	ds_bpermute_b32 v87, v88, v82
	v_add_f32_e32 v7, v82, v5
	v_mul_f32_e32 v5, v29, v94
	ds_bpermute_b32 v95, v88, v86
	s_waitcnt lgkmcnt(4)
	v_cndmask_b32_e32 v48, v1, v3, vcc_lo
	v_cndmask_b32_e64 v49, v1, v3, s0
	v_mul_f32_e32 v1, v25, v94
	s_delay_alu instid0(VALU_DEP_3) | instskip(NEXT) | instid1(VALU_DEP_3)
	v_cndmask_b32_e64 v3, v48, v2, s1
	v_cndmask_b32_e64 v6, v49, v2, s2
	s_waitcnt lgkmcnt(2)
	s_delay_alu instid0(VALU_DEP_2) | instskip(NEXT) | instid1(VALU_DEP_2)
	v_dual_mul_f32 v2, v26, v94 :: v_dual_cndmask_b32 v25, v3, v4
	v_cndmask_b32_e64 v26, v6, v4, s0
	v_mul_f32_e32 v3, v27, v94
	s_delay_alu instid0(VALU_DEP_3) | instskip(NEXT) | instid1(VALU_DEP_3)
	v_cndmask_b32_e64 v6, v25, v80, s1
	v_cndmask_b32_e64 v24, v26, v80, s2
	v_cvt_f16_f32_e32 v25, v25
	v_cvt_f16_f32_e32 v26, v26
	s_delay_alu instid0(VALU_DEP_4) | instskip(NEXT) | instid1(VALU_DEP_4)
	v_cndmask_b32_e32 v27, v6, v83, vcc_lo
	v_cndmask_b32_e64 v29, v24, v83, s0
	s_delay_alu instid0(VALU_DEP_3) | instskip(NEXT) | instid1(VALU_DEP_3)
	v_pack_b32_f16 v25, v25, v26
	v_cndmask_b32_e64 v24, v27, v81, s1
	v_cvt_f16_f32_e32 v27, v27
	s_delay_alu instid0(VALU_DEP_2)
	v_cndmask_b32_e32 v103, v24, v84, vcc_lo
	v_mul_f32_e32 v15, v55, v94
	v_mul_f32_e32 v39, v71, v94
	;; [unrolled: 1-line block ×3, first 2 shown]
	v_dual_add_f32 v28, v86, v7 :: v_dual_mul_f32 v37, v69, v94
	v_mul_f32_e32 v17, v57, v94
	v_mul_f32_e32 v6, v30, v94
	v_cvt_f16_f32_e32 v30, v48
	s_delay_alu instid0(VALU_DEP_4)
	v_add_f32_e32 v28, v92, v28
	v_cndmask_b32_e64 v48, v29, v81, s2
	v_mul_f32_e32 v19, v59, v94
	v_mul_f32_e32 v7, v31, v94
	v_cvt_f16_f32_e32 v31, v49
	v_add_f32_e32 v90, v93, v28
	v_cndmask_b32_e64 v96, v48, v84, s0
	v_cndmask_b32_e64 v28, v103, v82, s1
	v_mul_f32_e32 v21, v61, v94
	v_pack_b32_f16 v24, v30, v31
	ds_load_u16 v49, v91 offset:352
	v_cndmask_b32_e64 v30, v96, v82, s2
	s_waitcnt lgkmcnt(2)
	v_cndmask_b32_e32 v28, v28, v87, vcc_lo
	ds_bpermute_b32 v100, v88, v92
	v_mul_f32_e32 v41, v73, v94
	v_mul_f32_e32 v32, v64, v94
	v_cndmask_b32_e64 v30, v30, v87, s0
	v_cndmask_b32_e64 v31, v28, v86, s1
	v_mul_f32_e32 v40, v72, v94
	v_mul_f32_e32 v34, v66, v94
	;; [unrolled: 1-line block ×3, first 2 shown]
	v_cndmask_b32_e64 v97, v30, v86, s2
	s_waitcnt lgkmcnt(2)
	v_dual_cndmask_b32 v31, v31, v95 :: v_dual_mul_f32 v18, v58, v94
	v_mul_f32_e32 v10, v50, v94
	v_mul_f32_e32 v11, v51, v94
	v_cndmask_b32_e64 v95, v97, v95, s0
	s_delay_alu instid0(VALU_DEP_4)
	v_cndmask_b32_e64 v97, v31, v92, s1
	v_mul_f32_e32 v42, v74, v94
	ds_load_u16 v48, v91
	ds_load_u16 v56, v91 offset:32
	ds_load_u16 v64, v91 offset:64
	ds_load_u16 v72, v91 offset:96
	ds_load_u16 v65, v91 offset:416
	ds_load_u16 v81, v91 offset:480
	ds_load_u16 v80, v91 offset:128
	ds_load_u16 v50, v91 offset:704
	ds_load_u16 v58, v91 offset:736
	ds_load_u16 v66, v91 offset:768
	ds_load_u16 v51, v91 offset:1056
	ds_load_u16 v67, v91 offset:1120
	ds_load_u16 v57, v91 offset:384
	s_waitcnt lgkmcnt(14)
	ds_load_u16_d16_hi v49, v91 offset:528
	ds_load_u16 v73, v91 offset:448
	ds_load_u16 v74, v91 offset:800
	;; [unrolled: 1-line block ×3, first 2 shown]
	v_mul_f32_e32 v43, v75, v94
	v_mul_f32_e32 v44, v76, v94
	;; [unrolled: 1-line block ×9, first 2 shown]
	ds_load_u16 v53, v91 offset:1760
	ds_load_u16 v59, v91 offset:1088
	ds_load_u16 v52, v91 offset:1408
	ds_load_u16 v68, v91 offset:1472
	ds_load_u16 v60, v91 offset:1440
	ds_load_u16 v76, v91 offset:1504
	s_waitcnt lgkmcnt(22)
	ds_load_u16_d16_hi v48, v91 offset:176
	s_waitcnt lgkmcnt(22)
	ds_load_u16_d16_hi v56, v91 offset:208
	;; [unrolled: 2-line block ×9, first 2 shown]
	ds_load_u16_d16_hi v65, v91 offset:592
	s_waitcnt lgkmcnt(18)
	ds_load_u16_d16_hi v73, v91 offset:624
	s_waitcnt lgkmcnt(18)
	ds_load_u16_d16_hi v74, v91 offset:976
	s_waitcnt lgkmcnt(18)
	ds_load_u16_d16_hi v83, v91 offset:1360
	ds_load_u16_d16_hi v51, v91 offset:1232
	ds_load_u16 v75, v91 offset:1152
	ds_load_u16_d16_hi v81, v91 offset:656
	ds_load_u16_d16_hi v50, v91 offset:880
	ds_load_u16 v82, v91 offset:832
	ds_load_u16 v54, v91 offset:2112
	;; [unrolled: 1-line block ×4, first 2 shown]
	v_mul_f32_e32 v45, v77, v94
	v_mul_f32_e32 v46, v78, v94
	s_waitcnt lgkmcnt(21)
	ds_load_u16_d16_hi v76, v91 offset:1680
	ds_load_u16_d16_hi v60, v91 offset:1616
	ds_load_u16 v84, v91 offset:1536
	ds_load_u16 v61, v91 offset:1792
	;; [unrolled: 1-line block ×5, first 2 shown]
	ds_load_u16_d16_hi v53, v91 offset:1936
	ds_load_u16 v85, v91 offset:1888
	ds_load_u16 v55, v91 offset:2464
	;; [unrolled: 1-line block ×4, first 2 shown]
	v_mul_f32_e32 v47, v79, v94
	v_mul_f32_e32 v23, v63, v94
	ds_load_u16 v63, v91 offset:2496
	s_waitcnt lgkmcnt(16)
	ds_load_u16_d16_hi v82, v91 offset:1008
	ds_load_u16_d16_hi v59, v91 offset:1264
	;; [unrolled: 1-line block ×5, first 2 shown]
	s_waitcnt lgkmcnt(19)
	ds_load_u16_d16_hi v62, v91 offset:2320
	s_waitcnt lgkmcnt(19)
	ds_load_u16_d16_hi v70, v91 offset:2352
	;; [unrolled: 2-line block ×8, first 2 shown]
	ds_load_u16_d16_hi v54, v91 offset:2288
	ds_load_u16 v86, v91 offset:2240
	s_waitcnt lgkmcnt(17)
	ds_load_u16_d16_hi v71, v91 offset:2704
	s_waitcnt lgkmcnt(17)
	ds_load_u16_d16_hi v87, v91 offset:2768
	ds_load_u16_d16_hi v55, v91 offset:2640
	ds_load_u16 v79, v91 offset:2560
	v_cvt_f16_f32_e32 v29, v29
	v_cndmask_b32_e64 v92, v95, v92, s2
	v_fmac_f32_e32 v90, v101, v94
	s_waitcnt lgkmcnt(4)
	ds_load_u16_d16_hi v86, v91 offset:2416
	ds_load_u16_d16_hi v63, v91 offset:2672
	s_waitcnt lgkmcnt(2)
	ds_load_u16_d16_hi v79, v91 offset:2736
	v_pack_b32_f16 v26, v27, v29
	v_cndmask_b32_e32 v27, v97, v100, vcc_lo
	v_cndmask_b32_e64 v29, v92, v100, s0
	v_cvt_f16_f32_e32 v94, v96
	ds_bpermute_b32 v91, v88, v90
	v_cvt_f16_f32_e32 v92, v103
	v_cndmask_b32_e64 v96, v27, v93, s1
	v_cndmask_b32_e64 v93, v29, v93, s2
	v_cvt_f16_f32_e32 v28, v28
	v_cvt_f16_f32_e32 v30, v30
	;; [unrolled: 1-line block ×3, first 2 shown]
	v_cndmask_b32_e32 v96, v96, v102, vcc_lo
	v_cndmask_b32_e64 v93, v93, v102, s0
	v_cvt_f16_f32_e32 v95, v95
	v_cvt_f16_f32_e32 v97, v27
	v_cvt_f16_f32_e32 v98, v29
	v_cvt_f16_f32_e32 v96, v96
	v_cvt_f16_f32_e32 v93, v93
	v_pack_b32_f16 v27, v92, v94
	v_pack_b32_f16 v28, v28, v30
	;; [unrolled: 1-line block ×5, first 2 shown]
	v_cmp_gt_u32_e64 s0, 16, v108
	s_waitcnt lgkmcnt(0)
	s_barrier
	buffer_gl0_inv
	s_and_saveexec_b32 s1, s0
	s_cbranch_execz .LBB9_376
; %bb.375:
	v_or_b32_e32 v92, v216, v108
	v_add_f32_e32 v90, v90, v91
	s_delay_alu instid0(VALU_DEP_2)
	v_mad_u32_u24 v92, 0xb0, v92, 0
	ds_store_2addr_b32 v92, v89, v90 offset0:40 offset1:41
.LBB9_376:
	s_or_b32 exec_lo, exec_lo, s1
	v_cmp_eq_u32_e32 vcc_lo, 0, v218
	v_cmp_eq_u32_e64 s1, 1, v218
	s_waitcnt lgkmcnt(0)
	s_barrier
	buffer_gl0_inv
	s_and_saveexec_b32 s2, s1
	s_delay_alu instid0(SALU_CYCLE_1)
	s_xor_b32 s1, exec_lo, s2
	s_cbranch_execz .LBB9_378
; %bb.377:
	s_barrier
	buffer_gl0_inv
                                        ; implicit-def: $vgpr88
                                        ; implicit-def: $vgpr217
.LBB9_378:
	s_or_saveexec_b32 s2, s1
	v_wmma_f32_16x16x16_f16 v[40:47], v[48:55], v[24:31], v[40:47]
	v_wmma_f32_16x16x16_f16 v[32:39], v[56:63], v[24:31], v[32:39]
	;; [unrolled: 1-line block ×5, first 2 shown]
	s_xor_b32 exec_lo, exec_lo, s2
	s_cbranch_execz .LBB9_382
; %bb.379:
	v_add_nc_u32_e32 v24, v216, v108
	s_delay_alu instid0(VALU_DEP_1)
	v_mad_u32_u24 v28, 0xb0, v24, 0
	ds_load_b64 v[26:27], v28 offset:160
	s_waitcnt lgkmcnt(0)
	s_barrier
	buffer_gl0_inv
	v_max_f32_e32 v25, v26, v26
	ds_bpermute_b32 v24, v88, v26
	s_waitcnt lgkmcnt(0)
	v_max_f32_e32 v24, v24, v24
	s_delay_alu instid0(VALU_DEP_1) | instskip(NEXT) | instid1(VALU_DEP_1)
	v_max_f32_e32 v24, v25, v24
	v_sub_f32_e32 v25, v26, v24
	s_delay_alu instid0(VALU_DEP_1) | instskip(SKIP_1) | instid1(VALU_DEP_2)
	v_mul_f32_e32 v26, 0x3fb8aa3b, v25
	v_cmp_ngt_f32_e64 s1, 0xc2ce8ed0, v25
	v_fma_f32 v29, 0x3fb8aa3b, v25, -v26
	v_rndne_f32_e32 v30, v26
	s_delay_alu instid0(VALU_DEP_1) | instskip(NEXT) | instid1(VALU_DEP_1)
	v_dual_fmamk_f32 v29, v25, 0x32a5705f, v29 :: v_dual_sub_f32 v26, v26, v30
	v_add_f32_e32 v26, v26, v29
	v_cvt_i32_f32_e32 v29, v30
	s_delay_alu instid0(VALU_DEP_2) | instskip(SKIP_2) | instid1(VALU_DEP_1)
	v_exp_f32_e32 v26, v26
	s_waitcnt_depctr 0xfff
	v_ldexp_f32 v26, v26, v29
	v_cndmask_b32_e64 v26, 0, v26, s1
	v_cmp_nlt_f32_e64 s1, 0x42b17218, v25
	s_delay_alu instid0(VALU_DEP_1) | instskip(SKIP_1) | instid1(VALU_DEP_1)
	v_cndmask_b32_e64 v25, 0x7f800000, v26, s1
	s_mov_b32 s1, 0
	v_mul_f32_e32 v26, v27, v25
	ds_bpermute_b32 v26, v88, v26
	s_waitcnt lgkmcnt(0)
	v_fmac_f32_e32 v26, v27, v25
	ds_store_b64 v28, v[25:26] offset:160
	s_and_saveexec_b32 s3, s0
	s_cbranch_execz .LBB9_381
; %bb.380:
	v_or_b32_e32 v25, v217, v108
	s_add_i32 s0, s14, s15
	s_delay_alu instid0(SALU_CYCLE_1) | instskip(NEXT) | instid1(SALU_CYCLE_1)
	s_lshl_b32 s0, s0, 4
	s_lshl_b64 s[0:1], s[0:1], 3
	s_delay_alu instid0(VALU_DEP_1)
	v_lshlrev_b32_e32 v27, 3, v25
	v_mov_b32_e32 v25, v26
	s_add_u32 s0, s30, s0
	s_addc_u32 s1, s31, s1
	global_store_b64 v27, v[24:25], s[0:1]
.LBB9_381:
	s_or_b32 exec_lo, exec_lo, s3
.LBB9_382:
	s_delay_alu instid0(SALU_CYCLE_1)
	s_or_b32 exec_lo, exec_lo, s2
	v_or_b32_e32 v24, v216, v135
	v_cvt_f16_f32_e32 v25, v40
	v_cvt_f16_f32_e32 v26, v41
	v_cvt_f16_f32_e32 v27, v42
	v_cvt_f16_f32_e32 v28, v43
	v_mul_u32_u24_e32 v24, 0xb0, v24
	v_cvt_f16_f32_e32 v29, v44
	v_cvt_f16_f32_e32 v30, v45
	;; [unrolled: 1-line block ×4, first 2 shown]
	v_add3_u32 v24, 0, v24, v136
	v_cvt_f16_f32_e32 v16, v16
	v_cvt_f16_f32_e32 v8, v8
	;; [unrolled: 1-line block ×4, first 2 shown]
	ds_store_b16 v24, v25
	ds_store_b16 v24, v26 offset:4
	ds_store_b16 v24, v27 offset:8
	;; [unrolled: 1-line block ×7, first 2 shown]
	v_cvt_f16_f32_e32 v25, v32
	v_cvt_f16_f32_e32 v26, v33
	;; [unrolled: 1-line block ×8, first 2 shown]
	s_mov_b32 s1, 0
	v_cvt_f16_f32_e32 v28, v35
	v_cvt_f16_f32_e32 v19, v19
	;; [unrolled: 1-line block ×11, first 2 shown]
	ds_store_b16 v24, v25 offset:32
	ds_store_b16 v24, v26 offset:36
	ds_store_b16 v24, v27 offset:40
	ds_store_b16 v24, v28 offset:44
	ds_store_b16 v24, v29 offset:48
	ds_store_b16 v24, v30 offset:52
	ds_store_b16 v24, v31 offset:56
	ds_store_b16 v24, v32 offset:60
	v_cvt_f16_f32_e32 v21, v21
	v_cvt_f16_f32_e32 v22, v22
	v_cvt_f16_f32_e32 v23, v23
	ds_store_b16 v24, v16 offset:64
	ds_store_b16 v24, v17 offset:68
	ds_store_b16 v24, v18 offset:72
	ds_store_b16 v24, v19 offset:76
	ds_store_b16 v24, v20 offset:80
	ds_store_b16 v24, v21 offset:84
	ds_store_b16 v24, v22 offset:88
	ds_store_b16 v24, v23 offset:92
	v_cvt_f16_f32_e32 v13, v13
	v_cvt_f16_f32_e32 v14, v14
	v_cvt_f16_f32_e32 v15, v15
	;; [unrolled: 11-line block ×3, first 2 shown]
	ds_store_b16 v24, v0 offset:128
	ds_store_b16 v24, v1 offset:132
	;; [unrolled: 1-line block ×8, first 2 shown]
	s_waitcnt lgkmcnt(0)
	s_waitcnt_vscnt null, 0x0
	s_barrier
	buffer_gl0_inv
	s_and_saveexec_b32 s2, vcc_lo
	s_cbranch_execz .LBB9_384
; %bb.383:
	v_lshrrev_b32_e32 v18, 1, v148
	v_bfe_u32 v0, v148, 1, 4
	v_lshlrev_b32_e32 v19, 2, v108
	s_mul_i32 s0, s15, 0x280
	v_add_nc_u32_e32 v25, v134, v215
	v_add_nc_u32_e32 v1, 1, v18
	v_and_or_b32 v0, 0x3e0, v148, v0
	v_add_nc_u32_e32 v3, 2, v18
	v_add_nc_u32_e32 v4, 3, v18
	;; [unrolled: 1-line block ×3, first 2 shown]
	v_lshlrev_b32_e32 v2, 1, v1
	v_and_b32_e32 v1, 15, v1
	v_mad_u32_u24 v0, 0xb0, v0, 0
	v_and_b32_e32 v9, 15, v4
	v_lshlrev_b32_e32 v17, 1, v13
	v_and_b32_e32 v20, 15, v13
	v_and_or_b32 v1, 0x7e0, v2, v1
	v_lshlrev_b32_e32 v2, 1, v3
	v_and_b32_e32 v3, 15, v3
	v_add_nc_u32_e32 v5, 0xa0, v0
	v_add_nc_u32_e32 v6, v0, v19
	v_mad_u32_u24 v7, 0xb0, v1, 0
	v_mul_u32_u24_e32 v16, 40, v18
	v_and_or_b32 v8, 0x7e0, v2, v3
	ds_load_2addr_stride64_b32 v[0:1], v5 offset1:11
	ds_load_2addr_stride64_b32 v[2:3], v6 offset1:11
	v_lshlrev_b32_e32 v6, 1, v4
	v_add_nc_u32_e32 v5, 0xa0, v7
	v_add_nc_u32_e32 v7, v7, v19
	v_mad_u32_u24 v8, 0xb0, v8, 0
	v_and_or_b32 v17, 0x7e0, v17, v20
	v_and_or_b32 v9, 0x7e0, v6, v9
	ds_load_2addr_stride64_b32 v[4:5], v5 offset1:11
	ds_load_2addr_stride64_b32 v[6:7], v7 offset1:11
	v_add_nc_u32_e32 v10, 0xa0, v8
	v_add_nc_u32_e32 v11, v8, v19
	v_mad_u32_u24 v12, 0xb0, v9, 0
	ds_load_2addr_stride64_b32 v[8:9], v10 offset1:11
	ds_load_2addr_stride64_b32 v[10:11], v11 offset1:11
	v_add_lshl_u32 v24, v16, v108, 3
	v_add_nc_u32_e32 v14, 0xa0, v12
	v_add_nc_u32_e32 v15, v12, v19
	ds_load_2addr_stride64_b32 v[12:13], v14 offset1:11
	ds_load_2addr_stride64_b32 v[14:15], v15 offset1:11
	s_waitcnt lgkmcnt(6)
	v_fma_mix_f32 v21, v0, v2, 0 op_sel_hi:[0,1,0]
	v_fma_mix_f32 v2, v0, v2, 0 op_sel:[0,1,0] op_sel_hi:[0,1,0]
	s_lshl_b64 s[4:5], s[0:1], 3
	v_add_nc_u32_e32 v26, 0x1040, v24
	s_add_u32 s3, s30, s4
	v_fma_mix_f32 v0, v1, v3, v21 op_sel_hi:[0,1,0]
	v_fma_mix_f32 v1, v1, v3, v2 op_sel:[0,1,0] op_sel_hi:[0,1,0]
	s_waitcnt lgkmcnt(4)
	v_fma_mix_f32 v2, v4, v6, 0 op_sel_hi:[0,1,0]
	v_fma_mix_f32 v3, v4, v6, 0 op_sel:[0,1,0] op_sel_hi:[0,1,0]
	v_add_nc_u32_e32 v6, 5, v18
	v_mad_u32_u24 v4, 0xb0, v17, 0
	s_addc_u32 s4, s31, s5
	s_waitcnt lgkmcnt(2)
	v_fma_mix_f32 v20, v8, v10, 0 op_sel_hi:[0,1,0]
	v_fma_mix_f32 v10, v8, v10, 0 op_sel:[0,1,0] op_sel_hi:[0,1,0]
	v_lshlrev_b32_e32 v16, 1, v6
	v_and_b32_e32 v17, 15, v6
	s_lshl_b32 s0, s14, 5
	v_fma_mix_f32 v2, v5, v7, v2 op_sel_hi:[0,1,0]
	s_lshl_b64 s[0:1], s[0:1], 3
	v_fma_mix_f32 v3, v5, v7, v3 op_sel:[0,1,0] op_sel_hi:[0,1,0]
	v_and_or_b32 v16, 0x7e0, v16, v17
	s_waitcnt lgkmcnt(0)
	v_fma_mix_f32 v17, v12, v14, 0 op_sel_hi:[0,1,0]
	v_fma_mix_f32 v12, v12, v14, 0 op_sel:[0,1,0] op_sel_hi:[0,1,0]
	v_add_nc_u32_e32 v5, 0xa0, v4
	v_fma_mix_f32 v8, v9, v11, v20 op_sel_hi:[0,1,0]
	v_mad_u32_u24 v14, 0xb0, v16, 0
	v_add_nc_u32_e32 v16, 6, v18
	v_fma_mix_f32 v9, v9, v11, v10 op_sel:[0,1,0] op_sel_hi:[0,1,0]
	v_fma_mix_f32 v10, v13, v15, v17 op_sel_hi:[0,1,0]
	v_fma_mix_f32 v11, v13, v15, v12 op_sel:[0,1,0] op_sel_hi:[0,1,0]
	v_add_nc_u32_e32 v7, v4, v19
	v_lshlrev_b32_e32 v15, 1, v16
	v_and_b32_e32 v16, 15, v16
	s_add_u32 s0, s3, s0
	s_addc_u32 s1, s4, s1
	v_add_nc_u32_e32 v12, 0x3c0, v24
	ds_load_2addr_stride64_b32 v[4:5], v5 offset1:11
	ds_load_2addr_stride64_b32 v[6:7], v7 offset1:11
	s_clause 0x3
	global_store_b64 v24, v[0:1], s[0:1]
	global_store_b64 v24, v[2:3], s[0:1] offset:320
	global_store_b64 v24, v[8:9], s[0:1] offset:640
	global_store_b64 v12, v[10:11], s[0:1]
	v_and_or_b32 v2, 0x7e0, v15, v16
	v_add_nc_u32_e32 v3, 7, v18
	v_add_nc_u32_e32 v13, 0xa0, v14
	;; [unrolled: 1-line block ×4, first 2 shown]
	v_mad_u32_u24 v9, 0xb0, v2, 0
	v_lshlrev_b32_e32 v10, 1, v3
	v_and_b32_e32 v11, 15, v3
	ds_load_2addr_stride64_b32 v[0:1], v13 offset1:11
	v_add_nc_u32_e32 v13, 8, v18
	ds_load_2addr_stride64_b32 v[2:3], v8 offset1:11
	v_add_nc_u32_e32 v8, 0xa0, v9
	v_add_nc_u32_e32 v14, v9, v19
	v_and_or_b32 v10, 0x7e0, v10, v11
	v_lshlrev_b32_e32 v15, 1, v13
	v_and_b32_e32 v13, 15, v13
	ds_load_2addr_stride64_b32 v[8:9], v8 offset1:11
	v_add_nc_u32_e32 v27, 0x1180, v24
	v_mad_u32_u24 v16, 0xb0, v10, 0
	ds_load_2addr_stride64_b32 v[10:11], v14 offset1:11
	s_waitcnt lgkmcnt(4)
	v_fma_mix_f32 v12, v4, v6, 0 op_sel_hi:[0,1,0]
	v_fma_mix_f32 v6, v4, v6, 0 op_sel:[0,1,0] op_sel_hi:[0,1,0]
	v_and_or_b32 v13, 0x7e0, v15, v13
	v_add_nc_u32_e32 v15, 9, v18
	s_delay_alu instid0(VALU_DEP_4) | instskip(NEXT) | instid1(VALU_DEP_4)
	v_fma_mix_f32 v4, v5, v7, v12 op_sel_hi:[0,1,0]
	v_fma_mix_f32 v5, v5, v7, v6 op_sel:[0,1,0] op_sel_hi:[0,1,0]
	v_add_nc_u32_e32 v6, 0xa0, v16
	v_mad_u32_u24 v14, 0xb0, v13, 0
	v_lshlrev_b32_e32 v17, 1, v15
	v_and_b32_e32 v21, 15, v15
	v_add_nc_u32_e32 v12, v16, v19
	ds_load_2addr_stride64_b32 v[6:7], v6 offset1:11
	ds_load_2addr_stride64_b32 v[12:13], v12 offset1:11
	v_add_nc_u32_e32 v16, 0xa0, v14
	v_add_nc_u32_e32 v22, v14, v19
	v_and_or_b32 v21, 0x7e0, v17, v21
	s_waitcnt lgkmcnt(4)
	v_fma_mix_f32 v23, v0, v2, 0 op_sel_hi:[0,1,0]
	v_fma_mix_f32 v2, v0, v2, 0 op_sel:[0,1,0] op_sel_hi:[0,1,0]
	ds_load_2addr_stride64_b32 v[14:15], v16 offset1:11
	ds_load_2addr_stride64_b32 v[16:17], v22 offset1:11
	s_waitcnt lgkmcnt(4)
	v_fma_mix_f32 v22, v8, v10, 0 op_sel_hi:[0,1,0]
	v_fma_mix_f32 v8, v8, v10, 0 op_sel:[0,1,0] op_sel_hi:[0,1,0]
	v_mad_u32_u24 v10, 0xb0, v21, 0
	v_fma_mix_f32 v0, v1, v3, v23 op_sel_hi:[0,1,0]
	v_fma_mix_f32 v1, v1, v3, v2 op_sel:[0,1,0] op_sel_hi:[0,1,0]
	v_fma_mix_f32 v2, v9, v11, v22 op_sel_hi:[0,1,0]
	v_fma_mix_f32 v3, v9, v11, v8 op_sel:[0,1,0] op_sel_hi:[0,1,0]
	v_add_nc_u32_e32 v8, 0xa0, v10
	v_add_nc_u32_e32 v10, v10, v19
	ds_load_2addr_stride64_b32 v[8:9], v8 offset1:11
	ds_load_2addr_stride64_b32 v[10:11], v10 offset1:11
	v_add_nc_u32_e32 v21, 0x640, v24
	v_add_nc_u32_e32 v22, 0x780, v24
	s_waitcnt lgkmcnt(4)
	v_fma_mix_f32 v23, v6, v12, 0 op_sel_hi:[0,1,0]
	v_fma_mix_f32 v6, v6, v12, 0 op_sel:[0,1,0] op_sel_hi:[0,1,0]
	s_clause 0x2
	global_store_b64 v20, v[4:5], s[0:1]
	global_store_b64 v21, v[0:1], s[0:1]
	;; [unrolled: 1-line block ×3, first 2 shown]
	v_add_nc_u32_e32 v3, 10, v18
	s_waitcnt lgkmcnt(2)
	v_fma_mix_f32 v2, v14, v16, 0 op_sel_hi:[0,1,0]
	v_fma_mix_f32 v0, v7, v13, v23 op_sel_hi:[0,1,0]
	v_fma_mix_f32 v1, v7, v13, v6 op_sel:[0,1,0] op_sel_hi:[0,1,0]
	v_add_nc_u32_e32 v4, 0x8c0, v24
	v_fma_mix_f32 v5, v14, v16, 0 op_sel:[0,1,0] op_sel_hi:[0,1,0]
	v_lshlrev_b32_e32 v6, 1, v3
	v_and_b32_e32 v7, 15, v3
	v_add_nc_u32_e32 v12, 11, v18
	v_fma_mix_f32 v2, v15, v17, v2 op_sel_hi:[0,1,0]
	v_fma_mix_f32 v3, v15, v17, v5 op_sel:[0,1,0] op_sel_hi:[0,1,0]
	v_add_nc_u32_e32 v5, 0xa00, v24
	global_store_b64 v4, v[0:1], s[0:1]
	v_and_or_b32 v0, 0x7e0, v6, v7
	v_lshlrev_b32_e32 v1, 1, v12
	v_and_b32_e32 v4, 15, v12
	global_store_b64 v5, v[2:3], s[0:1]
	s_waitcnt lgkmcnt(0)
	v_fma_mix_f32 v2, v8, v10, 0 op_sel_hi:[0,1,0]
	v_mad_u32_u24 v3, 0xb0, v0, 0
	v_fma_mix_f32 v6, v8, v10, 0 op_sel:[0,1,0] op_sel_hi:[0,1,0]
	v_and_or_b32 v1, 0x7e0, v1, v4
	v_add_nc_u32_e32 v4, 12, v18
	v_fma_mix_f32 v0, v9, v11, v2 op_sel_hi:[0,1,0]
	v_add_nc_u32_e32 v2, 0xa0, v3
	v_add_nc_u32_e32 v5, v3, v19
	v_mad_u32_u24 v7, 0xb0, v1, 0
	v_lshlrev_b32_e32 v1, 1, v4
	v_and_b32_e32 v8, 15, v4
	v_add_nc_u32_e32 v10, 13, v18
	ds_load_2addr_stride64_b32 v[2:3], v2 offset1:11
	ds_load_2addr_stride64_b32 v[4:5], v5 offset1:11
	v_add_nc_u32_e32 v12, 0xa0, v7
	v_add_nc_u32_e32 v20, 0xb40, v24
	v_and_or_b32 v8, 0x7e0, v1, v8
	v_lshlrev_b32_e32 v13, 1, v10
	v_and_b32_e32 v10, 15, v10
	v_fma_mix_f32 v1, v9, v11, v6 op_sel:[0,1,0] op_sel_hi:[0,1,0]
	v_add_nc_u32_e32 v9, v7, v19
	ds_load_2addr_stride64_b32 v[6:7], v12 offset1:11
	v_add_nc_u32_e32 v12, 14, v18
	v_mad_u32_u24 v11, 0xb0, v8, 0
	v_and_or_b32 v10, 0x7e0, v13, v10
	ds_load_2addr_stride64_b32 v[8:9], v9 offset1:11
	v_lshlrev_b32_e32 v16, 1, v12
	v_and_b32_e32 v17, 15, v12
	v_add_nc_u32_e32 v13, 0xa0, v11
	v_add_nc_u32_e32 v14, v11, v19
	v_mad_u32_u24 v15, 0xb0, v10, 0
	ds_load_2addr_stride64_b32 v[10:11], v13 offset1:11
	ds_load_2addr_stride64_b32 v[12:13], v14 offset1:11
	v_and_or_b32 v16, 0x7e0, v16, v17
	v_add_nc_u32_e32 v14, 0xa0, v15
	v_add_nc_u32_e32 v17, v15, v19
	s_waitcnt lgkmcnt(4)
	v_fma_mix_f32 v21, v2, v4, 0 op_sel_hi:[0,1,0]
	v_fma_mix_f32 v2, v2, v4, 0 op_sel:[0,1,0] op_sel_hi:[0,1,0]
	v_mad_u32_u24 v4, 0xb0, v16, 0
	ds_load_2addr_stride64_b32 v[14:15], v14 offset1:11
	ds_load_2addr_stride64_b32 v[16:17], v17 offset1:11
	global_store_b64 v20, v[0:1], s[0:1]
	v_fma_mix_f32 v1, v3, v5, v2 op_sel:[0,1,0] op_sel_hi:[0,1,0]
	v_add_nc_u32_e32 v2, 0xa0, v4
	v_add_nc_u32_e32 v4, v4, v19
	v_fma_mix_f32 v0, v3, v5, v21 op_sel_hi:[0,1,0]
	ds_load_2addr_stride64_b32 v[2:3], v2 offset1:11
	ds_load_2addr_stride64_b32 v[4:5], v4 offset1:11
	s_waitcnt lgkmcnt(6)
	v_fma_mix_f32 v21, v6, v8, 0 op_sel_hi:[0,1,0]
	v_fma_mix_f32 v8, v6, v8, 0 op_sel:[0,1,0] op_sel_hi:[0,1,0]
	v_add_nc_u32_e32 v20, 0xc80, v24
	s_waitcnt lgkmcnt(4)
	v_fma_mix_f32 v22, v10, v12, 0 op_sel_hi:[0,1,0]
	v_fma_mix_f32 v10, v10, v12, 0 op_sel:[0,1,0] op_sel_hi:[0,1,0]
	v_fma_mix_f32 v6, v7, v9, v21 op_sel_hi:[0,1,0]
	v_fma_mix_f32 v7, v7, v9, v8 op_sel:[0,1,0] op_sel_hi:[0,1,0]
	v_add_nc_u32_e32 v12, 0xdc0, v24
	v_fma_mix_f32 v8, v11, v13, v22 op_sel_hi:[0,1,0]
	v_fma_mix_f32 v9, v11, v13, v10 op_sel:[0,1,0] op_sel_hi:[0,1,0]
	v_add_nc_u32_e32 v10, 0xf00, v24
	global_store_b64 v20, v[0:1], s[0:1]
	v_add_nc_u32_e32 v1, 15, v18
	s_clause 0x1
	global_store_b64 v12, v[6:7], s[0:1]
	global_store_b64 v10, v[8:9], s[0:1]
	s_waitcnt lgkmcnt(2)
	v_fma_mix_f32 v6, v14, v16, 0 op_sel:[0,1,0] op_sel_hi:[0,1,0]
	v_and_b32_e32 v9, 15, v25
	v_lshlrev_b32_e32 v7, 1, v1
	v_and_b32_e32 v8, 15, v1
	v_add_nc_u32_e32 v11, 8, v25
	v_fma_mix_f32 v1, v15, v17, v6 op_sel:[0,1,0] op_sel_hi:[0,1,0]
	s_waitcnt lgkmcnt(0)
	v_fma_mix_f32 v6, v2, v4, 0 op_sel_hi:[0,1,0]
	v_fma_mix_f32 v4, v2, v4, 0 op_sel:[0,1,0] op_sel_hi:[0,1,0]
	v_and_or_b32 v7, 0x7e0, v7, v8
	v_lshlrev_b32_e32 v8, 1, v25
	v_fma_mix_f32 v0, v14, v16, 0 op_sel_hi:[0,1,0]
	v_fma_mix_f32 v2, v3, v5, v6 op_sel_hi:[0,1,0]
	v_fma_mix_f32 v3, v3, v5, v4 op_sel:[0,1,0] op_sel_hi:[0,1,0]
	v_add_nc_u32_e32 v5, 4, v25
	v_and_or_b32 v4, 0x1fe0, v8, v9
	v_mad_u32_u24 v6, 0xb0, v7, 0
	v_lshlrev_b32_e32 v16, 2, v133
	v_lshlrev_b32_e32 v13, 1, v11
	;; [unrolled: 1-line block ×3, first 2 shown]
	v_and_b32_e32 v10, 15, v5
	v_mad_u32_u24 v8, 0xb0, v4, 0
	v_and_b32_e32 v11, 15, v11
	v_fma_mix_f32 v0, v15, v17, v0 op_sel_hi:[0,1,0]
	v_add_nc_u32_e32 v7, 0xa0, v6
	v_and_or_b32 v9, 0x3fe0, v9, v10
	v_add_nc_u32_e32 v10, 12, v25
	v_add_nc_u32_e32 v12, 0xa0, v8
	;; [unrolled: 1-line block ×3, first 2 shown]
	v_and_or_b32 v11, 0x3fe0, v13, v11
	v_mad_u32_u24 v14, 0xb0, v9, 0
	v_lshlrev_b32_e32 v15, 1, v10
	v_and_b32_e32 v10, 15, v10
	v_add_nc_u32_e32 v6, v6, v19
	ds_load_2addr_stride64_b32 v[4:5], v7 offset1:11
	ds_load_2addr_stride64_b32 v[6:7], v6 offset1:11
	v_and_or_b32 v10, 0x3fe0, v15, v10
	ds_load_2addr_stride64_b32 v[8:9], v12 offset1:11
	v_add_nc_u32_e32 v12, v14, v16
	v_add_nc_u32_e32 v13, 0x80, v17
	v_mad_u32_u24 v17, 0xb0, v11, 0
	v_mad_u32_u24 v18, 0xb0, v10, 0
	v_add_nc_u32_e32 v14, 0xa0, v14
	v_add_nc_u32_e32 v15, 0x80, v12
	ds_load_2addr_stride64_b32 v[10:11], v13 offset1:11
	v_add_nc_u32_e32 v19, v17, v16
	v_add_nc_u32_e32 v16, v18, v16
	ds_load_2addr_stride64_b32 v[12:13], v14 offset1:11
	ds_load_2addr_stride64_b32 v[14:15], v15 offset1:11
	v_add_nc_u32_e32 v17, 0xa0, v17
	v_add_nc_u32_e32 v20, 0xa0, v18
	;; [unrolled: 1-line block ×4, first 2 shown]
	ds_load_2addr_stride64_b32 v[16:17], v17 offset1:11
	ds_load_2addr_stride64_b32 v[18:19], v19 offset1:11
	;; [unrolled: 1-line block ×4, first 2 shown]
	s_waitcnt lgkmcnt(8)
	v_fma_mix_f32 v28, v4, v6, 0 op_sel_hi:[0,1,0]
	v_fma_mix_f32 v4, v4, v6, 0 op_sel:[0,1,0] op_sel_hi:[0,1,0]
	s_clause 0x1
	global_store_b64 v26, v[0:1], s[0:1]
	global_store_b64 v27, v[2:3], s[0:1]
	v_mul_u32_u24_e32 v2, 40, v25
	v_add_nc_u32_e32 v24, 0x12c0, v24
	v_fma_mix_f32 v0, v5, v7, v28 op_sel_hi:[0,1,0]
	v_fma_mix_f32 v1, v5, v7, v4 op_sel:[0,1,0] op_sel_hi:[0,1,0]
	s_delay_alu instid0(VALU_DEP_4)
	v_or_b32_e32 v5, v2, v133
	s_waitcnt lgkmcnt(6)
	v_fma_mix_f32 v3, v8, v10, 0 op_sel_hi:[0,1,0]
	v_fma_mix_f32 v4, v8, v10, 0 op_sel:[0,1,0] op_sel_hi:[0,1,0]
	s_waitcnt lgkmcnt(4)
	v_fma_mix_f32 v6, v12, v14, 0 op_sel_hi:[0,1,0]
	v_fma_mix_f32 v7, v12, v14, 0 op_sel:[0,1,0] op_sel_hi:[0,1,0]
	v_lshlrev_b32_e32 v10, 3, v5
	v_fma_mix_f32 v2, v9, v11, v3 op_sel_hi:[0,1,0]
	v_fma_mix_f32 v3, v9, v11, v4 op_sel:[0,1,0] op_sel_hi:[0,1,0]
	v_fma_mix_f32 v4, v13, v15, v6 op_sel_hi:[0,1,0]
	v_fma_mix_f32 v5, v13, v15, v7 op_sel:[0,1,0] op_sel_hi:[0,1,0]
	s_waitcnt lgkmcnt(2)
	v_fma_mix_f32 v6, v16, v18, 0 op_sel_hi:[0,1,0]
	v_fma_mix_f32 v7, v16, v18, 0 op_sel:[0,1,0] op_sel_hi:[0,1,0]
	s_waitcnt lgkmcnt(0)
	v_fma_mix_f32 v8, v20, v22, 0 op_sel_hi:[0,1,0]
	v_fma_mix_f32 v9, v20, v22, 0 op_sel:[0,1,0] op_sel_hi:[0,1,0]
	v_add_nc_u32_e32 v11, 0x500, v10
	v_fma_mix_f32 v6, v17, v19, v6 op_sel_hi:[0,1,0]
	v_fma_mix_f32 v7, v17, v19, v7 op_sel:[0,1,0] op_sel_hi:[0,1,0]
	v_add_nc_u32_e32 v12, 0xa00, v10
	v_fma_mix_f32 v8, v21, v23, v8 op_sel_hi:[0,1,0]
	v_fma_mix_f32 v9, v21, v23, v9 op_sel:[0,1,0] op_sel_hi:[0,1,0]
	v_add_nc_u32_e32 v13, 0xf00, v10
	s_clause 0x4
	global_store_b64 v24, v[0:1], s[0:1]
	global_store_b64 v10, v[2:3], s[0:1] offset:256
	global_store_b64 v11, v[4:5], s[0:1] offset:256
	;; [unrolled: 1-line block ×4, first 2 shown]
.LBB9_384:
	s_or_b32 exec_lo, exec_lo, s2
	s_waitcnt_vscnt null, 0x0
	s_barrier
	buffer_gl0_inv
	s_endpgm
	.section	.rodata,"a",@progbits
	.p2align	6, 0x0
	.amdhsa_kernel _ZL18flash_attn_ext_f16ILi80ELi80ELi2ELi8ELb0ELb0EEvPKcS1_S1_S1_S1_PKiPfP15HIP_vector_typeIfLj2EEffffjfiS5_IjLj3EEiiiiiiiiiiiliiliiiiil
		.amdhsa_group_segment_fixed_size 0
		.amdhsa_private_segment_fixed_size 428
		.amdhsa_kernarg_size 464
		.amdhsa_user_sgpr_count 15
		.amdhsa_user_sgpr_dispatch_ptr 0
		.amdhsa_user_sgpr_queue_ptr 0
		.amdhsa_user_sgpr_kernarg_segment_ptr 1
		.amdhsa_user_sgpr_dispatch_id 0
		.amdhsa_user_sgpr_private_segment_size 0
		.amdhsa_wavefront_size32 1
		.amdhsa_uses_dynamic_stack 0
		.amdhsa_enable_private_segment 1
		.amdhsa_system_sgpr_workgroup_id_x 1
		.amdhsa_system_sgpr_workgroup_id_y 0
		.amdhsa_system_sgpr_workgroup_id_z 0
		.amdhsa_system_sgpr_workgroup_info 0
		.amdhsa_system_vgpr_workitem_id 1
		.amdhsa_next_free_vgpr 256
		.amdhsa_next_free_sgpr 105
		.amdhsa_reserve_vcc 1
		.amdhsa_float_round_mode_32 0
		.amdhsa_float_round_mode_16_64 0
		.amdhsa_float_denorm_mode_32 3
		.amdhsa_float_denorm_mode_16_64 3
		.amdhsa_dx10_clamp 1
		.amdhsa_ieee_mode 1
		.amdhsa_fp16_overflow 0
		.amdhsa_workgroup_processor_mode 1
		.amdhsa_memory_ordered 1
		.amdhsa_forward_progress 0
		.amdhsa_shared_vgpr_count 0
		.amdhsa_exception_fp_ieee_invalid_op 0
		.amdhsa_exception_fp_denorm_src 0
		.amdhsa_exception_fp_ieee_div_zero 0
		.amdhsa_exception_fp_ieee_overflow 0
		.amdhsa_exception_fp_ieee_underflow 0
		.amdhsa_exception_fp_ieee_inexact 0
		.amdhsa_exception_int_div_zero 0
	.end_amdhsa_kernel
	.section	.text._ZL18flash_attn_ext_f16ILi80ELi80ELi2ELi8ELb0ELb0EEvPKcS1_S1_S1_S1_PKiPfP15HIP_vector_typeIfLj2EEffffjfiS5_IjLj3EEiiiiiiiiiiiliiliiiiil,"axG",@progbits,_ZL18flash_attn_ext_f16ILi80ELi80ELi2ELi8ELb0ELb0EEvPKcS1_S1_S1_S1_PKiPfP15HIP_vector_typeIfLj2EEffffjfiS5_IjLj3EEiiiiiiiiiiiliiliiiiil,comdat
.Lfunc_end9:
	.size	_ZL18flash_attn_ext_f16ILi80ELi80ELi2ELi8ELb0ELb0EEvPKcS1_S1_S1_S1_PKiPfP15HIP_vector_typeIfLj2EEffffjfiS5_IjLj3EEiiiiiiiiiiiliiliiiiil, .Lfunc_end9-_ZL18flash_attn_ext_f16ILi80ELi80ELi2ELi8ELb0ELb0EEvPKcS1_S1_S1_S1_PKiPfP15HIP_vector_typeIfLj2EEffffjfiS5_IjLj3EEiiiiiiiiiiiliiliiiiil
                                        ; -- End function
	.section	.AMDGPU.csdata,"",@progbits
; Kernel info:
; codeLenInByte = 58068
; NumSgprs: 107
; NumVgprs: 256
; ScratchSize: 428
; MemoryBound: 0
; FloatMode: 240
; IeeeMode: 1
; LDSByteSize: 0 bytes/workgroup (compile time only)
; SGPRBlocks: 13
; VGPRBlocks: 31
; NumSGPRsForWavesPerEU: 107
; NumVGPRsForWavesPerEU: 256
; Occupancy: 5
; WaveLimiterHint : 1
; COMPUTE_PGM_RSRC2:SCRATCH_EN: 1
; COMPUTE_PGM_RSRC2:USER_SGPR: 15
; COMPUTE_PGM_RSRC2:TRAP_HANDLER: 0
; COMPUTE_PGM_RSRC2:TGID_X_EN: 1
; COMPUTE_PGM_RSRC2:TGID_Y_EN: 0
; COMPUTE_PGM_RSRC2:TGID_Z_EN: 0
; COMPUTE_PGM_RSRC2:TIDIG_COMP_CNT: 1
	.section	.text._ZL18flash_attn_ext_f16ILi80ELi80ELi2ELi8ELb1ELb0EEvPKcS1_S1_S1_S1_PKiPfP15HIP_vector_typeIfLj2EEffffjfiS5_IjLj3EEiiiiiiiiiiiliiliiiiil,"axG",@progbits,_ZL18flash_attn_ext_f16ILi80ELi80ELi2ELi8ELb1ELb0EEvPKcS1_S1_S1_S1_PKiPfP15HIP_vector_typeIfLj2EEffffjfiS5_IjLj3EEiiiiiiiiiiiliiliiiiil,comdat
	.globl	_ZL18flash_attn_ext_f16ILi80ELi80ELi2ELi8ELb1ELb0EEvPKcS1_S1_S1_S1_PKiPfP15HIP_vector_typeIfLj2EEffffjfiS5_IjLj3EEiiiiiiiiiiiliiliiiiil ; -- Begin function _ZL18flash_attn_ext_f16ILi80ELi80ELi2ELi8ELb1ELb0EEvPKcS1_S1_S1_S1_PKiPfP15HIP_vector_typeIfLj2EEffffjfiS5_IjLj3EEiiiiiiiiiiiliiliiiiil
	.p2align	8
	.type	_ZL18flash_attn_ext_f16ILi80ELi80ELi2ELi8ELb1ELb0EEvPKcS1_S1_S1_S1_PKiPfP15HIP_vector_typeIfLj2EEffffjfiS5_IjLj3EEiiiiiiiiiiiliiliiiiil,@function
_ZL18flash_attn_ext_f16ILi80ELi80ELi2ELi8ELb1ELb0EEvPKcS1_S1_S1_S1_PKiPfP15HIP_vector_typeIfLj2EEffffjfiS5_IjLj3EEiiiiiiiiiiiliiliiiiil: ; @_ZL18flash_attn_ext_f16ILi80ELi80ELi2ELi8ELb1ELb0EEvPKcS1_S1_S1_S1_PKiPfP15HIP_vector_typeIfLj2EEffffjfiS5_IjLj3EEiiiiiiiiiiiliiliiiiil
; %bb.0:
	v_mov_b32_e32 v0, 0x6cc
	s_add_u32 s8, s0, 0xd0
	s_addc_u32 s9, s1, 0
	s_mov_b32 s32, 0
	s_getpc_b64 s[0:1]
	s_add_u32 s0, s0, _ZL14no_device_codePKciS0_iS0_@rel32@lo+4
	s_addc_u32 s1, s1, _ZL14no_device_codePKciS0_iS0_@rel32@hi+12
	s_delay_alu instid0(SALU_CYCLE_1)
	s_swappc_b64 s[30:31], s[0:1]
	.section	.rodata,"a",@progbits
	.p2align	6, 0x0
	.amdhsa_kernel _ZL18flash_attn_ext_f16ILi80ELi80ELi2ELi8ELb1ELb0EEvPKcS1_S1_S1_S1_PKiPfP15HIP_vector_typeIfLj2EEffffjfiS5_IjLj3EEiiiiiiiiiiiliiliiiiil
		.amdhsa_group_segment_fixed_size 0
		.amdhsa_private_segment_fixed_size 16
		.amdhsa_kernarg_size 464
		.amdhsa_user_sgpr_count 15
		.amdhsa_user_sgpr_dispatch_ptr 0
		.amdhsa_user_sgpr_queue_ptr 0
		.amdhsa_user_sgpr_kernarg_segment_ptr 1
		.amdhsa_user_sgpr_dispatch_id 0
		.amdhsa_user_sgpr_private_segment_size 0
		.amdhsa_wavefront_size32 1
		.amdhsa_uses_dynamic_stack 0
		.amdhsa_enable_private_segment 1
		.amdhsa_system_sgpr_workgroup_id_x 1
		.amdhsa_system_sgpr_workgroup_id_y 0
		.amdhsa_system_sgpr_workgroup_id_z 0
		.amdhsa_system_sgpr_workgroup_info 0
		.amdhsa_system_vgpr_workitem_id 0
		.amdhsa_next_free_vgpr 37
		.amdhsa_next_free_sgpr 34
		.amdhsa_reserve_vcc 1
		.amdhsa_float_round_mode_32 0
		.amdhsa_float_round_mode_16_64 0
		.amdhsa_float_denorm_mode_32 3
		.amdhsa_float_denorm_mode_16_64 3
		.amdhsa_dx10_clamp 1
		.amdhsa_ieee_mode 1
		.amdhsa_fp16_overflow 0
		.amdhsa_workgroup_processor_mode 1
		.amdhsa_memory_ordered 1
		.amdhsa_forward_progress 0
		.amdhsa_shared_vgpr_count 0
		.amdhsa_exception_fp_ieee_invalid_op 0
		.amdhsa_exception_fp_denorm_src 0
		.amdhsa_exception_fp_ieee_div_zero 0
		.amdhsa_exception_fp_ieee_overflow 0
		.amdhsa_exception_fp_ieee_underflow 0
		.amdhsa_exception_fp_ieee_inexact 0
		.amdhsa_exception_int_div_zero 0
	.end_amdhsa_kernel
	.section	.text._ZL18flash_attn_ext_f16ILi80ELi80ELi2ELi8ELb1ELb0EEvPKcS1_S1_S1_S1_PKiPfP15HIP_vector_typeIfLj2EEffffjfiS5_IjLj3EEiiiiiiiiiiiliiliiiiil,"axG",@progbits,_ZL18flash_attn_ext_f16ILi80ELi80ELi2ELi8ELb1ELb0EEvPKcS1_S1_S1_S1_PKiPfP15HIP_vector_typeIfLj2EEffffjfiS5_IjLj3EEiiiiiiiiiiiliiliiiiil,comdat
.Lfunc_end10:
	.size	_ZL18flash_attn_ext_f16ILi80ELi80ELi2ELi8ELb1ELb0EEvPKcS1_S1_S1_S1_PKiPfP15HIP_vector_typeIfLj2EEffffjfiS5_IjLj3EEiiiiiiiiiiiliiliiiiil, .Lfunc_end10-_ZL18flash_attn_ext_f16ILi80ELi80ELi2ELi8ELb1ELb0EEvPKcS1_S1_S1_S1_PKiPfP15HIP_vector_typeIfLj2EEffffjfiS5_IjLj3EEiiiiiiiiiiiliiliiiiil
                                        ; -- End function
	.section	.AMDGPU.csdata,"",@progbits
; Kernel info:
; codeLenInByte = 52
; NumSgprs: 36
; NumVgprs: 37
; ScratchSize: 16
; MemoryBound: 0
; FloatMode: 240
; IeeeMode: 1
; LDSByteSize: 0 bytes/workgroup (compile time only)
; SGPRBlocks: 4
; VGPRBlocks: 4
; NumSGPRsForWavesPerEU: 36
; NumVGPRsForWavesPerEU: 37
; Occupancy: 16
; WaveLimiterHint : 1
; COMPUTE_PGM_RSRC2:SCRATCH_EN: 1
; COMPUTE_PGM_RSRC2:USER_SGPR: 15
; COMPUTE_PGM_RSRC2:TRAP_HANDLER: 0
; COMPUTE_PGM_RSRC2:TGID_X_EN: 1
; COMPUTE_PGM_RSRC2:TGID_Y_EN: 0
; COMPUTE_PGM_RSRC2:TGID_Z_EN: 0
; COMPUTE_PGM_RSRC2:TIDIG_COMP_CNT: 0
	.section	.text._ZL33flash_attn_stream_k_fixup_uniformILi80ELi2ELi8EEvPfPK15HIP_vector_typeIfLj2EEiiiiiiS1_IjLj3EES5_S5_,"axG",@progbits,_ZL33flash_attn_stream_k_fixup_uniformILi80ELi2ELi8EEvPfPK15HIP_vector_typeIfLj2EEiiiiiiS1_IjLj3EES5_S5_,comdat
	.globl	_ZL33flash_attn_stream_k_fixup_uniformILi80ELi2ELi8EEvPfPK15HIP_vector_typeIfLj2EEiiiiiiS1_IjLj3EES5_S5_ ; -- Begin function _ZL33flash_attn_stream_k_fixup_uniformILi80ELi2ELi8EEvPfPK15HIP_vector_typeIfLj2EEiiiiiiS1_IjLj3EES5_S5_
	.p2align	8
	.type	_ZL33flash_attn_stream_k_fixup_uniformILi80ELi2ELi8EEvPfPK15HIP_vector_typeIfLj2EEiiiiiiS1_IjLj3EES5_S5_,@function
_ZL33flash_attn_stream_k_fixup_uniformILi80ELi2ELi8EEvPfPK15HIP_vector_typeIfLj2EEiiiiiiS1_IjLj3EES5_S5_: ; @_ZL33flash_attn_stream_k_fixup_uniformILi80ELi2ELi8EEvPfPK15HIP_vector_typeIfLj2EEiiiiiiS1_IjLj3EES5_S5_
; %bb.0:
	s_clause 0x1
	s_load_b256 s[4:11], s[0:1], 0x1c
	s_load_b128 s[16:19], s[0:1], 0x3c
	s_waitcnt lgkmcnt(0)
	s_mul_hi_u32 s2, s7, s13
	s_delay_alu instid0(SALU_CYCLE_1) | instskip(NEXT) | instid1(SALU_CYCLE_1)
	s_add_i32 s2, s13, s2
	s_lshr_b32 s2, s2, s8
	s_delay_alu instid0(SALU_CYCLE_1) | instskip(SKIP_2) | instid1(SALU_CYCLE_1)
	s_mul_i32 s3, s2, s9
	s_load_b64 s[8:9], s[0:1], 0x10
	s_sub_i32 s3, s13, s3
	s_mul_hi_u32 s7, s3, s10
	s_delay_alu instid0(SALU_CYCLE_1) | instskip(NEXT) | instid1(SALU_CYCLE_1)
	s_add_i32 s7, s3, s7
	s_lshr_b32 s7, s7, s11
	s_delay_alu instid0(SALU_CYCLE_1) | instskip(NEXT) | instid1(SALU_CYCLE_1)
	s_mul_i32 s10, s7, s16
	s_sub_i32 s3, s3, s10
	s_delay_alu instid0(SALU_CYCLE_1) | instskip(NEXT) | instid1(SALU_CYCLE_1)
	s_mul_hi_u32 s10, s3, s17
	s_add_i32 s10, s3, s10
	s_delay_alu instid0(SALU_CYCLE_1) | instskip(NEXT) | instid1(SALU_CYCLE_1)
	s_lshr_b32 s11, s10, s18
	s_mul_i32 s10, s11, s19
	s_lshl_b32 s11, s11, 3
	s_sub_i32 s10, s3, s10
	s_delay_alu instid0(SALU_CYCLE_1) | instskip(NEXT) | instid1(SALU_CYCLE_1)
	s_lshl_b32 s3, s10, 1
	s_add_i32 s3, s3, s14
	s_waitcnt lgkmcnt(0)
	s_cmp_lt_i32 s3, s8
	s_cselect_b32 s3, -1, 0
	s_add_i32 s11, s11, s15
	s_delay_alu instid0(SALU_CYCLE_1) | instskip(SKIP_1) | instid1(SALU_CYCLE_1)
	s_cmp_lt_i32 s11, s5
	s_cselect_b32 s12, -1, 0
	s_and_b32 s3, s3, s12
	s_delay_alu instid0(SALU_CYCLE_1)
	s_and_not1_b32 vcc_lo, exec_lo, s3
	s_cbranch_vccnz .LBB11_6
; %bb.1:
	s_mul_i32 s8, s2, s8
	s_mul_i32 s7, s7, s5
	s_add_i32 s8, s8, s14
	s_add_i32 s5, s11, s7
	s_mul_i32 s8, s8, s9
	s_load_b128 s[0:3], s[0:1], 0x0
	s_mul_i32 s7, s9, s10
	s_add_i32 s5, s5, s8
	s_mulk_i32 s7, 0xa0
	s_mulk_i32 s5, 0x50
	s_lshl_b32 s9, s14, 3
	v_add3_u32 v1, s5, s7, v0
	s_mul_i32 s5, s13, s6
	s_delay_alu instid0(SALU_CYCLE_1) | instskip(NEXT) | instid1(VALU_DEP_1)
	s_add_i32 s10, s5, s6
	v_ashrrev_i32_e32 v2, 31, v1
	s_delay_alu instid0(VALU_DEP_1) | instskip(SKIP_1) | instid1(VALU_DEP_1)
	v_lshlrev_b64 v[1:2], 2, v[1:2]
	s_waitcnt lgkmcnt(0)
	v_add_co_u32 v1, vcc_lo, s0, v1
	s_delay_alu instid0(VALU_DEP_2) | instskip(SKIP_4) | instid1(SALU_CYCLE_1)
	v_add_co_ci_u32_e32 v2, vcc_lo, s1, v2, vcc_lo
	s_add_i32 s0, s9, s15
	s_lshl_b32 s1, s10, 4
	global_load_b32 v5, v[1:2], off
	s_add_i32 s0, s0, s1
	s_add_i32 s0, s0, -16
	s_delay_alu instid0(SALU_CYCLE_1) | instskip(NEXT) | instid1(SALU_CYCLE_1)
	s_ashr_i32 s1, s0, 31
	s_lshl_b64 s[0:1], s[0:1], 3
	s_delay_alu instid0(SALU_CYCLE_1)
	s_add_u32 s0, s2, s0
	s_addc_u32 s1, s3, s1
	s_add_i32 s7, s10, -2
	s_load_b32 s11, s[0:1], 0x4
	s_cmp_lt_i32 s7, s5
	s_cbranch_scc1 .LBB11_4
; %bb.2:
	s_load_b32 s12, s[0:1], 0x0
	s_lshl_b32 s16, s4, 6
	s_mulk_i32 s14, 0x280
	s_ashr_i32 s17, s16, 31
	s_waitcnt lgkmcnt(0)
	v_mov_b32_e32 v6, s11
	s_lshl_b64 s[0:1], s[16:17], 2
	s_delay_alu instid0(SALU_CYCLE_1)
	s_add_u32 s7, s2, s0
	s_addc_u32 s8, s3, s1
	s_add_i32 s13, s13, 1
	s_lshl_b32 s4, s4, 4
	s_mul_i32 s0, s6, s13
	s_mul_i32 s6, s15, 0x50
	s_lshl_b32 s1, s0, 4
	s_mulk_i32 s0, 0x500
	s_add_i32 s6, s6, s14
	s_add_i32 s1, s15, s1
	;; [unrolled: 1-line block ×4, first 2 shown]
	v_add3_u32 v3, s6, v0, 0xfffff600
	v_mov_b32_e32 v0, s12
	s_add_i32 s0, s0, s9
	s_add_i32 s4, s10, -1
	s_sub_i32 s0, s0, 32
.LBB11_3:                               ; =>This Inner Loop Header: Depth=1
	s_delay_alu instid0(VALU_DEP_2) | instskip(SKIP_1) | instid1(SALU_CYCLE_1)
	v_ashrrev_i32_e32 v4, 31, v3
	s_ashr_i32 s1, s0, 31
	s_lshl_b64 s[10:11], s[0:1], 3
	s_delay_alu instid0(SALU_CYCLE_1) | instskip(NEXT) | instid1(VALU_DEP_1)
	s_add_u32 s10, s2, s10
	v_lshlrev_b64 v[7:8], 2, v[3:4]
	s_addc_u32 s11, s3, s11
	s_add_i32 s4, s4, -1
	s_add_i32 s0, s0, -16
	s_cmp_le_i32 s4, s5
	s_load_b64 s[10:11], s[10:11], 0x0
	v_add_co_u32 v7, vcc_lo, s7, v7
	v_add_co_ci_u32_e32 v8, vcc_lo, s8, v8, vcc_lo
	global_load_b32 v4, v[7:8], off
	v_max_f32_e32 v7, v0, v0
	s_waitcnt lgkmcnt(0)
	v_max_f32_e64 v8, s10, s10
	s_delay_alu instid0(VALU_DEP_1) | instskip(NEXT) | instid1(VALU_DEP_1)
	v_max_f32_e32 v7, v7, v8
	v_sub_f32_e32 v8, s10, v7
	s_delay_alu instid0(VALU_DEP_1) | instskip(NEXT) | instid1(VALU_DEP_1)
	v_dual_sub_f32 v0, v0, v7 :: v_dual_mul_f32 v9, 0x3fb8aa3b, v8
	v_fma_f32 v10, 0x3fb8aa3b, v8, -v9
	v_rndne_f32_e32 v11, v9
	s_delay_alu instid0(VALU_DEP_3) | instskip(NEXT) | instid1(VALU_DEP_2)
	v_mul_f32_e32 v12, 0x3fb8aa3b, v0
	v_dual_fmac_f32 v10, 0x32a5705f, v8 :: v_dual_sub_f32 v9, v9, v11
	v_cvt_i32_f32_e32 v11, v11
	s_delay_alu instid0(VALU_DEP_3) | instskip(SKIP_1) | instid1(VALU_DEP_4)
	v_fma_f32 v13, 0x3fb8aa3b, v0, -v12
	v_rndne_f32_e32 v14, v12
	v_add_f32_e32 v9, v9, v10
	v_cmp_ngt_f32_e32 vcc_lo, 0xc2ce8ed0, v8
	s_delay_alu instid0(VALU_DEP_3) | instskip(NEXT) | instid1(VALU_DEP_3)
	v_sub_f32_e32 v10, v12, v14
	v_exp_f32_e32 v9, v9
	s_waitcnt_depctr 0xfff
	v_ldexp_f32 v9, v9, v11
	v_cvt_i32_f32_e32 v11, v14
	s_delay_alu instid0(VALU_DEP_2) | instskip(SKIP_1) | instid1(VALU_DEP_2)
	v_cndmask_b32_e32 v9, 0, v9, vcc_lo
	v_cmp_nlt_f32_e32 vcc_lo, 0x42b17218, v8
	v_cndmask_b32_e32 v9, 0x7f800000, v9, vcc_lo
	v_cmp_ngt_f32_e32 vcc_lo, 0xc2ce8ed0, v0
	v_fmac_f32_e32 v13, 0x32a5705f, v0
	s_delay_alu instid0(VALU_DEP_1) | instskip(NEXT) | instid1(VALU_DEP_1)
	v_add_f32_e32 v10, v10, v13
	v_exp_f32_e32 v10, v10
	s_waitcnt_depctr 0xfff
	v_ldexp_f32 v10, v10, v11
	s_delay_alu instid0(VALU_DEP_1)
	v_dual_mov_b32 v11, v6 :: v_dual_cndmask_b32 v10, 0, v10
	v_cmp_le_f32_e32 vcc_lo, 0xc1a00000, v8
	s_waitcnt vmcnt(1)
	v_dual_cndmask_b32 v8, 0, v9 :: v_dual_mov_b32 v9, v5
	v_cmp_nlt_f32_e32 vcc_lo, 0x42b17218, v0
	v_cndmask_b32_e32 v5, 0x7f800000, v10, vcc_lo
	s_delay_alu instid0(VALU_DEP_3) | instskip(SKIP_2) | instid1(VALU_DEP_3)
	v_mul_f32_e32 v10, s11, v8
	v_cmp_le_f32_e32 vcc_lo, 0xc1a00000, v0
	v_mov_b32_e32 v0, v7
	v_mov_b32_e32 v6, v10
	s_waitcnt vmcnt(0)
	v_dual_cndmask_b32 v12, 0, v5 :: v_dual_mul_f32 v5, v4, v8
	s_delay_alu instid0(VALU_DEP_1) | instskip(NEXT) | instid1(VALU_DEP_2)
	v_dual_fmac_f32 v6, v11, v12 :: v_dual_add_nc_u32 v3, 0xfffffb00, v3
	v_fmac_f32_e32 v5, v9, v12
	s_cbranch_scc0 .LBB11_3
	s_branch .LBB11_5
.LBB11_4:
	s_waitcnt lgkmcnt(0)
	v_mov_b32_e32 v6, s11
.LBB11_5:
	s_waitcnt vmcnt(0)
	s_delay_alu instid0(VALU_DEP_1) | instskip(NEXT) | instid1(VALU_DEP_1)
	v_div_scale_f32 v0, null, v6, v6, v5
	v_rcp_f32_e32 v3, v0
	s_waitcnt_depctr 0xfff
	v_fma_f32 v4, -v0, v3, 1.0
	s_delay_alu instid0(VALU_DEP_1) | instskip(SKIP_1) | instid1(VALU_DEP_1)
	v_fmac_f32_e32 v3, v4, v3
	v_div_scale_f32 v4, vcc_lo, v5, v6, v5
	v_mul_f32_e32 v7, v4, v3
	s_delay_alu instid0(VALU_DEP_1) | instskip(NEXT) | instid1(VALU_DEP_1)
	v_fma_f32 v8, -v0, v7, v4
	v_fmac_f32_e32 v7, v8, v3
	s_delay_alu instid0(VALU_DEP_1) | instskip(NEXT) | instid1(VALU_DEP_1)
	v_fma_f32 v0, -v0, v7, v4
	v_div_fmas_f32 v0, v0, v3, v7
	s_delay_alu instid0(VALU_DEP_1)
	v_div_fixup_f32 v0, v0, v6, v5
	global_store_b32 v[1:2], v0, off
.LBB11_6:
	s_nop 0
	s_sendmsg sendmsg(MSG_DEALLOC_VGPRS)
	s_endpgm
	.section	.rodata,"a",@progbits
	.p2align	6, 0x0
	.amdhsa_kernel _ZL33flash_attn_stream_k_fixup_uniformILi80ELi2ELi8EEvPfPK15HIP_vector_typeIfLj2EEiiiiiiS1_IjLj3EES5_S5_
		.amdhsa_group_segment_fixed_size 0
		.amdhsa_private_segment_fixed_size 0
		.amdhsa_kernarg_size 76
		.amdhsa_user_sgpr_count 13
		.amdhsa_user_sgpr_dispatch_ptr 0
		.amdhsa_user_sgpr_queue_ptr 0
		.amdhsa_user_sgpr_kernarg_segment_ptr 1
		.amdhsa_user_sgpr_dispatch_id 0
		.amdhsa_user_sgpr_private_segment_size 0
		.amdhsa_wavefront_size32 1
		.amdhsa_uses_dynamic_stack 0
		.amdhsa_enable_private_segment 0
		.amdhsa_system_sgpr_workgroup_id_x 1
		.amdhsa_system_sgpr_workgroup_id_y 1
		.amdhsa_system_sgpr_workgroup_id_z 1
		.amdhsa_system_sgpr_workgroup_info 0
		.amdhsa_system_vgpr_workitem_id 0
		.amdhsa_next_free_vgpr 15
		.amdhsa_next_free_sgpr 20
		.amdhsa_reserve_vcc 1
		.amdhsa_float_round_mode_32 0
		.amdhsa_float_round_mode_16_64 0
		.amdhsa_float_denorm_mode_32 3
		.amdhsa_float_denorm_mode_16_64 3
		.amdhsa_dx10_clamp 1
		.amdhsa_ieee_mode 1
		.amdhsa_fp16_overflow 0
		.amdhsa_workgroup_processor_mode 1
		.amdhsa_memory_ordered 1
		.amdhsa_forward_progress 0
		.amdhsa_shared_vgpr_count 0
		.amdhsa_exception_fp_ieee_invalid_op 0
		.amdhsa_exception_fp_denorm_src 0
		.amdhsa_exception_fp_ieee_div_zero 0
		.amdhsa_exception_fp_ieee_overflow 0
		.amdhsa_exception_fp_ieee_underflow 0
		.amdhsa_exception_fp_ieee_inexact 0
		.amdhsa_exception_int_div_zero 0
	.end_amdhsa_kernel
	.section	.text._ZL33flash_attn_stream_k_fixup_uniformILi80ELi2ELi8EEvPfPK15HIP_vector_typeIfLj2EEiiiiiiS1_IjLj3EES5_S5_,"axG",@progbits,_ZL33flash_attn_stream_k_fixup_uniformILi80ELi2ELi8EEvPfPK15HIP_vector_typeIfLj2EEiiiiiiS1_IjLj3EES5_S5_,comdat
.Lfunc_end11:
	.size	_ZL33flash_attn_stream_k_fixup_uniformILi80ELi2ELi8EEvPfPK15HIP_vector_typeIfLj2EEiiiiiiS1_IjLj3EES5_S5_, .Lfunc_end11-_ZL33flash_attn_stream_k_fixup_uniformILi80ELi2ELi8EEvPfPK15HIP_vector_typeIfLj2EEiiiiiiS1_IjLj3EES5_S5_
                                        ; -- End function
	.section	.AMDGPU.csdata,"",@progbits
; Kernel info:
; codeLenInByte = 992
; NumSgprs: 22
; NumVgprs: 15
; ScratchSize: 0
; MemoryBound: 0
; FloatMode: 240
; IeeeMode: 1
; LDSByteSize: 0 bytes/workgroup (compile time only)
; SGPRBlocks: 2
; VGPRBlocks: 1
; NumSGPRsForWavesPerEU: 22
; NumVGPRsForWavesPerEU: 15
; Occupancy: 16
; WaveLimiterHint : 0
; COMPUTE_PGM_RSRC2:SCRATCH_EN: 0
; COMPUTE_PGM_RSRC2:USER_SGPR: 13
; COMPUTE_PGM_RSRC2:TRAP_HANDLER: 0
; COMPUTE_PGM_RSRC2:TGID_X_EN: 1
; COMPUTE_PGM_RSRC2:TGID_Y_EN: 1
; COMPUTE_PGM_RSRC2:TGID_Z_EN: 1
; COMPUTE_PGM_RSRC2:TIDIG_COMP_CNT: 0
	.section	.text._ZL33flash_attn_stream_k_fixup_generalILi80ELi2ELi8EEvPfPK15HIP_vector_typeIfLj2EEiiiiS1_IjLj3EES5_S5_S5_,"axG",@progbits,_ZL33flash_attn_stream_k_fixup_generalILi80ELi2ELi8EEvPfPK15HIP_vector_typeIfLj2EEiiiiS1_IjLj3EES5_S5_S5_,comdat
	.globl	_ZL33flash_attn_stream_k_fixup_generalILi80ELi2ELi8EEvPfPK15HIP_vector_typeIfLj2EEiiiiS1_IjLj3EES5_S5_S5_ ; -- Begin function _ZL33flash_attn_stream_k_fixup_generalILi80ELi2ELi8EEvPfPK15HIP_vector_typeIfLj2EEiiiiS1_IjLj3EES5_S5_S5_
	.p2align	8
	.type	_ZL33flash_attn_stream_k_fixup_generalILi80ELi2ELi8EEvPfPK15HIP_vector_typeIfLj2EEiiiiS1_IjLj3EES5_S5_S5_,@function
_ZL33flash_attn_stream_k_fixup_generalILi80ELi2ELi8EEvPfPK15HIP_vector_typeIfLj2EEiiiiS1_IjLj3EES5_S5_S5_: ; @_ZL33flash_attn_stream_k_fixup_generalILi80ELi2ELi8EEvPfPK15HIP_vector_typeIfLj2EEiiiiS1_IjLj3EES5_S5_S5_
; %bb.0:
	s_clause 0x1
	s_load_b128 s[4:7], s[0:1], 0x10
	s_load_b32 s20, s[0:1], 0x50
	s_mov_b32 s2, 0
	s_waitcnt lgkmcnt(0)
	s_mul_hi_i32 s3, s7, s13
	s_mul_i32 s12, s7, s13
	s_cmp_lg_u64 s[2:3], 0
	s_cbranch_scc0 .LBB12_21
; %bb.1:
	v_cvt_f32_ubyte0_e32 v1, 0
	v_cvt_f32_u32_e32 v2, s20
	s_sub_u32 s10, 0, s20
	s_subb_u32 s11, 0, 0
	s_delay_alu instid0(VALU_DEP_1) | instskip(NEXT) | instid1(VALU_DEP_1)
	v_fmamk_f32 v1, v1, 0x4f800000, v2
	v_rcp_f32_e32 v1, v1
	s_waitcnt_depctr 0xfff
	v_mul_f32_e32 v1, 0x5f7ffffc, v1
	s_delay_alu instid0(VALU_DEP_1) | instskip(NEXT) | instid1(VALU_DEP_1)
	v_mul_f32_e32 v2, 0x2f800000, v1
	v_trunc_f32_e32 v2, v2
	s_delay_alu instid0(VALU_DEP_1) | instskip(SKIP_1) | instid1(VALU_DEP_2)
	v_fmamk_f32 v1, v2, 0xcf800000, v1
	v_cvt_u32_f32_e32 v2, v2
	v_cvt_u32_f32_e32 v1, v1
	s_delay_alu instid0(VALU_DEP_2) | instskip(NEXT) | instid1(VALU_DEP_2)
	v_readfirstlane_b32 s8, v2
	v_readfirstlane_b32 s9, v1
	s_delay_alu instid0(VALU_DEP_2) | instskip(NEXT) | instid1(VALU_DEP_1)
	s_mul_i32 s16, s10, s8
	s_mul_hi_u32 s18, s10, s9
	s_mul_i32 s17, s11, s9
	s_add_i32 s16, s18, s16
	s_mul_i32 s19, s10, s9
	s_add_i32 s16, s16, s17
	s_mul_hi_u32 s18, s9, s19
	s_mul_hi_u32 s21, s8, s19
	s_mul_i32 s17, s8, s19
	s_mul_hi_u32 s19, s9, s16
	s_mul_i32 s9, s9, s16
	s_mul_hi_u32 s22, s8, s16
	s_add_u32 s9, s18, s9
	s_addc_u32 s18, 0, s19
	s_add_u32 s9, s9, s17
	s_mul_i32 s16, s8, s16
	s_addc_u32 s9, s18, s21
	s_addc_u32 s17, s22, 0
	s_add_u32 s9, s9, s16
	s_addc_u32 s16, 0, s17
	v_add_co_u32 v1, s9, v1, s9
	s_delay_alu instid0(VALU_DEP_1) | instskip(SKIP_1) | instid1(VALU_DEP_1)
	s_cmp_lg_u32 s9, 0
	s_addc_u32 s8, s8, s16
	v_readfirstlane_b32 s9, v1
	s_mul_i32 s16, s10, s8
	s_delay_alu instid0(VALU_DEP_1)
	s_mul_hi_u32 s17, s10, s9
	s_mul_i32 s11, s11, s9
	s_add_i32 s16, s17, s16
	s_mul_i32 s10, s10, s9
	s_add_i32 s16, s16, s11
	s_mul_hi_u32 s17, s8, s10
	s_mul_i32 s18, s8, s10
	s_mul_hi_u32 s10, s9, s10
	s_mul_hi_u32 s19, s9, s16
	s_mul_i32 s9, s9, s16
	s_mul_hi_u32 s11, s8, s16
	s_add_u32 s9, s10, s9
	s_addc_u32 s10, 0, s19
	s_add_u32 s9, s9, s18
	s_mul_i32 s16, s8, s16
	s_addc_u32 s9, s10, s17
	s_addc_u32 s10, s11, 0
	s_add_u32 s9, s9, s16
	s_addc_u32 s10, 0, s10
	v_add_co_u32 v1, s9, v1, s9
	s_delay_alu instid0(VALU_DEP_1) | instskip(SKIP_2) | instid1(SALU_CYCLE_1)
	s_cmp_lg_u32 s9, 0
	s_addc_u32 s16, s8, s10
	s_ashr_i32 s8, s3, 31
	s_add_u32 s10, s12, s8
	s_addc_u32 s11, s3, s8
	v_readfirstlane_b32 s3, v1
	s_mov_b32 s9, s8
	s_delay_alu instid0(SALU_CYCLE_1) | instskip(NEXT) | instid1(SALU_CYCLE_1)
	s_xor_b64 s[10:11], s[10:11], s[8:9]
	s_mul_i32 s18, s10, s16
	s_delay_alu instid0(VALU_DEP_1)
	s_mul_hi_u32 s19, s10, s3
	s_mul_hi_u32 s17, s10, s16
	;; [unrolled: 1-line block ×3, first 2 shown]
	s_mul_i32 s3, s11, s3
	s_add_u32 s18, s19, s18
	s_addc_u32 s17, 0, s17
	s_mul_hi_u32 s21, s11, s16
	s_add_u32 s3, s18, s3
	s_mul_i32 s16, s11, s16
	s_addc_u32 s3, s17, s22
	s_addc_u32 s17, s21, 0
	s_add_u32 s3, s3, s16
	s_addc_u32 s16, 0, s17
	s_mul_i32 s18, s20, s3
	s_add_u32 s17, s3, 1
	v_sub_co_u32 v1, s10, s10, s18
	s_mul_hi_u32 s18, s20, s3
	s_addc_u32 s19, s16, 0
	s_mul_i32 s21, s20, s16
	s_delay_alu instid0(VALU_DEP_1)
	v_sub_co_u32 v2, s22, v1, s20
	s_add_u32 s23, s3, 2
	s_addc_u32 s24, s16, 0
	s_add_i32 s18, s18, s21
	s_cmp_lg_u32 s10, 0
	v_readfirstlane_b32 s10, v2
	s_subb_u32 s11, s11, s18
	s_cmp_lg_u32 s22, 0
	s_subb_u32 s18, s11, 0
	s_delay_alu instid0(VALU_DEP_1) | instskip(SKIP_4) | instid1(SALU_CYCLE_1)
	s_cmp_ge_u32 s10, s20
	s_cselect_b32 s10, -1, 0
	s_cmp_eq_u32 s18, 0
	v_readfirstlane_b32 s18, v1
	s_cselect_b32 s10, s10, -1
	s_cmp_lg_u32 s10, 0
	s_cselect_b32 s10, s23, s17
	s_cselect_b32 s17, s24, s19
	s_cmp_ge_u32 s18, s20
	s_cselect_b32 s18, -1, 0
	s_cmp_eq_u32 s11, 0
	s_cselect_b32 s11, s18, -1
	s_delay_alu instid0(SALU_CYCLE_1) | instskip(SKIP_2) | instid1(SALU_CYCLE_1)
	s_cmp_lg_u32 s11, 0
	s_cselect_b32 s11, s17, s16
	s_cselect_b32 s10, s10, s3
	s_xor_b64 s[10:11], s[10:11], s[8:9]
	s_delay_alu instid0(SALU_CYCLE_1)
	s_sub_u32 s16, s10, s8
	s_load_b128 s[8:11], s[0:1], 0x44
	s_and_not1_b32 vcc_lo, exec_lo, s2
	s_cbranch_vccnz .LBB12_3
.LBB12_2:
	v_cvt_f32_u32_e32 v1, s20
	s_sub_i32 s3, 0, s20
	s_delay_alu instid0(VALU_DEP_1) | instskip(SKIP_2) | instid1(VALU_DEP_1)
	v_rcp_iflag_f32_e32 v1, v1
	s_waitcnt_depctr 0xfff
	v_mul_f32_e32 v1, 0x4f7ffffe, v1
	v_cvt_u32_f32_e32 v1, v1
	s_delay_alu instid0(VALU_DEP_1) | instskip(NEXT) | instid1(VALU_DEP_1)
	v_readfirstlane_b32 s2, v1
	s_mul_i32 s3, s3, s2
	s_delay_alu instid0(SALU_CYCLE_1) | instskip(NEXT) | instid1(SALU_CYCLE_1)
	s_mul_hi_u32 s3, s2, s3
	s_add_i32 s2, s2, s3
	s_delay_alu instid0(SALU_CYCLE_1) | instskip(NEXT) | instid1(SALU_CYCLE_1)
	s_mul_hi_u32 s2, s12, s2
	s_mul_i32 s3, s2, s20
	s_waitcnt lgkmcnt(0)
	s_add_i32 s11, s2, 1
	s_sub_i32 s3, s12, s3
	s_delay_alu instid0(SALU_CYCLE_1)
	s_sub_i32 s12, s3, s20
	s_cmp_ge_u32 s3, s20
	s_cselect_b32 s2, s11, s2
	s_cselect_b32 s3, s12, s3
	s_add_i32 s11, s2, 1
	s_cmp_ge_u32 s3, s20
	s_cselect_b32 s16, s11, s2
.LBB12_3:
	s_waitcnt lgkmcnt(0)
	s_add_i32 s11, s13, 1
	s_mov_b32 s2, 0
	s_mul_hi_i32 s3, s7, s11
	s_mul_i32 s11, s7, s11
	s_cmp_lg_u64 s[2:3], 0
	s_cbranch_scc0 .LBB12_22
; %bb.4:
	v_cvt_f32_ubyte0_e32 v1, 0
	v_cvt_f32_u32_e32 v2, s20
	s_sub_u32 s18, 0, s20
	s_subb_u32 s19, 0, 0
	s_delay_alu instid0(VALU_DEP_1) | instskip(NEXT) | instid1(VALU_DEP_1)
	v_fmamk_f32 v1, v1, 0x4f800000, v2
	v_rcp_f32_e32 v1, v1
	s_waitcnt_depctr 0xfff
	v_mul_f32_e32 v1, 0x5f7ffffc, v1
	s_delay_alu instid0(VALU_DEP_1) | instskip(NEXT) | instid1(VALU_DEP_1)
	v_mul_f32_e32 v2, 0x2f800000, v1
	v_trunc_f32_e32 v2, v2
	s_delay_alu instid0(VALU_DEP_1) | instskip(SKIP_1) | instid1(VALU_DEP_2)
	v_fmamk_f32 v1, v2, 0xcf800000, v1
	v_cvt_u32_f32_e32 v2, v2
	v_cvt_u32_f32_e32 v1, v1
	s_delay_alu instid0(VALU_DEP_2) | instskip(NEXT) | instid1(VALU_DEP_2)
	v_readfirstlane_b32 s12, v2
	v_readfirstlane_b32 s17, v1
	s_delay_alu instid0(VALU_DEP_2) | instskip(NEXT) | instid1(VALU_DEP_1)
	s_mul_i32 s21, s18, s12
	s_mul_hi_u32 s23, s18, s17
	s_mul_i32 s22, s19, s17
	s_add_i32 s21, s23, s21
	s_mul_i32 s24, s18, s17
	s_add_i32 s21, s21, s22
	s_mul_hi_u32 s23, s17, s24
	s_mul_hi_u32 s25, s12, s24
	s_mul_i32 s22, s12, s24
	s_mul_hi_u32 s24, s17, s21
	s_mul_i32 s17, s17, s21
	s_mul_hi_u32 s26, s12, s21
	s_add_u32 s17, s23, s17
	s_addc_u32 s23, 0, s24
	s_add_u32 s17, s17, s22
	s_mul_i32 s21, s12, s21
	s_addc_u32 s17, s23, s25
	s_addc_u32 s22, s26, 0
	s_add_u32 s17, s17, s21
	s_addc_u32 s21, 0, s22
	v_add_co_u32 v1, s17, v1, s17
	s_delay_alu instid0(VALU_DEP_1) | instskip(SKIP_1) | instid1(VALU_DEP_1)
	s_cmp_lg_u32 s17, 0
	s_addc_u32 s12, s12, s21
	v_readfirstlane_b32 s17, v1
	s_mul_i32 s21, s18, s12
	s_delay_alu instid0(VALU_DEP_1)
	s_mul_hi_u32 s22, s18, s17
	s_mul_i32 s19, s19, s17
	s_add_i32 s21, s22, s21
	s_mul_i32 s18, s18, s17
	s_add_i32 s21, s21, s19
	s_mul_hi_u32 s22, s12, s18
	s_mul_i32 s23, s12, s18
	s_mul_hi_u32 s18, s17, s18
	s_mul_hi_u32 s24, s17, s21
	s_mul_i32 s17, s17, s21
	s_mul_hi_u32 s19, s12, s21
	s_add_u32 s17, s18, s17
	s_addc_u32 s18, 0, s24
	s_add_u32 s17, s17, s23
	s_mul_i32 s21, s12, s21
	s_addc_u32 s17, s18, s22
	s_addc_u32 s18, s19, 0
	s_add_u32 s17, s17, s21
	s_addc_u32 s18, 0, s18
	v_add_co_u32 v1, s17, v1, s17
	s_delay_alu instid0(VALU_DEP_1) | instskip(SKIP_2) | instid1(SALU_CYCLE_1)
	s_cmp_lg_u32 s17, 0
	s_addc_u32 s12, s12, s18
	s_ashr_i32 s18, s3, 31
	s_add_u32 s22, s11, s18
	s_addc_u32 s23, s3, s18
	v_readfirstlane_b32 s3, v1
	s_mov_b32 s19, s18
	s_delay_alu instid0(SALU_CYCLE_1) | instskip(NEXT) | instid1(SALU_CYCLE_1)
	s_xor_b64 s[22:23], s[22:23], s[18:19]
	s_mul_i32 s21, s22, s12
	s_delay_alu instid0(VALU_DEP_1)
	s_mul_hi_u32 s24, s22, s3
	s_mul_hi_u32 s17, s22, s12
	s_mul_hi_u32 s26, s23, s3
	s_mul_i32 s3, s23, s3
	s_add_u32 s21, s24, s21
	s_addc_u32 s17, 0, s17
	s_mul_hi_u32 s25, s23, s12
	s_add_u32 s3, s21, s3
	s_mul_i32 s12, s23, s12
	s_addc_u32 s3, s17, s26
	s_addc_u32 s17, s25, 0
	s_add_u32 s3, s3, s12
	s_addc_u32 s12, 0, s17
	s_mul_i32 s21, s20, s3
	s_add_u32 s17, s3, 1
	v_sub_co_u32 v1, s21, s22, s21
	s_mul_hi_u32 s22, s20, s3
	s_addc_u32 s24, s12, 0
	s_mul_i32 s25, s20, s12
	s_delay_alu instid0(VALU_DEP_1)
	v_sub_co_u32 v2, s26, v1, s20
	s_add_u32 s27, s3, 2
	s_addc_u32 s28, s12, 0
	s_add_i32 s22, s22, s25
	s_cmp_lg_u32 s21, 0
	v_readfirstlane_b32 s21, v2
	s_subb_u32 s22, s23, s22
	s_cmp_lg_u32 s26, 0
	s_subb_u32 s23, s22, 0
	s_delay_alu instid0(VALU_DEP_1) | instskip(SKIP_4) | instid1(SALU_CYCLE_1)
	s_cmp_ge_u32 s21, s20
	s_cselect_b32 s21, -1, 0
	s_cmp_eq_u32 s23, 0
	v_readfirstlane_b32 s23, v1
	s_cselect_b32 s21, s21, -1
	s_cmp_lg_u32 s21, 0
	s_cselect_b32 s17, s27, s17
	s_cselect_b32 s21, s28, s24
	s_cmp_ge_u32 s23, s20
	s_cselect_b32 s23, -1, 0
	s_cmp_eq_u32 s22, 0
	s_cselect_b32 s22, s23, -1
	s_delay_alu instid0(SALU_CYCLE_1) | instskip(SKIP_2) | instid1(SALU_CYCLE_1)
	s_cmp_lg_u32 s22, 0
	s_cselect_b32 s23, s21, s12
	s_cselect_b32 s22, s17, s3
	s_xor_b64 s[22:23], s[22:23], s[18:19]
	s_delay_alu instid0(SALU_CYCLE_1)
	s_sub_u32 s18, s22, s18
	s_and_not1_b32 vcc_lo, exec_lo, s2
	s_cbranch_vccnz .LBB12_6
.LBB12_5:
	v_cvt_f32_u32_e32 v1, s20
	s_sub_i32 s3, 0, s20
	s_delay_alu instid0(VALU_DEP_1) | instskip(SKIP_2) | instid1(VALU_DEP_1)
	v_rcp_iflag_f32_e32 v1, v1
	s_waitcnt_depctr 0xfff
	v_mul_f32_e32 v1, 0x4f7ffffe, v1
	v_cvt_u32_f32_e32 v1, v1
	s_delay_alu instid0(VALU_DEP_1) | instskip(NEXT) | instid1(VALU_DEP_1)
	v_readfirstlane_b32 s2, v1
	s_mul_i32 s3, s3, s2
	s_delay_alu instid0(SALU_CYCLE_1) | instskip(NEXT) | instid1(SALU_CYCLE_1)
	s_mul_hi_u32 s3, s2, s3
	s_add_i32 s2, s2, s3
	s_delay_alu instid0(SALU_CYCLE_1) | instskip(NEXT) | instid1(SALU_CYCLE_1)
	s_mul_hi_u32 s2, s11, s2
	s_mul_i32 s3, s2, s20
	s_delay_alu instid0(SALU_CYCLE_1)
	s_sub_i32 s3, s11, s3
	s_add_i32 s11, s2, 1
	s_sub_i32 s12, s3, s20
	s_cmp_ge_u32 s3, s20
	s_cselect_b32 s2, s11, s2
	s_cselect_b32 s3, s12, s3
	s_add_i32 s11, s2, 1
	s_cmp_ge_u32 s3, s20
	s_cselect_b32 s18, s11, s2
.LBB12_6:
	s_delay_alu instid0(SALU_CYCLE_1) | instskip(SKIP_3) | instid1(SALU_CYCLE_1)
	s_cmp_eq_u32 s16, s18
	s_mul_hi_u32 s2, s16, s8
	s_cselect_b32 s3, -1, 0
	s_add_i32 s2, s2, s16
	s_lshr_b32 s11, s2, s9
	s_delay_alu instid0(SALU_CYCLE_1) | instskip(NEXT) | instid1(SALU_CYCLE_1)
	s_mul_i32 s2, s11, s10
	s_cmp_eq_u32 s2, s16
	s_mul_hi_u32 s2, s18, s8
	s_cselect_b32 s12, -1, 0
	s_add_i32 s2, s2, s18
	s_delay_alu instid0(SALU_CYCLE_1) | instskip(NEXT) | instid1(SALU_CYCLE_1)
	s_lshr_b32 s2, s2, s9
	s_cmp_eq_u32 s11, s2
	s_mul_i32 s2, s2, s10
	s_cselect_b32 s17, -1, 0
	s_cmp_lg_u32 s2, s18
	s_cselect_b32 s2, -1, 0
	s_or_b32 s3, s3, s12
	s_and_b32 s2, s17, s2
	s_delay_alu instid0(SALU_CYCLE_1) | instskip(NEXT) | instid1(SALU_CYCLE_1)
	s_or_b32 s2, s3, s2
	s_and_b32 vcc_lo, exec_lo, s2
	s_cbranch_vccnz .LBB12_24
; %bb.7:
	s_load_b256 s[24:31], s[0:1], 0x20
	s_waitcnt lgkmcnt(0)
	s_mul_hi_u32 s2, s16, s24
	s_delay_alu instid0(SALU_CYCLE_1) | instskip(NEXT) | instid1(SALU_CYCLE_1)
	s_add_i32 s2, s2, s16
	s_lshr_b32 s17, s2, s25
	s_load_b32 s2, s[0:1], 0x40
	s_mul_i32 s3, s17, s26
	s_delay_alu instid0(SALU_CYCLE_1) | instskip(NEXT) | instid1(SALU_CYCLE_1)
	s_sub_i32 s3, s16, s3
	s_mul_hi_u32 s12, s3, s27
	s_delay_alu instid0(SALU_CYCLE_1) | instskip(NEXT) | instid1(SALU_CYCLE_1)
	s_add_i32 s12, s3, s12
	s_lshr_b32 s19, s12, s28
	s_delay_alu instid0(SALU_CYCLE_1) | instskip(NEXT) | instid1(SALU_CYCLE_1)
	s_mul_i32 s12, s19, s29
	s_sub_i32 s3, s3, s12
	s_delay_alu instid0(SALU_CYCLE_1) | instskip(NEXT) | instid1(SALU_CYCLE_1)
	s_mul_hi_u32 s12, s3, s30
	s_add_i32 s12, s3, s12
	s_delay_alu instid0(SALU_CYCLE_1)
	s_lshr_b32 s12, s12, s31
	s_waitcnt lgkmcnt(0)
	s_mul_i32 s2, s12, s2
	s_lshl_b32 s21, s12, 3
	s_sub_i32 s2, s3, s2
	s_mov_b32 s12, 0
	s_mul_hi_u32 s3, s2, s8
	s_delay_alu instid0(SALU_CYCLE_1) | instskip(NEXT) | instid1(SALU_CYCLE_1)
	s_add_i32 s2, s2, s3
	s_lshr_b32 s18, s2, s9
	s_delay_alu instid0(SALU_CYCLE_1) | instskip(NEXT) | instid1(SALU_CYCLE_1)
	s_lshl_b32 s2, s18, 1
	s_add_i32 s2, s2, s14
	s_delay_alu instid0(SALU_CYCLE_1) | instskip(SKIP_2) | instid1(SALU_CYCLE_1)
	s_cmp_lt_i32 s2, s4
	s_cselect_b32 s2, -1, 0
	s_add_i32 s21, s21, s15
	s_cmp_lt_i32 s21, s6
	s_cselect_b32 s3, -1, 0
	s_delay_alu instid0(SALU_CYCLE_1) | instskip(NEXT) | instid1(SALU_CYCLE_1)
	s_and_b32 s2, s2, s3
	s_and_not1_b32 vcc_lo, exec_lo, s2
	s_cbranch_vccnz .LBB12_24
; %bb.8:
	s_load_b128 s[0:3], s[0:1], 0x0
	s_lshl_b32 s22, s20, 6
	s_mov_b32 s23, s12
	s_lshl_b32 s24, s14, 3
	s_lshl_b64 s[22:23], s[22:23], 2
	s_mul_i32 s19, s19, s6
	s_mul_i32 s4, s17, s4
	s_add_i32 s6, s24, s15
	v_cvt_f32_ubyte0_e32 v3, 0
	v_cvt_f32_u32_e32 v4, s20
	s_waitcnt lgkmcnt(0)
	s_add_u32 s15, s2, s22
	s_addc_u32 s17, s3, s23
	s_add_i32 s4, s4, s14
	s_add_i32 s14, s21, s19
	s_mul_i32 s4, s4, s5
	s_mul_i32 s5, s5, s18
	s_add_i32 s4, s14, s4
	s_mulk_i32 s5, 0xa0
	s_mulk_i32 s4, 0x50
	s_delay_alu instid0(SALU_CYCLE_1) | instskip(NEXT) | instid1(VALU_DEP_1)
	v_add3_u32 v1, s5, s4, v0
	v_ashrrev_i32_e32 v2, 31, v1
	s_delay_alu instid0(VALU_DEP_1) | instskip(NEXT) | instid1(VALU_DEP_1)
	v_lshlrev_b64 v[1:2], 2, v[1:2]
	v_add_co_u32 v1, vcc_lo, s0, v1
	s_delay_alu instid0(VALU_DEP_2) | instskip(SKIP_1) | instid1(SALU_CYCLE_1)
	v_add_co_ci_u32_e32 v2, vcc_lo, s1, v2, vcc_lo
	s_lshl_b32 s0, s13, 4
	s_add_i32 s0, s6, s0
	global_load_b32 v5, v[1:2], off
	s_ashr_i32 s1, s0, 31
	s_delay_alu instid0(SALU_CYCLE_1) | instskip(NEXT) | instid1(SALU_CYCLE_1)
	s_lshl_b64 s[0:1], s[0:1], 3
	s_add_u32 s0, s2, s0
	s_addc_u32 s1, s3, s1
	s_add_i32 s18, s13, -1
	s_load_b64 s[0:1], s[0:1], 0x0
	v_fmac_f32_e32 v4, 0x4f800000, v3
	s_sub_i32 s14, 0, s20
	s_delay_alu instid0(VALU_DEP_1)
	v_rcp_f32_e32 v3, v4
	s_waitcnt_depctr 0xfff
	v_mul_f32_e32 v6, 0x5f7ffffc, v3
	v_cvt_f32_u32_e32 v3, s20
	s_waitcnt lgkmcnt(0)
	v_mov_b32_e32 v8, s0
	s_delay_alu instid0(VALU_DEP_3) | instskip(NEXT) | instid1(VALU_DEP_3)
	v_mul_f32_e32 v4, 0x2f800000, v6
	v_rcp_iflag_f32_e32 v7, v3
	s_delay_alu instid0(VALU_DEP_1) | instskip(SKIP_1) | instid1(VALU_DEP_2)
	v_trunc_f32_e32 v9, v4
	v_mad_u64_u32 v[3:4], null, 0x50, s6, v[0:1]
	v_fmac_f32_e32 v6, 0xcf800000, v9
	s_waitcnt_depctr 0xfff
	v_dual_mul_f32 v10, 0x4f7ffffe, v7 :: v_dual_mov_b32 v7, s1
	v_cvt_u32_f32_e32 v4, v9
	v_cvt_u32_f32_e32 v0, v6
	s_delay_alu instid0(VALU_DEP_3)
	v_cvt_u32_f32_e32 v6, v10
.LBB12_9:                               ; =>This Inner Loop Header: Depth=1
	s_mul_hi_i32 s13, s18, s7
	s_mul_i32 s4, s18, s7
	s_cmp_lg_u64 s[12:13], 0
	s_mov_b32 s5, -1
                                        ; implicit-def: $sgpr0_sgpr1
	s_cbranch_scc0 .LBB12_11
; %bb.10:                               ;   in Loop: Header=BB12_9 Depth=1
	v_readfirstlane_b32 s0, v0
	v_readfirstlane_b32 s1, v4
	s_sub_u32 s5, 0, s20
	s_subb_u32 s19, 0, 0
	s_delay_alu instid0(VALU_DEP_2) | instskip(NEXT) | instid1(VALU_DEP_1)
	s_mul_hi_u32 s21, s5, s0
	s_mul_i32 s22, s5, s1
	s_mul_i32 s23, s19, s0
	s_add_i32 s21, s21, s22
	s_mul_i32 s22, s5, s0
	s_add_i32 s21, s21, s23
	s_mul_hi_u32 s23, s0, s22
	s_mul_i32 s24, s0, s21
	s_mul_hi_u32 s0, s0, s21
	s_add_u32 s23, s23, s24
	s_mul_i32 s25, s1, s22
	s_addc_u32 s0, 0, s0
	s_mul_hi_u32 s22, s1, s22
	s_mul_hi_u32 s24, s1, s21
	s_add_u32 s23, s23, s25
	s_addc_u32 s0, s0, s22
	s_mul_i32 s21, s1, s21
	s_addc_u32 s22, s24, 0
	s_add_u32 s0, s0, s21
	s_addc_u32 s21, 0, s22
	v_add_co_u32 v9, s0, v0, s0
	s_delay_alu instid0(VALU_DEP_1) | instskip(SKIP_1) | instid1(VALU_DEP_1)
	s_cmp_lg_u32 s0, 0
	s_addc_u32 s1, s1, s21
	v_readfirstlane_b32 s0, v9
	s_mul_i32 s21, s5, s1
	s_delay_alu instid0(VALU_DEP_1)
	s_mul_hi_u32 s22, s5, s0
	s_mul_i32 s19, s19, s0
	s_add_i32 s21, s22, s21
	s_mul_i32 s5, s5, s0
	s_add_i32 s21, s21, s19
	s_mul_hi_u32 s19, s1, s5
	s_mul_i32 s23, s1, s5
	s_mul_i32 s24, s0, s21
	s_mul_hi_u32 s5, s0, s5
	s_mul_hi_u32 s0, s0, s21
	s_add_u32 s5, s5, s24
	s_addc_u32 s0, 0, s0
	s_mul_hi_u32 s22, s1, s21
	s_add_u32 s5, s5, s23
	s_addc_u32 s0, s0, s19
	s_mul_i32 s5, s1, s21
	s_addc_u32 s19, s22, 0
	s_add_u32 s0, s0, s5
	s_addc_u32 s5, 0, s19
	v_add_co_u32 v9, s0, v9, s0
	s_delay_alu instid0(VALU_DEP_1) | instskip(SKIP_2) | instid1(SALU_CYCLE_1)
	s_cmp_lg_u32 s0, 0
	s_addc_u32 s5, s1, s5
	s_ashr_i32 s0, s13, 31
	s_add_u32 s22, s4, s0
	s_addc_u32 s23, s13, s0
	v_readfirstlane_b32 s13, v9
	s_mov_b32 s1, s0
	s_delay_alu instid0(SALU_CYCLE_1) | instskip(NEXT) | instid1(SALU_CYCLE_1)
	s_xor_b64 s[22:23], s[22:23], s[0:1]
	s_mul_i32 s19, s22, s5
	s_delay_alu instid0(VALU_DEP_1)
	s_mul_hi_u32 s21, s22, s13
	s_mul_hi_u32 s24, s22, s5
	s_add_u32 s19, s21, s19
	s_mul_i32 s25, s23, s13
	s_addc_u32 s21, 0, s24
	s_mul_hi_u32 s13, s23, s13
	s_mul_hi_u32 s24, s23, s5
	s_add_u32 s19, s19, s25
	s_addc_u32 s13, s21, s13
	s_mul_i32 s5, s23, s5
	s_addc_u32 s19, s24, 0
	s_add_u32 s5, s13, s5
	s_addc_u32 s13, 0, s19
	s_mul_i32 s21, s20, s5
	s_add_u32 s19, s5, 1
	v_sub_co_u32 v9, s21, s22, s21
	s_addc_u32 s22, s13, 0
	s_mul_i32 s25, s20, s13
	s_mul_hi_u32 s27, s20, s5
	s_delay_alu instid0(VALU_DEP_1)
	v_sub_co_u32 v10, s26, v9, s20
	s_add_u32 s24, s5, 2
	s_addc_u32 s28, s13, 0
	s_add_i32 s27, s27, s25
	s_cmp_lg_u32 s21, 0
	v_readfirstlane_b32 s21, v10
	s_subb_u32 s23, s23, s27
	s_cmp_lg_u32 s26, 0
	s_subb_u32 s25, s23, 0
	s_delay_alu instid0(VALU_DEP_1) | instskip(SKIP_4) | instid1(SALU_CYCLE_1)
	s_cmp_ge_u32 s21, s20
	s_cselect_b32 s21, -1, 0
	s_cmp_eq_u32 s25, 0
	v_readfirstlane_b32 s25, v9
	s_cselect_b32 s21, s21, -1
	s_cmp_lg_u32 s21, 0
	s_cselect_b32 s19, s24, s19
	s_cselect_b32 s21, s28, s22
	s_cmp_ge_u32 s25, s20
	s_cselect_b32 s22, -1, 0
	s_cmp_eq_u32 s23, 0
	s_cselect_b32 s22, s22, -1
	s_delay_alu instid0(SALU_CYCLE_1) | instskip(SKIP_4) | instid1(SALU_CYCLE_1)
	s_cmp_lg_u32 s22, 0
	s_cselect_b32 s23, s21, s13
	s_cselect_b32 s22, s19, s5
	s_mov_b32 s5, 0
	s_xor_b64 s[22:23], s[22:23], s[0:1]
	s_sub_u32 s0, s22, s0
.LBB12_11:                              ;   in Loop: Header=BB12_9 Depth=1
	s_and_not1_b32 vcc_lo, exec_lo, s5
	s_cbranch_vccnz .LBB12_13
; %bb.12:                               ;   in Loop: Header=BB12_9 Depth=1
	v_readfirstlane_b32 s0, v6
	s_delay_alu instid0(VALU_DEP_1) | instskip(NEXT) | instid1(SALU_CYCLE_1)
	s_mul_i32 s1, s14, s0
	s_mul_hi_u32 s1, s0, s1
	s_delay_alu instid0(SALU_CYCLE_1) | instskip(NEXT) | instid1(SALU_CYCLE_1)
	s_add_i32 s0, s0, s1
	s_mul_hi_u32 s0, s4, s0
	s_delay_alu instid0(SALU_CYCLE_1) | instskip(NEXT) | instid1(SALU_CYCLE_1)
	s_mul_i32 s1, s0, s20
	s_sub_i32 s1, s4, s1
	s_add_i32 s4, s0, 1
	s_sub_i32 s5, s1, s20
	s_cmp_ge_u32 s1, s20
	s_cselect_b32 s0, s4, s0
	s_cselect_b32 s1, s5, s1
	s_add_i32 s4, s0, 1
	s_cmp_ge_u32 s1, s20
	s_cselect_b32 s0, s4, s0
.LBB12_13:                              ;   in Loop: Header=BB12_9 Depth=1
	s_delay_alu instid0(SALU_CYCLE_1)
	s_cmp_lg_u32 s16, s0
	s_cbranch_scc0 .LBB12_17
; %bb.14:                               ;   in Loop: Header=BB12_9 Depth=1
	s_add_i32 s1, s18, s20
	s_mov_b32 s5, s12
	s_lshl_b32 s1, s1, 4
	s_mov_b32 s19, s16
	s_add_i32 s4, s1, s6
	s_mul_hi_u32 s1, s0, s8
	s_lshl_b64 s[4:5], s[4:5], 3
	s_delay_alu instid0(SALU_CYCLE_1) | instskip(SKIP_2) | instid1(SALU_CYCLE_1)
	s_add_u32 s4, s2, s4
	s_addc_u32 s5, s3, s5
	s_add_i32 s1, s1, s0
	s_lshr_b32 s1, s1, s9
	s_delay_alu instid0(SALU_CYCLE_1) | instskip(NEXT) | instid1(SALU_CYCLE_1)
	s_mul_i32 s13, s1, s10
	s_cmp_eq_u32 s13, s0
	s_cselect_b32 s13, -1, 0
	s_cmp_lt_u32 s1, s11
	s_cselect_b32 s1, -1, 0
	s_delay_alu instid0(SALU_CYCLE_1)
	s_or_b32 s1, s1, s13
	s_mov_b32 s13, -1
	s_and_b32 vcc_lo, exec_lo, s1
	s_mov_b32 s1, s18
	s_cbranch_vccnz .LBB12_16
; %bb.15:                               ;   in Loop: Header=BB12_9 Depth=1
	s_add_i32 s1, s18, -1
	s_mov_b32 s13, 0
	s_mov_b32 s19, s0
.LBB12_16:                              ;   in Loop: Header=BB12_9 Depth=1
	v_mad_u64_u32 v[9:10], null, 0x500, s18, v[3:4]
	s_load_b64 s[4:5], s[4:5], 0x0
	s_delay_alu instid0(VALU_DEP_1) | instskip(NEXT) | instid1(VALU_DEP_1)
	v_ashrrev_i32_e32 v10, 31, v9
	v_lshlrev_b64 v[9:10], 2, v[9:10]
	s_delay_alu instid0(VALU_DEP_1) | instskip(NEXT) | instid1(VALU_DEP_2)
	v_add_co_u32 v9, vcc_lo, s15, v9
	v_add_co_ci_u32_e32 v10, vcc_lo, s17, v10, vcc_lo
	s_waitcnt lgkmcnt(0)
	v_max_f32_e64 v11, s4, s4
	global_load_b32 v10, v[9:10], off
	v_max_f32_e32 v9, v8, v8
	s_delay_alu instid0(VALU_DEP_1) | instskip(NEXT) | instid1(VALU_DEP_1)
	v_max_f32_e32 v9, v9, v11
	v_sub_f32_e32 v12, v8, v9
	s_delay_alu instid0(VALU_DEP_1) | instskip(NEXT) | instid1(VALU_DEP_1)
	v_dual_mul_f32 v14, 0x3fb8aa3b, v12 :: v_dual_sub_f32 v11, s4, v9
	v_rndne_f32_e32 v18, v14
	s_delay_alu instid0(VALU_DEP_2) | instskip(SKIP_2) | instid1(VALU_DEP_4)
	v_mul_f32_e32 v13, 0x3fb8aa3b, v11
	v_fma_f32 v17, 0x3fb8aa3b, v12, -v14
	v_cmp_ngt_f32_e32 vcc_lo, 0xc2ce8ed0, v11
	v_sub_f32_e32 v14, v14, v18
	s_delay_alu instid0(VALU_DEP_4) | instskip(SKIP_2) | instid1(VALU_DEP_3)
	v_fma_f32 v15, 0x3fb8aa3b, v11, -v13
	v_rndne_f32_e32 v16, v13
	v_fmac_f32_e32 v17, 0x32a5705f, v12
	v_fmac_f32_e32 v15, 0x32a5705f, v11
	s_delay_alu instid0(VALU_DEP_2) | instskip(NEXT) | instid1(VALU_DEP_1)
	v_dual_sub_f32 v13, v13, v16 :: v_dual_add_f32 v14, v14, v17
	v_add_f32_e32 v13, v13, v15
	s_delay_alu instid0(VALU_DEP_2) | instskip(SKIP_2) | instid1(VALU_DEP_3)
	v_exp_f32_e32 v14, v14
	v_cvt_i32_f32_e32 v15, v16
	v_cvt_i32_f32_e32 v16, v18
	v_exp_f32_e32 v13, v13
	s_waitcnt_depctr 0xfff
	v_ldexp_f32 v14, v14, v16
	v_ldexp_f32 v13, v13, v15
	s_delay_alu instid0(VALU_DEP_1) | instskip(SKIP_1) | instid1(VALU_DEP_4)
	v_cndmask_b32_e32 v13, 0, v13, vcc_lo
	v_cmp_ngt_f32_e32 vcc_lo, 0xc2ce8ed0, v12
	v_cndmask_b32_e32 v14, 0, v14, vcc_lo
	v_cmp_nlt_f32_e32 vcc_lo, 0x42b17218, v11
	s_delay_alu instid0(VALU_DEP_4) | instskip(SKIP_1) | instid1(VALU_DEP_4)
	v_cndmask_b32_e32 v13, 0x7f800000, v13, vcc_lo
	v_cmp_nlt_f32_e32 vcc_lo, 0x42b17218, v12
	v_cndmask_b32_e32 v14, 0x7f800000, v14, vcc_lo
	v_cmp_le_f32_e32 vcc_lo, 0xc1a00000, v11
	s_delay_alu instid0(VALU_DEP_4) | instskip(SKIP_1) | instid1(VALU_DEP_4)
	v_cndmask_b32_e32 v11, 0, v13, vcc_lo
	v_cmp_le_f32_e32 vcc_lo, 0xc1a00000, v12
	v_cndmask_b32_e32 v12, 0, v14, vcc_lo
	s_waitcnt vmcnt(0)
	s_delay_alu instid0(VALU_DEP_3) | instskip(NEXT) | instid1(VALU_DEP_1)
	v_mul_f32_e32 v10, v10, v11
	v_dual_mul_f32 v11, s5, v11 :: v_dual_fmac_f32 v10, v5, v12
	s_delay_alu instid0(VALU_DEP_1)
	v_fmac_f32_e32 v11, v7, v12
	s_cbranch_execz .LBB12_18
	s_branch .LBB12_19
.LBB12_17:                              ;   in Loop: Header=BB12_9 Depth=1
                                        ; implicit-def: $sgpr13
                                        ; implicit-def: $vgpr10
                                        ; implicit-def: $vgpr9
                                        ; implicit-def: $vgpr11
                                        ; implicit-def: $sgpr1
                                        ; implicit-def: $sgpr19
.LBB12_18:                              ;   in Loop: Header=BB12_9 Depth=1
	s_waitcnt vmcnt(0)
	v_dual_mov_b32 v11, v7 :: v_dual_mov_b32 v10, v5
	v_mov_b32_e32 v9, v8
	s_add_i32 s1, s18, -1
	s_mov_b32 s13, 0
	s_mov_b32 s19, s16
.LBB12_19:                              ;   in Loop: Header=BB12_9 Depth=1
	s_and_not1_b32 vcc_lo, exec_lo, s13
	s_cbranch_vccz .LBB12_23
; %bb.20:                               ;   in Loop: Header=BB12_9 Depth=1
	v_dual_mov_b32 v7, v11 :: v_dual_mov_b32 v8, v9
	s_waitcnt vmcnt(0)
	v_mov_b32_e32 v5, v10
	s_mov_b32 s16, s19
	s_mov_b32 s18, s1
	s_branch .LBB12_9
.LBB12_21:
                                        ; implicit-def: $sgpr16_sgpr17
	s_load_b128 s[8:11], s[0:1], 0x44
	s_branch .LBB12_2
.LBB12_22:
                                        ; implicit-def: $sgpr18_sgpr19
	s_branch .LBB12_5
.LBB12_23:
	v_div_scale_f32 v0, null, v11, v11, v10
	s_delay_alu instid0(VALU_DEP_1) | instskip(SKIP_2) | instid1(VALU_DEP_1)
	v_rcp_f32_e32 v3, v0
	s_waitcnt_depctr 0xfff
	v_fma_f32 v4, -v0, v3, 1.0
	v_fmac_f32_e32 v3, v4, v3
	v_div_scale_f32 v4, vcc_lo, v10, v11, v10
	s_waitcnt vmcnt(0)
	s_delay_alu instid0(VALU_DEP_1) | instskip(NEXT) | instid1(VALU_DEP_1)
	v_mul_f32_e32 v5, v4, v3
	v_fma_f32 v6, -v0, v5, v4
	s_delay_alu instid0(VALU_DEP_1) | instskip(NEXT) | instid1(VALU_DEP_1)
	v_fmac_f32_e32 v5, v6, v3
	v_fma_f32 v0, -v0, v5, v4
	s_delay_alu instid0(VALU_DEP_1) | instskip(NEXT) | instid1(VALU_DEP_1)
	v_div_fmas_f32 v0, v0, v3, v5
	v_div_fixup_f32 v0, v0, v11, v10
	global_store_b32 v[1:2], v0, off
.LBB12_24:
	s_nop 0
	s_sendmsg sendmsg(MSG_DEALLOC_VGPRS)
	s_endpgm
	.section	.rodata,"a",@progbits
	.p2align	6, 0x0
	.amdhsa_kernel _ZL33flash_attn_stream_k_fixup_generalILi80ELi2ELi8EEvPfPK15HIP_vector_typeIfLj2EEiiiiS1_IjLj3EES5_S5_S5_
		.amdhsa_group_segment_fixed_size 0
		.amdhsa_private_segment_fixed_size 0
		.amdhsa_kernarg_size 336
		.amdhsa_user_sgpr_count 13
		.amdhsa_user_sgpr_dispatch_ptr 0
		.amdhsa_user_sgpr_queue_ptr 0
		.amdhsa_user_sgpr_kernarg_segment_ptr 1
		.amdhsa_user_sgpr_dispatch_id 0
		.amdhsa_user_sgpr_private_segment_size 0
		.amdhsa_wavefront_size32 1
		.amdhsa_uses_dynamic_stack 0
		.amdhsa_enable_private_segment 0
		.amdhsa_system_sgpr_workgroup_id_x 1
		.amdhsa_system_sgpr_workgroup_id_y 1
		.amdhsa_system_sgpr_workgroup_id_z 1
		.amdhsa_system_sgpr_workgroup_info 0
		.amdhsa_system_vgpr_workitem_id 0
		.amdhsa_next_free_vgpr 19
		.amdhsa_next_free_sgpr 32
		.amdhsa_reserve_vcc 1
		.amdhsa_float_round_mode_32 0
		.amdhsa_float_round_mode_16_64 0
		.amdhsa_float_denorm_mode_32 3
		.amdhsa_float_denorm_mode_16_64 3
		.amdhsa_dx10_clamp 1
		.amdhsa_ieee_mode 1
		.amdhsa_fp16_overflow 0
		.amdhsa_workgroup_processor_mode 1
		.amdhsa_memory_ordered 1
		.amdhsa_forward_progress 0
		.amdhsa_shared_vgpr_count 0
		.amdhsa_exception_fp_ieee_invalid_op 0
		.amdhsa_exception_fp_denorm_src 0
		.amdhsa_exception_fp_ieee_div_zero 0
		.amdhsa_exception_fp_ieee_overflow 0
		.amdhsa_exception_fp_ieee_underflow 0
		.amdhsa_exception_fp_ieee_inexact 0
		.amdhsa_exception_int_div_zero 0
	.end_amdhsa_kernel
	.section	.text._ZL33flash_attn_stream_k_fixup_generalILi80ELi2ELi8EEvPfPK15HIP_vector_typeIfLj2EEiiiiS1_IjLj3EES5_S5_S5_,"axG",@progbits,_ZL33flash_attn_stream_k_fixup_generalILi80ELi2ELi8EEvPfPK15HIP_vector_typeIfLj2EEiiiiS1_IjLj3EES5_S5_S5_,comdat
.Lfunc_end12:
	.size	_ZL33flash_attn_stream_k_fixup_generalILi80ELi2ELi8EEvPfPK15HIP_vector_typeIfLj2EEiiiiS1_IjLj3EES5_S5_S5_, .Lfunc_end12-_ZL33flash_attn_stream_k_fixup_generalILi80ELi2ELi8EEvPfPK15HIP_vector_typeIfLj2EEiiiiS1_IjLj3EES5_S5_S5_
                                        ; -- End function
	.section	.AMDGPU.csdata,"",@progbits
; Kernel info:
; codeLenInByte = 3224
; NumSgprs: 34
; NumVgprs: 19
; ScratchSize: 0
; MemoryBound: 0
; FloatMode: 240
; IeeeMode: 1
; LDSByteSize: 0 bytes/workgroup (compile time only)
; SGPRBlocks: 4
; VGPRBlocks: 2
; NumSGPRsForWavesPerEU: 34
; NumVGPRsForWavesPerEU: 19
; Occupancy: 16
; WaveLimiterHint : 0
; COMPUTE_PGM_RSRC2:SCRATCH_EN: 0
; COMPUTE_PGM_RSRC2:USER_SGPR: 13
; COMPUTE_PGM_RSRC2:TRAP_HANDLER: 0
; COMPUTE_PGM_RSRC2:TGID_X_EN: 1
; COMPUTE_PGM_RSRC2:TGID_Y_EN: 1
; COMPUTE_PGM_RSRC2:TGID_Z_EN: 1
; COMPUTE_PGM_RSRC2:TIDIG_COMP_CNT: 0
	.section	.text._ZL26flash_attn_combine_resultsILi80EEvPKfPK15HIP_vector_typeIfLj2EEPfi,"axG",@progbits,_ZL26flash_attn_combine_resultsILi80EEvPKfPK15HIP_vector_typeIfLj2EEPfi,comdat
	.globl	_ZL26flash_attn_combine_resultsILi80EEvPKfPK15HIP_vector_typeIfLj2EEPfi ; -- Begin function _ZL26flash_attn_combine_resultsILi80EEvPKfPK15HIP_vector_typeIfLj2EEPfi
	.p2align	8
	.type	_ZL26flash_attn_combine_resultsILi80EEvPKfPK15HIP_vector_typeIfLj2EEPfi,@function
_ZL26flash_attn_combine_resultsILi80EEvPKfPK15HIP_vector_typeIfLj2EEPfi: ; @_ZL26flash_attn_combine_resultsILi80EEvPKfPK15HIP_vector_typeIfLj2EEPfi
; %bb.0:
	s_clause 0x3
	s_load_b64 s[2:3], s[0:1], 0x20
	s_load_b32 s12, s[0:1], 0x18
	s_load_b128 s[8:11], s[0:1], 0x0
	s_load_b64 s[16:17], s[0:1], 0x10
	v_lshlrev_b32_e32 v7, 2, v0
	s_mov_b32 s4, exec_lo
	s_waitcnt lgkmcnt(0)
	s_mul_i32 s0, s2, s15
	s_lshl_b32 s1, s12, 1
	s_add_i32 s0, s0, s13
	s_delay_alu instid0(SALU_CYCLE_1) | instskip(NEXT) | instid1(SALU_CYCLE_1)
	s_mul_i32 s7, s0, s3
	s_add_i32 s7, s7, s14
	s_delay_alu instid0(SALU_CYCLE_1)
	s_mul_i32 s2, s7, s12
	v_cmpx_gt_i32_e64 s1, v0
	s_cbranch_execz .LBB13_3
; %bb.1:
	s_ashr_i32 s3, s2, 31
	v_dual_mov_b32 v4, v0 :: v_dual_add_nc_u32 v3, 0, v7
	s_lshl_b64 s[14:15], s[2:3], 3
	s_delay_alu instid0(SALU_CYCLE_1) | instskip(SKIP_2) | instid1(VALU_DEP_1)
	s_add_u32 s0, s10, s14
	s_addc_u32 s3, s11, s15
	v_add_co_u32 v1, s0, s0, v7
	v_add_co_ci_u32_e64 v2, null, s3, 0, s0
	s_mov_b32 s3, 0
	.p2align	6
.LBB13_2:                               ; =>This Inner Loop Header: Depth=1
	global_load_b32 v5, v[1:2], off
	v_add_nc_u32_e32 v4, 0x50, v4
	v_add_co_u32 v1, vcc_lo, 0x140, v1
	v_add_co_ci_u32_e32 v2, vcc_lo, 0, v2, vcc_lo
	s_delay_alu instid0(VALU_DEP_3) | instskip(NEXT) | instid1(VALU_DEP_1)
	v_cmp_le_i32_e64 s0, s1, v4
	s_or_b32 s3, s0, s3
	s_waitcnt vmcnt(0)
	ds_store_b32 v3, v5
	v_add_nc_u32_e32 v3, 0x140, v3
	s_and_not1_b32 exec_lo, exec_lo, s3
	s_cbranch_execnz .LBB13_2
.LBB13_3:
	s_or_b32 exec_lo, exec_lo, s4
	v_mov_b32_e32 v1, 0
	s_waitcnt lgkmcnt(0)
	s_barrier
	buffer_gl0_inv
	s_cmp_lt_i32 s12, 2
	ds_load_b32 v8, v1
	s_cbranch_scc1 .LBB13_11
; %bb.4:
	s_add_i32 s1, s12, -2
	s_add_i32 s0, s12, -1
	s_cmp_lt_u32 s1, 7
	s_cbranch_scc1 .LBB13_8
; %bb.5:
	s_mov_b32 s3, 0
	s_add_i32 s1, 0, 8
	s_and_b32 s4, s0, -8
	.p2align	6
.LBB13_6:                               ; =>This Inner Loop Header: Depth=1
	v_mov_b32_e32 v9, s1
	s_mov_b32 s5, s3
	s_add_i32 s3, s3, 8
	s_add_i32 s1, s1, 64
	s_cmp_eq_u32 s4, s3
	ds_load_2addr_b32 v[1:2], v9 offset1:2
	ds_load_2addr_b32 v[3:4], v9 offset0:4 offset1:6
	ds_load_2addr_b32 v[5:6], v9 offset0:8 offset1:10
	;; [unrolled: 1-line block ×3, first 2 shown]
	s_waitcnt lgkmcnt(3)
	v_max3_f32 v1, v8, v1, v2
	s_waitcnt lgkmcnt(2)
	s_delay_alu instid0(VALU_DEP_1) | instskip(SKIP_1) | instid1(VALU_DEP_1)
	v_max3_f32 v1, v1, v3, v4
	s_waitcnt lgkmcnt(1)
	v_max3_f32 v1, v1, v5, v6
	s_waitcnt lgkmcnt(0)
	s_delay_alu instid0(VALU_DEP_1)
	v_max3_f32 v8, v1, v9, v10
	s_cbranch_scc0 .LBB13_6
; %bb.7:
	s_add_i32 s1, s5, 9
	s_and_b32 s0, s0, 7
	s_delay_alu instid0(SALU_CYCLE_1)
	s_cmp_eq_u32 s0, 0
	s_cbranch_scc0 .LBB13_9
	s_branch .LBB13_11
.LBB13_8:
	s_mov_b32 s1, 1
	s_and_b32 s0, s0, 7
	s_delay_alu instid0(SALU_CYCLE_1)
	s_cmp_eq_u32 s0, 0
	s_cbranch_scc1 .LBB13_11
.LBB13_9:
	s_lshl_b32 s1, s1, 3
	s_delay_alu instid0(SALU_CYCLE_1)
	s_add_i32 s1, s1, 0
.LBB13_10:                              ; =>This Inner Loop Header: Depth=1
	s_waitcnt lgkmcnt(0)
	s_delay_alu instid0(VALU_DEP_1)
	v_dual_mov_b32 v1, s1 :: v_dual_max_f32 v2, v8, v8
	s_add_i32 s0, s0, -1
	s_add_i32 s1, s1, 8
	s_cmp_lg_u32 s0, 0
	ds_load_b32 v1, v1
	s_waitcnt lgkmcnt(0)
	v_max_f32_e32 v1, v1, v1
	s_delay_alu instid0(VALU_DEP_1)
	v_max_f32_e32 v8, v2, v1
	s_cbranch_scc1 .LBB13_10
.LBB13_11:
	s_cmp_lt_i32 s12, 1
	s_cbranch_scc1 .LBB13_16
; %bb.12:
	s_mul_i32 s10, s2, 0x50
	v_mov_b32_e32 v9, 0
	s_ashr_i32 s11, s10, 31
	s_cmp_lt_u32 s12, 8
	s_mov_b32 s14, 0
	s_cbranch_scc1 .LBB13_17
; %bb.13:
	s_lshl_b64 s[0:1], s[10:11], 2
	v_dual_mov_b32 v6, 0 :: v_dual_add_nc_u32 v3, 0x140, v0
	s_add_u32 s15, s8, s0
	s_addc_u32 s18, s9, s1
	v_add_co_u32 v1, s0, s15, v7
	s_delay_alu instid0(VALU_DEP_1) | instskip(SKIP_1) | instid1(VALU_DEP_3)
	v_add_co_ci_u32_e64 v2, null, s18, 0, s0
	v_dual_mov_b32 v10, 0 :: v_dual_mov_b32 v9, 0
	v_add_co_u32 v1, vcc_lo, 0x140, v1
	s_delay_alu instid0(VALU_DEP_3)
	v_add_co_ci_u32_e32 v2, vcc_lo, 0, v2, vcc_lo
	s_and_b32 s13, s12, 0x7ffffff8
	s_mov_b32 s19, 0
.LBB13_14:                              ; =>This Inner Loop Header: Depth=1
	v_dual_mov_b32 v4, v6 :: v_dual_add_nc_u32 v5, 0xfffffec0, v3
	s_clause 0x1
	global_load_b32 v27, v[1:2], off
	global_load_b32 v28, v[1:2], off offset:320
	s_add_i32 s19, s19, 8
	v_lshlrev_b64 v[11:12], 2, v[5:6]
	v_lshlrev_b64 v[13:14], 2, v[3:4]
	v_add_nc_u32_e32 v5, 0xffffffb0, v3
	s_delay_alu instid0(VALU_DEP_3) | instskip(NEXT) | instid1(VALU_DEP_4)
	v_add_co_u32 v11, vcc_lo, s15, v11
	v_add_co_ci_u32_e32 v12, vcc_lo, s18, v12, vcc_lo
	s_delay_alu instid0(VALU_DEP_3)
	v_lshlrev_b64 v[15:16], 2, v[5:6]
	v_add_co_u32 v13, vcc_lo, s15, v13
	global_load_b32 v29, v[11:12], off
	v_add_nc_u32_e32 v5, 0x50, v3
	v_add_co_ci_u32_e32 v14, vcc_lo, s18, v14, vcc_lo
	v_add_co_u32 v15, vcc_lo, s15, v15
	v_add_co_ci_u32_e32 v16, vcc_lo, s18, v16, vcc_lo
	global_load_b32 v31, v[13:14], off
	v_lshlrev_b64 v[11:12], 2, v[5:6]
	v_add_nc_u32_e32 v5, 0xa0, v3
	global_load_b32 v30, v[15:16], off
	v_lshlrev_b64 v[17:18], 2, v[5:6]
	v_add_nc_u32_e32 v5, 0xf0, v3
	v_add_co_u32 v11, vcc_lo, s15, v11
	v_add_co_ci_u32_e32 v12, vcc_lo, s18, v12, vcc_lo
	s_delay_alu instid0(VALU_DEP_3)
	v_lshlrev_b64 v[4:5], 2, v[5:6]
	v_add_nc_u32_e32 v3, 0x280, v3
	global_load_b32 v32, v[11:12], off
	v_add_co_u32 v11, vcc_lo, s15, v17
	v_add_co_ci_u32_e32 v12, vcc_lo, s18, v18, vcc_lo
	v_add_co_u32 v4, vcc_lo, s15, v4
	v_add_co_ci_u32_e32 v5, vcc_lo, s18, v5, vcc_lo
	s_clause 0x1
	global_load_b32 v33, v[11:12], off
	global_load_b32 v4, v[4:5], off
	v_mov_b32_e32 v5, s14
	ds_load_2addr_b64 v[11:14], v5 offset1:1
	ds_load_2addr_b64 v[15:18], v5 offset0:2 offset1:3
	ds_load_2addr_b64 v[19:22], v5 offset0:4 offset1:5
	;; [unrolled: 1-line block ×3, first 2 shown]
	s_add_i32 s14, s14, 64
	s_cmp_eq_u32 s13, s19
	s_waitcnt lgkmcnt(3)
	v_sub_f32_e32 v5, v11, v8
	v_sub_f32_e32 v11, v13, v8
	s_waitcnt lgkmcnt(2)
	v_sub_f32_e32 v13, v15, v8
	v_sub_f32_e32 v15, v17, v8
	;; [unrolled: 3-line block ×3, first 2 shown]
	s_waitcnt lgkmcnt(0)
	s_delay_alu instid0(VALU_DEP_1) | instskip(SKIP_2) | instid1(VALU_DEP_3)
	v_dual_sub_f32 v21, v23, v8 :: v_dual_mul_f32 v38, 0x3fb8aa3b, v19
	v_mul_f32_e32 v34, 0x3fb8aa3b, v11
	v_cmp_ngt_f32_e32 vcc_lo, 0xc2ce8ed0, v11
	v_fma_f32 v51, 0x3fb8aa3b, v19, -v38
	s_delay_alu instid0(VALU_DEP_3) | instskip(SKIP_2) | instid1(VALU_DEP_4)
	v_fma_f32 v43, 0x3fb8aa3b, v11, -v34
	v_rndne_f32_e32 v44, v34
	v_rndne_f32_e32 v52, v38
	v_fmac_f32_e32 v51, 0x32a5705f, v19
	s_delay_alu instid0(VALU_DEP_3) | instskip(SKIP_1) | instid1(VALU_DEP_4)
	v_dual_fmac_f32 v43, 0x32a5705f, v11 :: v_dual_sub_f32 v34, v34, v44
	v_cvt_i32_f32_e32 v44, v44
	v_sub_f32_e32 v38, v38, v52
	v_cvt_i32_f32_e32 v52, v52
	s_delay_alu instid0(VALU_DEP_4)
	v_add_f32_e32 v34, v34, v43
	v_mul_f32_e32 v36, 0x3fb8aa3b, v15
	v_cmp_ngt_f32_e64 s6, 0xc2ce8ed0, v5
	v_cmp_ngt_f32_e64 s1, 0xc2ce8ed0, v15
	v_add_f32_e32 v38, v38, v51
	v_exp_f32_e32 v34, v34
	v_fma_f32 v47, 0x3fb8aa3b, v15, -v36
	v_rndne_f32_e32 v48, v36
	v_cmp_ngt_f32_e64 s3, 0xc2ce8ed0, v19
	v_exp_f32_e32 v38, v38
	s_delay_alu instid0(VALU_DEP_2) | instskip(SKIP_1) | instid1(TRANS32_DEP_2)
	v_dual_fmac_f32 v47, 0x32a5705f, v15 :: v_dual_sub_f32 v36, v36, v48
	v_cvt_i32_f32_e32 v48, v48
	v_ldexp_f32 v34, v34, v44
	v_sub_f32_e32 v23, v25, v8
	s_delay_alu instid0(VALU_DEP_4) | instskip(SKIP_1) | instid1(VALU_DEP_4)
	v_dual_mul_f32 v25, 0x3fb8aa3b, v5 :: v_dual_add_f32 v36, v36, v47
	v_cmp_ngt_f32_e64 s2, 0xc2ce8ed0, v17
	v_cndmask_b32_e32 v34, 0, v34, vcc_lo
	v_cmp_nlt_f32_e32 vcc_lo, 0x42b17218, v5
	s_delay_alu instid0(VALU_DEP_4)
	v_fma_f32 v41, 0x3fb8aa3b, v5, -v25
	v_rndne_f32_e32 v42, v25
	v_mul_f32_e32 v40, 0x3fb8aa3b, v23
	v_exp_f32_e32 v36, v36
	v_cmp_ngt_f32_e64 s0, 0xc2ce8ed0, v13
	v_fmac_f32_e32 v41, 0x32a5705f, v5
	v_sub_f32_e32 v25, v25, v42
	v_cvt_i32_f32_e32 v42, v42
	v_fma_f32 v55, 0x3fb8aa3b, v23, -v40
	v_rndne_f32_e32 v56, v40
	v_ldexp_f32 v38, v38, v52
	v_add_f32_e32 v25, v25, v41
	v_cmp_ngt_f32_e64 s5, 0xc2ce8ed0, v23
	v_ldexp_f32 v36, v36, v48
	v_dual_fmac_f32 v55, 0x32a5705f, v23 :: v_dual_sub_f32 v40, v40, v56
	s_delay_alu instid0(VALU_DEP_4) | instskip(SKIP_1) | instid1(VALU_DEP_3)
	v_exp_f32_e32 v25, v25
	v_cvt_i32_f32_e32 v56, v56
	v_cndmask_b32_e64 v36, 0, v36, s1
	v_cndmask_b32_e64 v38, 0, v38, s3
	v_add_f32_e32 v40, v40, v55
	v_cmp_ngt_f32_e64 s4, 0xc2ce8ed0, v21
	s_delay_alu instid0(VALU_DEP_2) | instskip(NEXT) | instid1(TRANS32_DEP_2)
	v_exp_f32_e32 v40, v40
	v_ldexp_f32 v25, v25, v42
	s_delay_alu instid0(VALU_DEP_1) | instskip(SKIP_4) | instid1(VALU_DEP_3)
	v_cndmask_b32_e64 v25, 0, v25, s6
	s_waitcnt_depctr 0xfff
	v_ldexp_f32 v40, v40, v56
	v_cndmask_b32_e32 v5, 0x7f800000, v25, vcc_lo
	v_cmp_nlt_f32_e32 vcc_lo, 0x42b17218, v11
	v_cndmask_b32_e64 v40, 0, v40, s5
	s_delay_alu instid0(VALU_DEP_3) | instskip(SKIP_2) | instid1(VALU_DEP_3)
	v_dual_fmac_f32 v10, v5, v12 :: v_dual_cndmask_b32 v11, 0x7f800000, v34
	v_mul_f32_e32 v35, 0x3fb8aa3b, v13
	v_cmp_nlt_f32_e32 vcc_lo, 0x42b17218, v13
	v_fmac_f32_e32 v10, v11, v14
	s_delay_alu instid0(VALU_DEP_3) | instskip(SKIP_1) | instid1(VALU_DEP_2)
	v_fma_f32 v45, 0x3fb8aa3b, v13, -v35
	v_rndne_f32_e32 v46, v35
	v_fmac_f32_e32 v45, 0x32a5705f, v13
	s_delay_alu instid0(VALU_DEP_2) | instskip(SKIP_1) | instid1(VALU_DEP_2)
	v_sub_f32_e32 v35, v35, v46
	v_cvt_i32_f32_e32 v46, v46
	v_add_f32_e32 v35, v35, v45
	s_delay_alu instid0(VALU_DEP_1) | instskip(SKIP_2) | instid1(VALU_DEP_1)
	v_exp_f32_e32 v35, v35
	s_waitcnt_depctr 0xfff
	v_ldexp_f32 v35, v35, v46
	v_cndmask_b32_e64 v35, 0, v35, s0
	v_cmp_nlt_f32_e64 s0, 0x42b17218, v23
	s_waitcnt vmcnt(5)
	v_fmac_f32_e32 v9, v29, v5
	s_delay_alu instid0(VALU_DEP_3) | instskip(SKIP_2) | instid1(VALU_DEP_3)
	v_cndmask_b32_e32 v5, 0x7f800000, v35, vcc_lo
	v_mul_f32_e32 v37, 0x3fb8aa3b, v17
	v_cmp_nlt_f32_e32 vcc_lo, 0x42b17218, v15
	v_dual_fmac_f32 v9, v27, v11 :: v_dual_fmac_f32 v10, v5, v16
	s_delay_alu instid0(VALU_DEP_3)
	v_fma_f32 v49, 0x3fb8aa3b, v17, -v37
	v_rndne_f32_e32 v50, v37
	v_cndmask_b32_e32 v11, 0x7f800000, v36, vcc_lo
	v_mul_f32_e32 v39, 0x3fb8aa3b, v21
	v_fmac_f32_e32 v9, v28, v5
	v_fmac_f32_e32 v49, 0x32a5705f, v17
	v_sub_f32_e32 v37, v37, v50
	v_fmac_f32_e32 v10, v11, v18
	v_fma_f32 v53, 0x3fb8aa3b, v21, -v39
	v_rndne_f32_e32 v54, v39
	v_cvt_i32_f32_e32 v50, v50
	v_add_f32_e32 v37, v37, v49
	v_cmp_nlt_f32_e32 vcc_lo, 0x42b17218, v17
	v_fmac_f32_e32 v53, 0x32a5705f, v21
	v_sub_f32_e32 v39, v39, v54
	v_cvt_i32_f32_e32 v54, v54
	v_exp_f32_e32 v37, v37
	s_waitcnt vmcnt(3)
	v_fmac_f32_e32 v9, v30, v11
	v_add_f32_e32 v39, v39, v53
	s_delay_alu instid0(VALU_DEP_1) | instskip(SKIP_2) | instid1(VALU_DEP_1)
	v_exp_f32_e32 v39, v39
	s_waitcnt_depctr 0xfff
	v_ldexp_f32 v37, v37, v50
	v_cndmask_b32_e64 v37, 0, v37, s2
	v_ldexp_f32 v39, v39, v54
	s_delay_alu instid0(VALU_DEP_2) | instskip(SKIP_1) | instid1(VALU_DEP_3)
	v_cndmask_b32_e32 v5, 0x7f800000, v37, vcc_lo
	v_cmp_nlt_f32_e32 vcc_lo, 0x42b17218, v19
	v_cndmask_b32_e64 v39, 0, v39, s4
	s_delay_alu instid0(VALU_DEP_3) | instskip(SKIP_3) | instid1(VALU_DEP_2)
	v_dual_fmac_f32 v10, v5, v20 :: v_dual_cndmask_b32 v11, 0x7f800000, v38
	v_fmac_f32_e32 v9, v31, v5
	v_cmp_nlt_f32_e32 vcc_lo, 0x42b17218, v21
	s_waitcnt vmcnt(2)
	v_dual_fmac_f32 v10, v11, v22 :: v_dual_fmac_f32 v9, v32, v11
	v_cndmask_b32_e32 v5, 0x7f800000, v39, vcc_lo
	v_cndmask_b32_e64 v11, 0x7f800000, v40, s0
	v_add_co_u32 v1, vcc_lo, 0xa00, v1
	v_add_co_ci_u32_e32 v2, vcc_lo, 0, v2, vcc_lo
	s_delay_alu instid0(VALU_DEP_4) | instskip(SKIP_1) | instid1(VALU_DEP_1)
	v_fmac_f32_e32 v10, v5, v24
	s_waitcnt vmcnt(1)
	v_dual_fmac_f32 v9, v33, v5 :: v_dual_fmac_f32 v10, v11, v26
	s_waitcnt vmcnt(0)
	s_delay_alu instid0(VALU_DEP_1)
	v_fmac_f32_e32 v9, v4, v11
	s_cbranch_scc0 .LBB13_14
; %bb.15:
	s_and_b32 s1, s12, 7
	s_delay_alu instid0(SALU_CYCLE_1)
	s_cmp_eq_u32 s1, 0
	s_cbranch_scc0 .LBB13_18
	s_branch .LBB13_20
.LBB13_16:
	v_mov_b32_e32 v0, 0x7fc00000
	s_branch .LBB13_21
.LBB13_17:
	v_mov_b32_e32 v10, 0
	s_mov_b32 s13, 0
	s_and_b32 s1, s12, 7
	s_delay_alu instid0(SALU_CYCLE_1)
	s_cmp_eq_u32 s1, 0
	s_cbranch_scc1 .LBB13_20
.LBB13_18:
	v_mad_u64_u32 v[1:2], null, 0x50, s13, v[0:1]
	v_mov_b32_e32 v2, 0
	s_lshl_b64 s[2:3], s[10:11], 2
	s_delay_alu instid0(SALU_CYCLE_1) | instskip(SKIP_1) | instid1(VALU_DEP_1)
	s_add_u32 s0, s8, s2
	s_addc_u32 s2, s9, s3
	v_lshlrev_b64 v[0:1], 2, v[1:2]
	s_delay_alu instid0(VALU_DEP_1) | instskip(NEXT) | instid1(VALU_DEP_2)
	v_add_co_u32 v0, vcc_lo, s0, v0
	v_add_co_ci_u32_e32 v1, vcc_lo, s2, v1, vcc_lo
	s_lshl_b32 s0, s13, 3
	s_delay_alu instid0(SALU_CYCLE_1)
	s_add_i32 s2, s0, 0
	s_set_inst_prefetch_distance 0x1
	.p2align	6
.LBB13_19:                              ; =>This Inner Loop Header: Depth=1
	global_load_b32 v4, v[0:1], off
	v_mov_b32_e32 v2, s2
	s_add_i32 s1, s1, -1
	s_add_i32 s2, s2, 8
	s_cmp_lg_u32 s1, 0
	ds_load_b64 v[2:3], v2
	s_waitcnt lgkmcnt(0)
	v_sub_f32_e32 v2, v2, v8
	s_delay_alu instid0(VALU_DEP_1) | instskip(NEXT) | instid1(VALU_DEP_1)
	v_mul_f32_e32 v5, 0x3fb8aa3b, v2
	v_fma_f32 v6, 0x3fb8aa3b, v2, -v5
	v_rndne_f32_e32 v11, v5
	s_delay_alu instid0(VALU_DEP_1) | instskip(NEXT) | instid1(VALU_DEP_1)
	v_dual_fmac_f32 v6, 0x32a5705f, v2 :: v_dual_sub_f32 v5, v5, v11
	v_add_f32_e32 v5, v5, v6
	v_cvt_i32_f32_e32 v6, v11
	v_cmp_ngt_f32_e32 vcc_lo, 0xc2ce8ed0, v2
	v_cmp_nlt_f32_e64 s0, 0x42b17218, v2
	s_delay_alu instid0(VALU_DEP_4) | instskip(SKIP_2) | instid1(VALU_DEP_1)
	v_exp_f32_e32 v5, v5
	s_waitcnt_depctr 0xfff
	v_ldexp_f32 v5, v5, v6
	v_cndmask_b32_e32 v5, 0, v5, vcc_lo
	v_add_co_u32 v0, vcc_lo, 0x140, v0
	v_add_co_ci_u32_e32 v1, vcc_lo, 0, v1, vcc_lo
	s_delay_alu instid0(VALU_DEP_3) | instskip(SKIP_1) | instid1(VALU_DEP_1)
	v_cndmask_b32_e64 v2, 0x7f800000, v5, s0
	s_waitcnt vmcnt(0)
	v_dual_fmac_f32 v10, v2, v3 :: v_dual_fmac_f32 v9, v4, v2
	s_cbranch_scc1 .LBB13_19
.LBB13_20:
	s_set_inst_prefetch_distance 0x2
	s_delay_alu instid0(VALU_DEP_1) | instskip(NEXT) | instid1(VALU_DEP_1)
	v_div_scale_f32 v0, null, v10, v10, v9
	v_rcp_f32_e32 v1, v0
	s_waitcnt_depctr 0xfff
	v_fma_f32 v2, -v0, v1, 1.0
	s_delay_alu instid0(VALU_DEP_1) | instskip(SKIP_1) | instid1(VALU_DEP_1)
	v_fmac_f32_e32 v1, v2, v1
	v_div_scale_f32 v2, vcc_lo, v9, v10, v9
	v_mul_f32_e32 v3, v2, v1
	s_delay_alu instid0(VALU_DEP_1) | instskip(NEXT) | instid1(VALU_DEP_1)
	v_fma_f32 v4, -v0, v3, v2
	v_fmac_f32_e32 v3, v4, v1
	s_delay_alu instid0(VALU_DEP_1) | instskip(NEXT) | instid1(VALU_DEP_1)
	v_fma_f32 v0, -v0, v3, v2
	v_div_fmas_f32 v0, v0, v1, v3
	s_delay_alu instid0(VALU_DEP_1)
	v_div_fixup_f32 v0, v0, v10, v9
.LBB13_21:
	s_mul_i32 s0, s7, 0x50
	s_delay_alu instid0(SALU_CYCLE_1) | instskip(NEXT) | instid1(SALU_CYCLE_1)
	s_ashr_i32 s1, s0, 31
	s_lshl_b64 s[0:1], s[0:1], 2
	s_delay_alu instid0(SALU_CYCLE_1)
	s_add_u32 s0, s16, s0
	s_addc_u32 s1, s17, s1
	global_store_b32 v7, v0, s[0:1]
	s_nop 0
	s_sendmsg sendmsg(MSG_DEALLOC_VGPRS)
	s_endpgm
	.section	.rodata,"a",@progbits
	.p2align	6, 0x0
	.amdhsa_kernel _ZL26flash_attn_combine_resultsILi80EEvPKfPK15HIP_vector_typeIfLj2EEPfi
		.amdhsa_group_segment_fixed_size 0
		.amdhsa_private_segment_fixed_size 0
		.amdhsa_kernarg_size 288
		.amdhsa_user_sgpr_count 13
		.amdhsa_user_sgpr_dispatch_ptr 0
		.amdhsa_user_sgpr_queue_ptr 0
		.amdhsa_user_sgpr_kernarg_segment_ptr 1
		.amdhsa_user_sgpr_dispatch_id 0
		.amdhsa_user_sgpr_private_segment_size 0
		.amdhsa_wavefront_size32 1
		.amdhsa_uses_dynamic_stack 0
		.amdhsa_enable_private_segment 0
		.amdhsa_system_sgpr_workgroup_id_x 1
		.amdhsa_system_sgpr_workgroup_id_y 1
		.amdhsa_system_sgpr_workgroup_id_z 1
		.amdhsa_system_sgpr_workgroup_info 0
		.amdhsa_system_vgpr_workitem_id 0
		.amdhsa_next_free_vgpr 57
		.amdhsa_next_free_sgpr 20
		.amdhsa_reserve_vcc 1
		.amdhsa_float_round_mode_32 0
		.amdhsa_float_round_mode_16_64 0
		.amdhsa_float_denorm_mode_32 3
		.amdhsa_float_denorm_mode_16_64 3
		.amdhsa_dx10_clamp 1
		.amdhsa_ieee_mode 1
		.amdhsa_fp16_overflow 0
		.amdhsa_workgroup_processor_mode 1
		.amdhsa_memory_ordered 1
		.amdhsa_forward_progress 0
		.amdhsa_shared_vgpr_count 0
		.amdhsa_exception_fp_ieee_invalid_op 0
		.amdhsa_exception_fp_denorm_src 0
		.amdhsa_exception_fp_ieee_div_zero 0
		.amdhsa_exception_fp_ieee_overflow 0
		.amdhsa_exception_fp_ieee_underflow 0
		.amdhsa_exception_fp_ieee_inexact 0
		.amdhsa_exception_int_div_zero 0
	.end_amdhsa_kernel
	.section	.text._ZL26flash_attn_combine_resultsILi80EEvPKfPK15HIP_vector_typeIfLj2EEPfi,"axG",@progbits,_ZL26flash_attn_combine_resultsILi80EEvPKfPK15HIP_vector_typeIfLj2EEPfi,comdat
.Lfunc_end13:
	.size	_ZL26flash_attn_combine_resultsILi80EEvPKfPK15HIP_vector_typeIfLj2EEPfi, .Lfunc_end13-_ZL26flash_attn_combine_resultsILi80EEvPKfPK15HIP_vector_typeIfLj2EEPfi
                                        ; -- End function
	.section	.AMDGPU.csdata,"",@progbits
; Kernel info:
; codeLenInByte = 2380
; NumSgprs: 22
; NumVgprs: 57
; ScratchSize: 0
; MemoryBound: 0
; FloatMode: 240
; IeeeMode: 1
; LDSByteSize: 0 bytes/workgroup (compile time only)
; SGPRBlocks: 2
; VGPRBlocks: 7
; NumSGPRsForWavesPerEU: 22
; NumVGPRsForWavesPerEU: 57
; Occupancy: 16
; WaveLimiterHint : 1
; COMPUTE_PGM_RSRC2:SCRATCH_EN: 0
; COMPUTE_PGM_RSRC2:USER_SGPR: 13
; COMPUTE_PGM_RSRC2:TRAP_HANDLER: 0
; COMPUTE_PGM_RSRC2:TGID_X_EN: 1
; COMPUTE_PGM_RSRC2:TGID_Y_EN: 1
; COMPUTE_PGM_RSRC2:TGID_Z_EN: 1
; COMPUTE_PGM_RSRC2:TIDIG_COMP_CNT: 0
	.section	.text._ZL18flash_attn_ext_f16ILi96ELi96ELi2ELi8ELb0ELb0EEvPKcS1_S1_S1_S1_PKiPfP15HIP_vector_typeIfLj2EEffffjfiS5_IjLj3EEiiiiiiiiiiiliiliiiiil,"axG",@progbits,_ZL18flash_attn_ext_f16ILi96ELi96ELi2ELi8ELb0ELb0EEvPKcS1_S1_S1_S1_PKiPfP15HIP_vector_typeIfLj2EEffffjfiS5_IjLj3EEiiiiiiiiiiiliiliiiiil,comdat
	.globl	_ZL18flash_attn_ext_f16ILi96ELi96ELi2ELi8ELb0ELb0EEvPKcS1_S1_S1_S1_PKiPfP15HIP_vector_typeIfLj2EEffffjfiS5_IjLj3EEiiiiiiiiiiiliiliiiiil ; -- Begin function _ZL18flash_attn_ext_f16ILi96ELi96ELi2ELi8ELb0ELb0EEvPKcS1_S1_S1_S1_PKiPfP15HIP_vector_typeIfLj2EEffffjfiS5_IjLj3EEiiiiiiiiiiiliiliiiiil
	.p2align	8
	.type	_ZL18flash_attn_ext_f16ILi96ELi96ELi2ELi8ELb0ELb0EEvPKcS1_S1_S1_S1_PKiPfP15HIP_vector_typeIfLj2EEffffjfiS5_IjLj3EEiiiiiiiiiiiliiliiiiil,@function
_ZL18flash_attn_ext_f16ILi96ELi96ELi2ELi8ELb0ELb0EEvPKcS1_S1_S1_S1_PKiPfP15HIP_vector_typeIfLj2EEffffjfiS5_IjLj3EEiiiiiiiiiiiliiliiiiil: ; @_ZL18flash_attn_ext_f16ILi96ELi96ELi2ELi8ELb0ELb0EEvPKcS1_S1_S1_S1_PKiPfP15HIP_vector_typeIfLj2EEffffjfiS5_IjLj3EEiiiiiiiiiiiliiliiiiil
; %bb.0:
	s_clause 0x2
	s_load_b64 s[2:3], s[0:1], 0x80
	s_load_b128 s[8:11], s[0:1], 0x64
	s_load_b32 s14, s[0:1], 0xd0
	s_waitcnt lgkmcnt(0)
	s_abs_i32 s4, s3
	s_abs_i32 s7, s9
	v_cvt_f32_u32_e32 v1, s4
	s_sub_i32 s6, 0, s4
	v_cvt_f32_u32_e32 v3, s14
	s_delay_alu instid0(VALU_DEP_2) | instskip(SKIP_2) | instid1(VALU_DEP_1)
	v_rcp_iflag_f32_e32 v1, v1
	s_waitcnt_depctr 0xfff
	v_mul_f32_e32 v1, 0x4f7ffffe, v1
	v_cvt_u32_f32_e32 v1, v1
	s_delay_alu instid0(VALU_DEP_1) | instskip(SKIP_1) | instid1(VALU_DEP_2)
	v_readfirstlane_b32 s5, v1
	v_cvt_f32_ubyte0_e32 v1, 0
	s_mul_i32 s6, s6, s5
	s_delay_alu instid0(SALU_CYCLE_1) | instskip(NEXT) | instid1(SALU_CYCLE_1)
	s_mul_hi_u32 s6, s5, s6
	s_add_i32 s5, s5, s6
	s_xor_b32 s6, s9, s3
	s_mul_hi_u32 s5, s7, s5
	s_ashr_i32 s6, s6, 31
	s_mul_i32 s12, s5, s4
	s_delay_alu instid0(SALU_CYCLE_1)
	s_sub_i32 s7, s7, s12
	s_add_i32 s12, s5, 1
	s_sub_i32 s13, s7, s4
	s_cmp_ge_u32 s7, s4
	s_cselect_b32 s5, s12, s5
	s_cselect_b32 s7, s13, s7
	s_add_i32 s12, s5, 1
	s_cmp_ge_u32 s7, s4
	s_cselect_b32 s4, s12, s5
	s_add_i32 s2, s2, 31
	s_xor_b32 s4, s4, s6
	s_add_i32 s5, s8, 1
	s_sub_i32 s33, s4, s6
	s_ashr_i32 s7, s2, 31
	s_add_i32 s4, s33, 7
	s_lshr_b32 s68, s5, 1
	s_lshr_b32 s5, s7, 27
	s_ashr_i32 s6, s4, 31
	s_add_i32 s2, s2, s5
	s_lshr_b32 s5, s6, 29
	s_ashr_i32 s72, s2, 5
	s_add_i32 s4, s4, s5
	s_mul_i32 s69, s68, s72
	s_ashr_i32 s2, s4, 3
	s_delay_alu instid0(SALU_CYCLE_1) | instskip(SKIP_2) | instid1(SALU_CYCLE_1)
	s_mul_i32 s70, s69, s2
	s_mov_b32 s2, 0
	s_mul_i32 s71, s70, s3
	s_mul_i32 s4, s71, s10
	s_delay_alu instid0(SALU_CYCLE_1) | instskip(SKIP_2) | instid1(SALU_CYCLE_1)
	s_ashr_i32 s5, s4, 31
	s_mul_hi_u32 s3, s4, s15
	s_mul_i32 s6, s5, s15
	s_add_i32 s3, s3, s6
	s_mul_i32 s6, s4, s15
	s_cmp_lg_u64 s[2:3], 0
	s_cbranch_scc0 .LBB14_433
; %bb.1:
	v_fmamk_f32 v2, v1, 0x4f800000, v3
	s_sub_u32 s12, 0, s14
	s_subb_u32 s13, 0, 0
	s_delay_alu instid0(VALU_DEP_1) | instskip(SKIP_2) | instid1(VALU_DEP_1)
	v_rcp_f32_e32 v2, v2
	s_waitcnt_depctr 0xfff
	v_mul_f32_e32 v2, 0x5f7ffffc, v2
	v_mul_f32_e32 v4, 0x2f800000, v2
	s_delay_alu instid0(VALU_DEP_1) | instskip(NEXT) | instid1(VALU_DEP_1)
	v_trunc_f32_e32 v4, v4
	v_fmamk_f32 v2, v4, 0xcf800000, v2
	v_cvt_u32_f32_e32 v4, v4
	s_delay_alu instid0(VALU_DEP_2) | instskip(NEXT) | instid1(VALU_DEP_2)
	v_cvt_u32_f32_e32 v2, v2
	v_readfirstlane_b32 s7, v4
	s_delay_alu instid0(VALU_DEP_2) | instskip(NEXT) | instid1(VALU_DEP_2)
	v_readfirstlane_b32 s10, v2
	s_mul_i32 s16, s12, s7
	s_delay_alu instid0(VALU_DEP_1)
	s_mul_hi_u32 s18, s12, s10
	s_mul_i32 s17, s13, s10
	s_add_i32 s16, s18, s16
	s_mul_i32 s19, s12, s10
	s_add_i32 s16, s16, s17
	s_mul_hi_u32 s18, s10, s19
	s_mul_hi_u32 s20, s7, s19
	s_mul_i32 s17, s7, s19
	s_mul_hi_u32 s19, s10, s16
	s_mul_i32 s10, s10, s16
	s_mul_hi_u32 s21, s7, s16
	s_add_u32 s10, s18, s10
	s_addc_u32 s18, 0, s19
	s_add_u32 s10, s10, s17
	s_mul_i32 s16, s7, s16
	s_addc_u32 s10, s18, s20
	s_addc_u32 s17, s21, 0
	s_add_u32 s10, s10, s16
	s_addc_u32 s16, 0, s17
	v_add_co_u32 v2, s10, v2, s10
	s_delay_alu instid0(VALU_DEP_1) | instskip(SKIP_1) | instid1(VALU_DEP_1)
	s_cmp_lg_u32 s10, 0
	s_addc_u32 s7, s7, s16
	v_readfirstlane_b32 s10, v2
	s_mul_i32 s16, s12, s7
	s_delay_alu instid0(VALU_DEP_1)
	s_mul_hi_u32 s17, s12, s10
	s_mul_i32 s13, s13, s10
	s_add_i32 s16, s17, s16
	s_mul_i32 s12, s12, s10
	s_add_i32 s16, s16, s13
	s_mul_hi_u32 s17, s7, s12
	s_mul_i32 s18, s7, s12
	s_mul_hi_u32 s12, s10, s12
	s_mul_hi_u32 s19, s10, s16
	s_mul_i32 s10, s10, s16
	s_mul_hi_u32 s13, s7, s16
	s_add_u32 s10, s12, s10
	s_addc_u32 s12, 0, s19
	s_add_u32 s10, s10, s18
	s_mul_i32 s16, s7, s16
	s_addc_u32 s10, s12, s17
	s_addc_u32 s12, s13, 0
	s_add_u32 s10, s10, s16
	s_addc_u32 s12, 0, s12
	v_add_co_u32 v2, s10, v2, s10
	s_delay_alu instid0(VALU_DEP_1) | instskip(SKIP_2) | instid1(SALU_CYCLE_1)
	s_cmp_lg_u32 s10, 0
	s_addc_u32 s7, s7, s12
	s_ashr_i32 s12, s3, 31
	s_add_u32 s16, s6, s12
	s_addc_u32 s17, s3, s12
	v_readfirstlane_b32 s3, v2
	s_mov_b32 s13, s12
	s_delay_alu instid0(SALU_CYCLE_1) | instskip(NEXT) | instid1(SALU_CYCLE_1)
	s_xor_b64 s[16:17], s[16:17], s[12:13]
	s_mul_i32 s18, s16, s7
	s_delay_alu instid0(VALU_DEP_1)
	s_mul_hi_u32 s19, s16, s3
	s_mul_hi_u32 s10, s16, s7
	;; [unrolled: 1-line block ×3, first 2 shown]
	s_mul_i32 s3, s17, s3
	s_add_u32 s18, s19, s18
	s_addc_u32 s10, 0, s10
	s_mul_hi_u32 s20, s17, s7
	s_add_u32 s3, s18, s3
	s_mul_i32 s7, s17, s7
	s_addc_u32 s3, s10, s21
	s_addc_u32 s10, s20, 0
	s_add_u32 s3, s3, s7
	s_addc_u32 s7, 0, s10
	s_mul_i32 s18, s14, s3
	s_add_u32 s10, s3, 1
	v_sub_co_u32 v2, s16, s16, s18
	s_mul_hi_u32 s18, s14, s3
	s_addc_u32 s19, s7, 0
	s_mul_i32 s20, s14, s7
	s_delay_alu instid0(VALU_DEP_1)
	v_sub_co_u32 v4, s21, v2, s14
	s_add_u32 s22, s3, 2
	s_addc_u32 s23, s7, 0
	s_add_i32 s18, s18, s20
	s_cmp_lg_u32 s16, 0
	v_readfirstlane_b32 s16, v4
	s_subb_u32 s17, s17, s18
	s_cmp_lg_u32 s21, 0
	s_subb_u32 s18, s17, 0
	s_delay_alu instid0(VALU_DEP_1) | instskip(SKIP_4) | instid1(SALU_CYCLE_1)
	s_cmp_ge_u32 s16, s14
	s_cselect_b32 s16, -1, 0
	s_cmp_eq_u32 s18, 0
	v_readfirstlane_b32 s18, v2
	s_cselect_b32 s16, s16, -1
	s_cmp_lg_u32 s16, 0
	s_cselect_b32 s10, s22, s10
	s_cselect_b32 s16, s23, s19
	s_cmp_ge_u32 s18, s14
	s_cselect_b32 s18, -1, 0
	s_cmp_eq_u32 s17, 0
	s_cselect_b32 s17, s18, -1
	s_delay_alu instid0(SALU_CYCLE_1) | instskip(SKIP_2) | instid1(SALU_CYCLE_1)
	s_cmp_lg_u32 s17, 0
	s_cselect_b32 s17, s16, s7
	s_cselect_b32 s16, s10, s3
	s_xor_b64 s[16:17], s[16:17], s[12:13]
	s_delay_alu instid0(SALU_CYCLE_1)
	s_sub_u32 s50, s16, s12
	s_load_b64 s[48:49], s[0:1], 0x74
	v_cvt_f32_u32_e32 v2, s14
	s_and_not1_b32 vcc_lo, exec_lo, s2
	s_cbranch_vccnz .LBB14_3
.LBB14_2:
	s_delay_alu instid0(VALU_DEP_1) | instskip(SKIP_3) | instid1(VALU_DEP_1)
	v_rcp_iflag_f32_e32 v4, v2
	s_sub_i32 s3, 0, s14
	s_waitcnt_depctr 0xfff
	v_mul_f32_e32 v4, 0x4f7ffffe, v4
	v_cvt_u32_f32_e32 v4, v4
	s_delay_alu instid0(VALU_DEP_1) | instskip(NEXT) | instid1(VALU_DEP_1)
	v_readfirstlane_b32 s2, v4
	s_mul_i32 s3, s3, s2
	s_delay_alu instid0(SALU_CYCLE_1) | instskip(NEXT) | instid1(SALU_CYCLE_1)
	s_mul_hi_u32 s3, s2, s3
	s_add_i32 s2, s2, s3
	s_delay_alu instid0(SALU_CYCLE_1) | instskip(NEXT) | instid1(SALU_CYCLE_1)
	s_mul_hi_u32 s2, s6, s2
	s_mul_i32 s3, s2, s14
	s_delay_alu instid0(SALU_CYCLE_1)
	s_sub_i32 s3, s6, s3
	s_add_i32 s6, s2, 1
	s_sub_i32 s7, s3, s14
	s_cmp_ge_u32 s3, s14
	s_cselect_b32 s2, s6, s2
	s_cselect_b32 s3, s7, s3
	s_add_i32 s6, s2, 1
	s_cmp_ge_u32 s3, s14
	s_cselect_b32 s50, s6, s2
.LBB14_3:
	s_add_i32 s6, s15, 1
	s_delay_alu instid0(SALU_CYCLE_1) | instskip(SKIP_4) | instid1(SALU_CYCLE_1)
	s_mul_i32 s2, s5, s6
	s_mul_hi_u32 s3, s4, s6
	s_mul_i32 s4, s4, s6
	s_add_i32 s3, s3, s2
	s_mov_b32 s2, 0
	s_cmp_lg_u64 s[2:3], 0
	s_cbranch_scc0 .LBB14_434
; %bb.4:
	v_fmamk_f32 v1, v1, 0x4f800000, v3
	s_sub_u32 s7, 0, s14
	s_subb_u32 s10, 0, 0
	s_delay_alu instid0(VALU_DEP_1) | instskip(SKIP_2) | instid1(VALU_DEP_1)
	v_rcp_f32_e32 v1, v1
	s_waitcnt_depctr 0xfff
	v_mul_f32_e32 v1, 0x5f7ffffc, v1
	v_mul_f32_e32 v3, 0x2f800000, v1
	s_delay_alu instid0(VALU_DEP_1) | instskip(NEXT) | instid1(VALU_DEP_1)
	v_trunc_f32_e32 v3, v3
	v_fmamk_f32 v1, v3, 0xcf800000, v1
	v_cvt_u32_f32_e32 v3, v3
	s_delay_alu instid0(VALU_DEP_2) | instskip(NEXT) | instid1(VALU_DEP_2)
	v_cvt_u32_f32_e32 v1, v1
	v_readfirstlane_b32 s5, v3
	s_delay_alu instid0(VALU_DEP_2) | instskip(NEXT) | instid1(VALU_DEP_2)
	v_readfirstlane_b32 s6, v1
	s_mul_i32 s12, s7, s5
	s_delay_alu instid0(VALU_DEP_1)
	s_mul_hi_u32 s16, s7, s6
	s_mul_i32 s13, s10, s6
	s_add_i32 s12, s16, s12
	s_mul_i32 s17, s7, s6
	s_add_i32 s12, s12, s13
	s_mul_hi_u32 s16, s6, s17
	s_mul_hi_u32 s18, s5, s17
	s_mul_i32 s13, s5, s17
	s_mul_hi_u32 s17, s6, s12
	s_mul_i32 s6, s6, s12
	s_mul_hi_u32 s19, s5, s12
	s_add_u32 s6, s16, s6
	s_addc_u32 s16, 0, s17
	s_add_u32 s6, s6, s13
	s_mul_i32 s12, s5, s12
	s_addc_u32 s6, s16, s18
	s_addc_u32 s13, s19, 0
	s_add_u32 s6, s6, s12
	s_addc_u32 s12, 0, s13
	v_add_co_u32 v1, s6, v1, s6
	s_delay_alu instid0(VALU_DEP_1) | instskip(SKIP_1) | instid1(VALU_DEP_1)
	s_cmp_lg_u32 s6, 0
	s_addc_u32 s5, s5, s12
	v_readfirstlane_b32 s6, v1
	s_mul_i32 s12, s7, s5
	s_delay_alu instid0(VALU_DEP_1)
	s_mul_hi_u32 s13, s7, s6
	s_mul_i32 s10, s10, s6
	s_add_i32 s12, s13, s12
	s_mul_i32 s7, s7, s6
	s_add_i32 s12, s12, s10
	s_mul_hi_u32 s13, s5, s7
	s_mul_i32 s16, s5, s7
	s_mul_hi_u32 s7, s6, s7
	s_mul_hi_u32 s17, s6, s12
	s_mul_i32 s6, s6, s12
	s_mul_hi_u32 s10, s5, s12
	s_add_u32 s6, s7, s6
	s_addc_u32 s7, 0, s17
	s_add_u32 s6, s6, s16
	s_mul_i32 s12, s5, s12
	s_addc_u32 s6, s7, s13
	s_addc_u32 s7, s10, 0
	s_add_u32 s6, s6, s12
	s_addc_u32 s7, 0, s7
	v_add_co_u32 v1, s6, v1, s6
	s_delay_alu instid0(VALU_DEP_1) | instskip(SKIP_2) | instid1(SALU_CYCLE_1)
	s_cmp_lg_u32 s6, 0
	s_addc_u32 s5, s5, s7
	s_ashr_i32 s6, s3, 31
	s_add_u32 s12, s4, s6
	s_addc_u32 s13, s3, s6
	v_readfirstlane_b32 s3, v1
	s_mov_b32 s7, s6
	s_delay_alu instid0(SALU_CYCLE_1) | instskip(NEXT) | instid1(SALU_CYCLE_1)
	s_xor_b64 s[12:13], s[12:13], s[6:7]
	s_mul_i32 s16, s12, s5
	s_delay_alu instid0(VALU_DEP_1)
	s_mul_hi_u32 s17, s12, s3
	s_mul_hi_u32 s10, s12, s5
	;; [unrolled: 1-line block ×3, first 2 shown]
	s_mul_i32 s3, s13, s3
	s_add_u32 s16, s17, s16
	s_addc_u32 s10, 0, s10
	s_mul_hi_u32 s18, s13, s5
	s_add_u32 s3, s16, s3
	s_mul_i32 s5, s13, s5
	s_addc_u32 s3, s10, s19
	s_addc_u32 s10, s18, 0
	s_add_u32 s3, s3, s5
	s_addc_u32 s5, 0, s10
	s_mul_i32 s16, s14, s3
	s_add_u32 s10, s3, 1
	v_sub_co_u32 v1, s12, s12, s16
	s_mul_hi_u32 s16, s14, s3
	s_addc_u32 s17, s5, 0
	s_mul_i32 s18, s14, s5
	s_delay_alu instid0(VALU_DEP_1)
	v_sub_co_u32 v3, s19, v1, s14
	s_add_u32 s20, s3, 2
	s_addc_u32 s21, s5, 0
	s_add_i32 s16, s16, s18
	s_cmp_lg_u32 s12, 0
	v_readfirstlane_b32 s12, v3
	s_subb_u32 s13, s13, s16
	s_cmp_lg_u32 s19, 0
	s_subb_u32 s16, s13, 0
	s_delay_alu instid0(VALU_DEP_1) | instskip(SKIP_4) | instid1(SALU_CYCLE_1)
	s_cmp_ge_u32 s12, s14
	s_cselect_b32 s12, -1, 0
	s_cmp_eq_u32 s16, 0
	v_readfirstlane_b32 s16, v1
	s_cselect_b32 s12, s12, -1
	s_cmp_lg_u32 s12, 0
	s_cselect_b32 s10, s20, s10
	s_cselect_b32 s12, s21, s17
	s_cmp_ge_u32 s16, s14
	s_cselect_b32 s16, -1, 0
	s_cmp_eq_u32 s13, 0
	s_cselect_b32 s13, s16, -1
	s_delay_alu instid0(SALU_CYCLE_1) | instskip(SKIP_2) | instid1(SALU_CYCLE_1)
	s_cmp_lg_u32 s13, 0
	s_cselect_b32 s13, s12, s5
	s_cselect_b32 s12, s10, s3
	s_xor_b64 s[12:13], s[12:13], s[6:7]
	s_delay_alu instid0(SALU_CYCLE_1)
	s_sub_u32 s54, s12, s6
	s_load_b64 s[12:13], s[0:1], 0x5c
	s_and_not1_b32 vcc_lo, exec_lo, s2
	s_cbranch_vccnz .LBB14_6
.LBB14_5:
	v_rcp_iflag_f32_e32 v1, v2
	s_sub_i32 s3, 0, s14
	s_waitcnt_depctr 0xfff
	v_mul_f32_e32 v1, 0x4f7ffffe, v1
	s_delay_alu instid0(VALU_DEP_1) | instskip(NEXT) | instid1(VALU_DEP_1)
	v_cvt_u32_f32_e32 v1, v1
	v_readfirstlane_b32 s2, v1
	s_delay_alu instid0(VALU_DEP_1) | instskip(NEXT) | instid1(SALU_CYCLE_1)
	s_mul_i32 s3, s3, s2
	s_mul_hi_u32 s3, s2, s3
	s_delay_alu instid0(SALU_CYCLE_1) | instskip(NEXT) | instid1(SALU_CYCLE_1)
	s_add_i32 s2, s2, s3
	s_mul_hi_u32 s2, s4, s2
	s_delay_alu instid0(SALU_CYCLE_1) | instskip(NEXT) | instid1(SALU_CYCLE_1)
	s_mul_i32 s3, s2, s14
	s_sub_i32 s3, s4, s3
	s_add_i32 s4, s2, 1
	s_sub_i32 s5, s3, s14
	s_cmp_ge_u32 s3, s14
	s_cselect_b32 s2, s4, s2
	s_cselect_b32 s3, s5, s3
	s_add_i32 s4, s2, 1
	s_cmp_ge_u32 s3, s14
	s_cselect_b32 s54, s4, s2
.LBB14_6:
	s_abs_i32 s73, s72
	s_clause 0x4
	s_load_b32 s2, s[0:1], 0x40
	s_load_b64 s[46:47], s[0:1], 0x8c
	s_load_b128 s[36:39], s[0:1], 0x98
	s_load_b64 s[42:43], s[0:1], 0xa8
	s_load_b64 s[52:53], s[0:1], 0xb8
	v_cvt_f32_u32_e32 v1, s73
	s_clause 0x1
	s_load_b512 s[16:31], s[0:1], 0x0
	s_load_b64 s[44:45], s[0:1], 0xc8
	s_sub_i32 s1, 0, s73
	s_abs_i32 s3, s50
	v_rcp_iflag_f32_e32 v1, v1
	s_ashr_i32 s51, s11, 3
	s_waitcnt lgkmcnt(0)
	s_ashr_i32 s55, s48, 3
	s_ashr_i32 s0, s50, 31
	s_ashr_i32 s74, s72, 31
	v_bfe_u32 v149, v0, 10, 10
	v_and_b32_e32 v104, 0x3ff, v0
	s_mov_b32 s57, 0
	s_delay_alu instid0(VALU_DEP_2)
	v_lshlrev_b32_e32 v215, 3, v149
	s_waitcnt_depctr 0xfff
	v_mul_f32_e32 v1, 0x4f7ffffe, v1
	s_ashr_i32 s34, s46, 2
	s_ashr_i32 s10, s38, 2
	;; [unrolled: 1-line block ×3, first 2 shown]
	v_cvt_f16_f32_e32 v0, s2
	v_cvt_u32_f32_e32 v1, v1
	v_lshlrev_b32_e32 v214, 4, v149
	v_and_b32_e32 v216, 1, v149
	v_lshrrev_b32_e32 v162, 3, v149
	v_and_b32_e32 v158, 7, v149
	v_readfirstlane_b32 s75, v1
	v_add_nc_u32_e32 v82, 2, v149
	v_add_nc_u32_e32 v81, 4, v149
	v_add_nc_u32_e32 v80, 6, v149
	v_add_nc_u32_e32 v79, 8, v149
	s_mul_i32 s1, s1, s75
	v_add_nc_u32_e32 v78, 10, v149
	s_mul_hi_u32 s1, s75, s1
	v_add_nc_u32_e32 v77, 12, v149
	s_add_i32 s75, s75, s1
	v_pack_b32_f16 v153, v0, v0
	s_mul_hi_u32 s1, s3, s75
	v_add_nc_u32_e32 v76, 14, v149
	s_mul_i32 s1, s1, s73
	s_delay_alu instid0(SALU_CYCLE_1) | instskip(NEXT) | instid1(SALU_CYCLE_1)
	s_sub_i32 s1, s3, s1
	s_sub_i32 s3, s1, s73
	s_cmp_ge_u32 s1, s73
	s_cselect_b32 s1, s3, s1
	s_delay_alu instid0(SALU_CYCLE_1) | instskip(SKIP_4) | instid1(SALU_CYCLE_1)
	s_sub_i32 s3, s1, s73
	s_cmp_ge_u32 s1, s73
	s_cselect_b32 s1, s3, s1
	s_sub_i32 s3, s54, s50
	s_xor_b32 s1, s1, s0
	s_sub_i32 s102, s1, s0
	s_delay_alu instid0(SALU_CYCLE_1) | instskip(NEXT) | instid1(SALU_CYCLE_1)
	s_add_i32 s3, s3, s102
	s_min_i32 s92, s72, s3
	s_cmp_gt_i32 s54, s50
	s_cselect_b32 s4, -1, 0
	s_cmp_le_i32 s54, s50
	s_cselect_b32 s0, -1, 0
	s_cmp_gt_i32 s72, s3
	s_cselect_b32 s1, -1, 0
	s_delay_alu instid0(SALU_CYCLE_1) | instskip(NEXT) | instid1(SALU_CYCLE_1)
	s_or_b32 s0, s1, s0
	s_and_b32 vcc_lo, exec_lo, s0
	s_cbranch_vccz .LBB14_9
; %bb.7:
	s_and_not1_b32 vcc_lo, exec_lo, s4
	s_cbranch_vccz .LBB14_378
.LBB14_8:
	s_endpgm
.LBB14_9:
	v_lshrrev_b32_e32 v1, 2, v104
	v_lshlrev_b32_e32 v3, 2, v104
	v_and_b32_e32 v4, 0x1f0, v215
	v_lshrrev_b32_e32 v163, 4, v104
	v_and_b32_e32 v28, 16, v214
	v_add_nc_u32_e32 v9, v1, v215
	v_and_b32_e32 v166, 12, v3
	v_and_b32_e32 v173, 15, v104
	v_lshlrev_b32_e32 v12, 1, v163
	v_lshlrev_b32_e32 v11, 1, v28
	v_mul_u32_u24_e32 v5, 0xd0, v9
	v_lshlrev_b32_e32 v6, 2, v166
	v_lshrrev_b32_e32 v25, 1, v149
	v_mad_u32_u24 v38, 0xd0, v28, 0
	v_lshlrev_b32_e32 v71, 2, v173
	v_add_nc_u32_e32 v73, v214, v104
	v_add3_u32 v5, 0, v5, v6
	v_and_or_b32 v6, v104, 8, v4
	v_or_b32_e32 v74, v214, v173
	v_add_nc_u32_e32 v72, v38, v71
	s_cmp_eq_u64 s[24:25], 0
	v_add_nc_u32_e32 v168, 0x80, v5
	v_add_nc_u32_e32 v170, 0xd80, v5
	v_lshrrev_b32_e32 v5, 3, v6
	v_add_nc_u32_e32 v13, 3, v25
	v_add_nc_u32_e32 v176, 64, v72
	;; [unrolled: 1-line block ×3, first 2 shown]
	v_or_b32_e32 v72, v215, v104
	v_mad_u32_u24 v10, 0x50, v5, 0
	v_lshl_add_u32 v18, v149, 1, v163
	v_mul_u32_u24_e32 v178, 0xd0, v73
	v_mad_u32_u24 v73, v74, 52, v163
	s_cselect_b32 s38, -1, 0
	v_add3_u32 v172, v10, v11, v12
	v_add_nc_u32_e32 v12, 2, v25
	s_cmp_lg_u64 s[26:27], 0
	v_add_nc_u32_e32 v11, 1, v25
	s_cselect_b32 s53, -1, 0
	s_lshl_b32 s56, s15, 4
	v_lshlrev_b32_e32 v16, 1, v12
	v_and_b32_e32 v17, 15, v12
	v_and_b32_e32 v19, 15, v13
	v_lshlrev_b32_e32 v72, 3, v72
	v_mad_u32_u24 v74, v149, 52, v104
	s_lshl_b64 s[4:5], s[56:57], 3
	v_and_or_b32 v40, 0x60, v16, v17
	v_lshlrev_b32_e32 v17, 1, v13
	v_lshl_add_u32 v179, v73, 2, 0
	v_add_nc_u32_e32 v73, 4, v18
	s_ashr_i32 s41, s40, 31
	s_ashr_i32 s35, s34, 31
	s_lshl_b32 s1, s34, 3
	s_ashr_i32 s11, s10, 31
	s_lshl_b32 s2, s10, 3
	v_lshlrev_b32_e32 v14, 1, v11
	v_and_b32_e32 v15, 15, v11
	v_add_nc_u32_e32 v75, 12, v18
	s_add_u32 s4, s30, s4
	v_mul_u32_u24_e32 v1, 0x50, v18
	v_cmp_gt_u32_e64 s0, 2, v18
	v_and_or_b32 v41, 0x60, v17, v19
	v_add_nc_u32_e32 v19, 9, v25
	v_add_co_u32 v83, s4, s4, v72
	v_lshl_add_u32 v180, v74, 2, 0
	v_lshrrev_b32_e32 v181, 3, v18
	v_mad_u32_u24 v72, v18, 52, v173
	v_and_b32_e32 v182, 7, v18
	v_add_nc_u32_e32 v74, 8, v18
	v_or_b32_e32 v18, 32, v173
	v_and_b32_e32 v185, 7, v73
	v_and_or_b32 v39, 0x60, v14, v15
	v_and_b32_e32 v188, 7, v75
	v_add_nc_u32_e32 v15, 5, v25
	v_mad_u64_u32 v[90:91], null, v182, s55, v[18:19]
	v_mad_u64_u32 v[91:92], null, v185, s55, v[18:19]
	s_delay_alu instid0(VALU_DEP_4)
	v_mad_u64_u32 v[92:93], null, v188, s55, v[18:19]
	v_mad_u32_u24 v18, v39, 52, v104
	v_add_nc_u32_e32 v14, 4, v25
	v_lshlrev_b32_e32 v22, 1, v15
	v_and_b32_e32 v23, 15, v15
	v_add_nc_u32_e32 v17, 7, v25
	v_lshl_add_u32 v18, v18, 2, 0
	v_lshlrev_b32_e32 v20, 1, v14
	v_and_b32_e32 v21, 15, v14
	v_and_or_b32 v43, 0x60, v22, v23
	v_and_b32_e32 v22, 15, v17
	scratch_store_b32 off, v18, off offset:144 ; 4-byte Folded Spill
	v_mad_u32_u24 v18, v41, 52, v104
	v_and_or_b32 v42, 0x60, v20, v21
	v_lshlrev_b32_e32 v21, 1, v17
	v_add_nc_u32_e32 v16, 6, v25
	v_add_nc_u32_e32 v45, 8, v25
	v_lshl_add_u32 v18, v18, 2, 0
	v_and_b32_e32 v29, 15, v19
	v_and_or_b32 v46, 0x60, v21, v22
	v_lshlrev_b32_e32 v24, 1, v16
	v_and_b32_e32 v27, 15, v16
	scratch_store_b32 off, v18, off offset:216 ; 4-byte Folded Spill
	v_mad_u32_u24 v18, v43, 52, v104
	v_add_nc_u32_e32 v21, 11, v25
	v_lshlrev_b32_e32 v23, 1, v45
	v_and_or_b32 v44, 0x60, v24, v27
	v_lshlrev_b32_e32 v27, 1, v19
	v_lshl_add_u32 v18, v18, 2, 0
	v_and_b32_e32 v24, 15, v45
	v_add_nc_u32_e32 v20, 10, v25
	v_add_nc_u32_e32 v51, 15, v25
	v_and_or_b32 v48, 0x60, v27, v29
	scratch_store_b32 off, v18, off offset:296 ; 4-byte Folded Spill
	v_mad_u32_u24 v18, v46, 52, v104
	v_lshlrev_b32_e32 v27, 1, v21
	v_and_b32_e32 v29, 15, v21
	v_and_or_b32 v47, 0x60, v23, v24
	v_add_nc_u32_e32 v23, 13, v25
	v_lshl_add_u32 v18, v18, 2, 0
	v_add_nc_u32_e32 v10, v163, v149
	v_and_or_b32 v50, 0x60, v27, v29
	v_lshlrev_b32_e32 v30, 1, v20
	v_lshlrev_b32_e32 v32, 1, v23
	scratch_store_b32 off, v18, off offset:360 ; 4-byte Folded Spill
	v_lshrrev_b32_e32 v18, 3, v45
	v_and_b32_e32 v33, 15, v23
	v_and_b32_e32 v31, 15, v20
	v_add_nc_u32_e32 v22, 12, v25
	v_add_nc_u32_e32 v24, 14, v25
	scratch_store_b32 off, v18, off offset:364 ; 4-byte Folded Spill
	v_mad_u32_u24 v18, v48, 52, v104
	v_and_or_b32 v53, 0x60, v32, v33
	v_lshlrev_b32_e32 v25, 1, v51
	v_and_b32_e32 v27, 15, v51
	v_and_or_b32 v49, 0x60, v30, v31
	v_lshl_add_u32 v18, v18, 2, 0
	v_lshlrev_b32_e32 v30, 1, v22
	v_and_b32_e32 v31, 15, v22
	v_add_nc_u32_e32 v55, 2, v10
	v_and_or_b32 v56, 0x60, v25, v27
	scratch_store_b32 off, v18, off offset:408 ; 4-byte Folded Spill
	v_mad_u32_u24 v18, v50, 52, v104
	v_and_or_b32 v52, 0x60, v30, v31
	v_lshlrev_b32_e32 v31, 1, v55
	v_and_b32_e32 v32, 15, v55
	v_lshlrev_b32_e32 v29, 1, v10
	v_lshl_add_u32 v18, v18, 2, 0
	v_and_b32_e32 v30, 15, v10
	v_add_nc_u32_e32 v59, 6, v10
	v_and_or_b32 v60, 0x1e0, v31, v32
	v_add_nc_u32_e32 v57, 4, v10
	scratch_store_b32 off, v18, off offset:448 ; 4-byte Folded Spill
	v_mad_u32_u24 v18, v53, 52, v104
	v_and_or_b32 v58, 0xe0, v29, v30
	v_lshlrev_b32_e32 v29, 1, v59
	v_and_b32_e32 v30, 15, v59
	v_lshlrev_b32_e32 v25, 1, v57
	v_lshl_add_u32 v18, v18, 2, 0
	v_and_b32_e32 v27, 15, v57
	v_add_nc_u32_e32 v62, 10, v10
	v_and_or_b32 v65, 0x1e0, v29, v30
	v_add_nc_u32_e32 v61, 8, v10
	scratch_store_b32 off, v18, off offset:488 ; 4-byte Folded Spill
	v_mad_u32_u24 v18, v56, 52, v104
	v_and_or_b32 v63, 0x1e0, v25, v27
	v_lshlrev_b32_e32 v27, 1, v62
	v_and_b32_e32 v29, 15, v62
	v_lshlrev_b32_e32 v31, 1, v61
	v_lshl_add_u32 v18, v18, 2, 0
	v_and_b32_e32 v32, 15, v61
	s_addc_u32 s5, s31, s5
	s_abs_i32 s76, s52
	s_abs_i32 s77, s71
	scratch_store_b32 off, v18, off offset:520 ; 4-byte Folded Spill
	v_mad_u32_u24 v18, v60, 52, v173
	v_lshlrev_b32_e32 v34, 1, v24
	v_and_b32_e32 v35, 15, v24
	v_add_nc_u32_e32 v64, 12, v10
	v_and_or_b32 v68, 0x1e0, v27, v29
	v_lshl_add_u32 v18, v18, 2, 0
	v_and_or_b32 v66, 0x1e0, v31, v32
	v_cvt_f32_u32_e32 v25, s76
	v_cvt_f32_u32_e32 v31, s77
	v_and_or_b32 v54, 0x60, v34, v35
	scratch_store_b32 off, v18, off offset:152 ; 4-byte Folded Spill
	v_mad_u32_u24 v18, v65, 52, v173
	v_lshlrev_b32_e32 v30, 1, v64
	v_add_nc_u32_e32 v67, 14, v10
	v_and_b32_e32 v34, 15, v64
	v_rcp_iflag_f32_e32 v32, v25
	v_lshl_add_u32 v18, v18, 2, 0
	v_rcp_iflag_f32_e32 v31, v31
	s_abs_i32 s78, s70
	s_abs_i32 s79, s69
	v_lshlrev_b32_e32 v35, 1, v67
	scratch_store_b32 off, v18, off offset:224 ; 4-byte Folded Spill
	v_lshrrev_b32_e32 v18, 3, v61
	v_and_b32_e32 v37, 15, v67
	v_and_or_b32 v69, 0x1e0, v30, v34
	v_lshlrev_b32_e32 v0, 1, v104
	v_cvt_f32_u32_e32 v25, s78
	v_mul_f32_e32 v27, 0x4f7ffffe, v31
	scratch_store_b32 off, v18, off offset:228 ; 4-byte Folded Spill
	v_mad_u32_u24 v18, v68, 52, v173
	v_cvt_f32_u32_e32 v33, s79
	v_lshrrev_b32_e32 v7, 3, v104
	v_and_or_b32 v70, 0x1e0, v35, v37
	v_rcp_iflag_f32_e32 v36, v25
	v_lshl_add_u32 v18, v18, 2, 0
	v_rcp_iflag_f32_e32 v33, v33
	v_and_b32_e32 v164, 30, v0
	v_mul_lo_u32 v0, s34, v9
	v_mul_lo_u32 v25, s10, v9
	scratch_store_b32 off, v18, off offset:304 ; 4-byte Folded Spill
	v_mul_u32_u24_e32 v18, 0xd0, v69
	v_mul_f32_e32 v9, 0x4f7ffffe, v32
	v_lshl_add_u32 v26, v149, 2, v7
	v_mad_u32_u24 v165, 0xd0, v4, 0
	s_sub_i32 s3, 0, s76
	v_mul_f32_e32 v29, 0x4f7ffffe, v33
	scratch_store_b32 off, v18, off offset:340 ; 4-byte Folded Spill
	v_mad_u32_u24 v18, v70, 52, v173
	v_cvt_u32_f32_e32 v34, v9
	v_mul_lo_u32 v4, s34, v26
	v_mul_u32_u24_e32 v7, 0xd0, v26
	v_cvt_u32_f32_e32 v30, v27
	v_mul_lo_u32 v27, s10, v26
	v_ashrrev_i32_e32 v26, 31, v25
	v_lshl_add_u32 v18, v18, 2, 0
	v_mul_lo_u32 v31, s3, v34
	v_mul_f32_e32 v9, 0x4f7ffffe, v36
	v_cvt_u32_f32_e32 v32, v29
	v_lshlrev_b64 v[93:94], 2, v[25:26]
	scratch_store_b32 off, v18, off offset:372 ; 4-byte Folded Spill
	v_and_b32_e32 v18, 3, v104
	v_lshlrev_b32_e32 v2, 1, v164
	v_readfirstlane_b32 s6, v32
	v_mul_hi_u32 v36, v34, v31
	v_lshl_add_u32 v31, s10, 4, v25
	v_lshlrev_b32_e32 v239, 4, v18
	v_add_co_u32 v18, vcc_lo, v93, s20
	v_add_co_ci_u32_e32 v25, vcc_lo, s21, v94, vcc_lo
	s_delay_alu instid0(VALU_DEP_4) | instskip(NEXT) | instid1(VALU_DEP_3)
	v_ashrrev_i32_e32 v32, 31, v31
	v_add_co_u32 v18, vcc_lo, 0x80, v18
	v_add3_u32 v167, 0, v1, v2
	v_ashrrev_i32_e32 v1, 31, v0
	s_delay_alu instid0(VALU_DEP_4)
	v_lshlrev_b64 v[95:96], 2, v[31:32]
	scratch_store_b32 off, v18, off offset:40 ; 4-byte Folded Spill
	v_add_co_ci_u32_e32 v18, vcc_lo, 0, v25, vcc_lo
	v_lshlrev_b64 v[97:98], 2, v[0:1]
	v_lshl_add_u32 v2, s34, 4, v0
	v_and_b32_e32 v169, 28, v3
	scratch_store_b32 off, v18, off offset:44 ; 4-byte Folded Spill
	v_add_co_u32 v18, vcc_lo, v95, s20
	v_add_co_ci_u32_e32 v25, vcc_lo, s21, v96, vcc_lo
	v_ashrrev_i32_e32 v3, 31, v2
	s_delay_alu instid0(VALU_DEP_3) | instskip(SKIP_2) | instid1(VALU_DEP_4)
	v_add_co_u32 v18, vcc_lo, 0x80, v18
	v_lshl_add_u32 v183, v72, 2, 0
	v_bfe_u32 v72, v149, 1, 4
	v_lshlrev_b64 v[109:110], 2, v[2:3]
	scratch_store_b32 off, v18, off offset:48 ; 4-byte Folded Spill
	v_add_co_ci_u32_e32 v18, vcc_lo, 0, v25, vcc_lo
	v_add_co_u32 v0, vcc_lo, v97, s18
	v_add_co_ci_u32_e32 v1, vcc_lo, s19, v98, vcc_lo
	v_and_or_b32 v72, v149, 32, v72
	s_delay_alu instid0(VALU_DEP_3) | instskip(SKIP_2) | instid1(VALU_DEP_4)
	v_add_co_u32 v0, vcc_lo, 0x80, v0
	v_mul_u32_u24_e32 v39, 0xd0, v39
	v_lshrrev_b32_e32 v184, 3, v73
	v_mad_u32_u24 v73, v72, 52, v104
	scratch_store_b32 off, v0, off offset:56 ; 4-byte Folded Spill
	v_add_co_ci_u32_e32 v0, vcc_lo, 0, v1, vcc_lo
	v_mul_u32_u24_e32 v72, 0xd0, v72
	v_add_co_ci_u32_e64 v84, null, s5, 0, s4
	scratch_store_b32 off, v0, off offset:60 ; 4-byte Folded Spill
	v_add_co_u32 v0, vcc_lo, v109, s18
	v_add_co_ci_u32_e32 v1, vcc_lo, s19, v110, vcc_lo
	v_readfirstlane_b32 s7, v30
	s_delay_alu instid0(VALU_DEP_3)
	v_add_co_u32 v0, vcc_lo, 0x80, v0
	v_cvt_u32_f32_e32 v9, v9
	s_sub_i32 s4, 0, s77
	s_sub_i32 s5, 0, s79
	scratch_store_b32 off, v0, off offset:64 ; 4-byte Folded Spill
	v_add_co_ci_u32_e32 v0, vcc_lo, 0, v1, vcc_lo
	s_mul_i32 s4, s4, s7
	v_readfirstlane_b32 s56, v9
	s_mul_hi_u32 s4, s7, s4
	scratch_store_b32 off, v0, off offset:68 ; 4-byte Folded Spill
	v_lshrrev_b32_e32 v0, 3, v11
	scratch_store_b32 off, v39, off offset:140 ; 4-byte Folded Spill
	v_mul_u32_u24_e32 v39, 0xd0, v40
	s_add_i32 s81, s7, s4
	s_sub_i32 s4, 0, s78
	scratch_store_b32 off, v0, off offset:32 ; 4-byte Folded Spill
	v_and_b32_e32 v0, 7, v11
	scratch_store_b32 off, v72, off offset:16 ; 4-byte Folded Spill
	v_lshl_add_u32 v72, v73, 2, 0
	s_mul_i32 s4, s4, s56
	s_mul_i32 s5, s5, s6
	scratch_store_b64 off, v[0:1], off      ; 8-byte Folded Spill
	v_lshrrev_b32_e32 v0, 3, v12
	s_mul_hi_u32 s4, s56, s4
	v_ashrrev_i32_e32 v28, 31, v27
	s_add_i32 s83, s56, s4
	s_mul_hi_u32 s4, s6, s5
	scratch_store_b32 off, v0, off offset:156 ; 4-byte Folded Spill
	v_and_b32_e32 v0, 7, v12
	s_add_i32 s85, s6, s4
	v_add_nc_u32_e32 v33, s2, v27
	v_lshlrev_b64 v[99:100], 2, v[27:28]
	v_add_nc_u32_e32 v174, v34, v36
	scratch_store_b64 off, v[0:1], off offset:116 ; 8-byte Folded Spill
	v_lshrrev_b32_e32 v0, 3, v13
	v_ashrrev_i32_e32 v34, 31, v33
	v_add_nc_u32_e32 v35, s2, v33
	v_mad_u32_u24 v175, 0xd0, v173, v38
	v_lshlrev_b32_e32 v8, 2, v169
	scratch_store_b32 off, v0, off offset:196 ; 4-byte Folded Spill
	v_and_b32_e32 v0, 7, v13
	v_lshlrev_b64 v[101:102], 2, v[33:34]
	v_ashrrev_i32_e32 v36, 31, v35
	v_add_nc_u32_e32 v37, s2, v35
	v_add_nc_u32_e32 v6, s1, v4
	scratch_store_b64 off, v[0:1], off offset:164 ; 8-byte Folded Spill
	v_lshrrev_b32_e32 v0, 3, v14
	v_lshlrev_b64 v[105:106], 2, v[35:36]
	v_ashrrev_i32_e32 v38, 31, v37
	v_add3_u32 v171, 0, v7, v8
	v_add_nc_u32_e32 v8, s1, v6
	scratch_store_b32 off, v0, off offset:232 ; 4-byte Folded Spill
	v_and_b32_e32 v0, 7, v14
	v_lshlrev_b64 v[107:108], 2, v[37:38]
	v_ashrrev_i32_e32 v5, 31, v4
	v_ashrrev_i32_e32 v7, 31, v6
	v_add_nc_u32_e32 v29, s1, v8
	scratch_store_b64 off, v[0:1], off offset:204 ; 8-byte Folded Spill
	v_lshrrev_b32_e32 v0, 3, v15
	v_lshlrev_b64 v[111:112], 2, v[4:5]
	v_ashrrev_i32_e32 v9, 31, v8
	v_lshlrev_b64 v[113:114], 2, v[6:7]
	v_ashrrev_i32_e32 v30, 31, v29
	scratch_store_b32 off, v0, off offset:268 ; 4-byte Folded Spill
	v_and_b32_e32 v0, 7, v15
	v_and_b32_e32 v160, 7, v82
	;; [unrolled: 1-line block ×3, first 2 shown]
	v_lshlrev_b64 v[115:116], 2, v[8:9]
	v_and_b32_e32 v189, 7, v80
	scratch_store_b64 off, v[0:1], off offset:236 ; 8-byte Folded Spill
	v_lshrrev_b32_e32 v0, 3, v16
	v_and_b32_e32 v215, 7, v78
	v_and_b32_e32 v213, 7, v77
	v_mad_u64_u32 v[139:140], null, v158, s55, v[104:105]
	scratch_store_b32 off, v0, off offset:308 ; 4-byte Folded Spill
	v_and_b32_e32 v0, 7, v16
	v_lshlrev_b64 v[117:118], 2, v[29:30]
	v_and_b32_e32 v211, 7, v76
	v_mad_u64_u32 v[140:141], null, v160, s55, v[104:105]
	scratch_store_b64 off, v[0:1], off offset:276 ; 8-byte Folded Spill
	v_lshrrev_b32_e32 v0, 3, v17
	v_mad_u64_u32 v[141:142], null, v103, s55, v[104:105]
	v_mad_u64_u32 v[142:143], null, v189, s55, v[104:105]
	scratch_store_b32 off, v0, off offset:348 ; 4-byte Folded Spill
	v_and_b32_e32 v0, 7, v17
	v_and_b32_e32 v254, 7, v104
	v_mad_u64_u32 v[143:144], null, v215, s55, v[104:105]
	v_mad_u64_u32 v[144:145], null, v213, s55, v[104:105]
	scratch_store_b64 off, v[0:1], off offset:316 ; 8-byte Folded Spill
	v_lshrrev_b32_e32 v0, 3, v19
	v_mad_u64_u32 v[145:146], null, v211, s55, v[104:105]
	v_cmp_eq_u32_e64 s1, 0, v216
	v_cmp_eq_u32_e64 s2, 1, v216
	scratch_store_b32 off, v0, off offset:392 ; 4-byte Folded Spill
	v_and_b32_e32 v0, 7, v19
	v_cmp_gt_u32_e64 s3, 16, v104
	v_lshrrev_b32_e32 v186, 3, v74
	v_lshrrev_b32_e32 v187, 3, v75
	v_mul_u32_u24_e32 v248, 0xd0, v173
	scratch_store_b64 off, v[0:1], off offset:376 ; 8-byte Folded Spill
	v_lshrrev_b32_e32 v0, 3, v20
	v_add_nc_u32_e32 v249, 0x680, v171
	v_add_nc_u32_e32 v250, 0xd00, v171
	;; [unrolled: 1-line block ×3, first 2 shown]
	v_xor_b32_e32 v252, 1, v163
	scratch_store_b32 off, v0, off offset:412 ; 4-byte Folded Spill
	v_and_b32_e32 v0, 7, v20
	v_mad_i32_i24 v253, 0xffffff34, v173, v175
	v_lshrrev_b32_e32 v255, 3, v82
	v_lshrrev_b32_e32 v161, 3, v81
	;; [unrolled: 1-line block ×3, first 2 shown]
	scratch_store_b64 off, v[0:1], off offset:396 ; 8-byte Folded Spill
	v_lshrrev_b32_e32 v0, 3, v21
	v_lshrrev_b32_e32 v190, 3, v79
	v_lshrrev_b32_e32 v214, 3, v78
	v_lshrrev_b32_e32 v212, 3, v77
	v_lshrrev_b32_e32 v210, 3, v76
	scratch_store_b32 off, v0, off offset:432 ; 4-byte Folded Spill
	v_and_b32_e32 v0, 7, v21
	v_lshrrev_b32_e32 v131, 4, v149
	v_lshrrev_b32_e32 v126, 3, v10
	v_and_b32_e32 v132, 7, v10
	v_lshlrev_b32_e32 v202, 4, v254
	scratch_store_b64 off, v[0:1], off offset:416 ; 8-byte Folded Spill
	v_lshrrev_b32_e32 v0, 3, v22
	v_mbcnt_lo_u32_b32 v231, -1, 0
	v_bfe_u32 v146, v149, 1, 3
	v_mov_b32_e32 v216, 0
	s_mul_i32 s46, s8, s9
	scratch_store_b32 off, v0, off offset:452 ; 4-byte Folded Spill
	v_and_b32_e32 v0, 7, v22
	s_ashr_i32 s80, s71, 31
	s_ashr_i32 s82, s70, 31
	;; [unrolled: 1-line block ×3, first 2 shown]
	s_lshl_b64 s[58:59], s[40:41], 1
	scratch_store_b64 off, v[0:1], off offset:436 ; 8-byte Folded Spill
	v_lshrrev_b32_e32 v0, 3, v23
	s_lshl_b64 s[60:61], s[10:11], 7
	s_lshl_b64 s[62:63], s[34:35], 7
	scratch_store_b32 off, v0, off offset:472 ; 4-byte Folded Spill
	v_and_b32_e32 v0, 7, v23
	scratch_store_b64 off, v[0:1], off offset:456 ; 8-byte Folded Spill
	v_lshrrev_b32_e32 v0, 3, v24
	scratch_store_b32 off, v0, off offset:492 ; 4-byte Folded Spill
	v_and_b32_e32 v0, 7, v24
	scratch_store_b64 off, v[0:1], off offset:476 ; 8-byte Folded Spill
	v_lshrrev_b32_e32 v0, 3, v51
	scratch_store_b32 off, v0, off offset:512 ; 4-byte Folded Spill
	v_and_b32_e32 v0, 7, v51
	scratch_store_b64 off, v[0:1], off offset:496 ; 8-byte Folded Spill
	v_lshrrev_b32_e32 v0, 3, v55
	s_clause 0x1
	scratch_store_b32 off, v39, off offset:180
	scratch_store_b32 off, v0, off offset:36
	v_and_b32_e32 v0, 7, v55
	s_clause 0x1
	scratch_store_b64 off, v[83:84], off offset:132
	scratch_store_b32 off, v72, off offset:20
	v_mad_u32_u24 v72, v40, 52, v104
	v_mul_u32_u24_e32 v40, 0xd0, v41
	scratch_store_b64 off, v[0:1], off offset:8 ; 8-byte Folded Spill
	v_lshrrev_b32_e32 v0, 3, v57
	v_lshl_add_u32 v39, v72, 2, 0
	scratch_store_b32 off, v40, off offset:212 ; 4-byte Folded Spill
	v_mul_u32_u24_e32 v40, 0xd0, v42
	scratch_store_b32 off, v0, off offset:160 ; 4-byte Folded Spill
	v_and_b32_e32 v0, 7, v57
	scratch_store_b32 off, v39, off offset:184 ; 4-byte Folded Spill
	v_mad_u32_u24 v39, v42, 52, v104
	scratch_store_b64 off, v[0:1], off offset:124 ; 8-byte Folded Spill
	v_lshrrev_b32_e32 v0, 3, v59
	v_lshl_add_u32 v39, v39, 2, 0
	s_clause 0x1
	scratch_store_b32 off, v0, off offset:200
	scratch_store_b32 off, v39, off offset:256
	v_mad_u32_u24 v39, v44, 52, v104
	v_and_b32_e32 v0, 7, v59
	s_delay_alu instid0(VALU_DEP_2)
	v_lshl_add_u32 v39, v39, 2, 0
	s_clause 0x1
	scratch_store_b32 off, v40, off offset:252
	scratch_store_b64 off, v[0:1], off offset:172
	v_lshrrev_b32_e32 v0, 3, v62
	v_mul_u32_u24_e32 v40, 0xd0, v43
	scratch_store_b32 off, v39, off offset:336 ; 4-byte Folded Spill
	v_mul_u32_u24_e32 v39, 0xd0, v46
	scratch_store_b32 off, v0, off offset:272 ; 4-byte Folded Spill
	v_and_b32_e32 v0, 7, v62
	scratch_store_b32 off, v39, off offset:356 ; 4-byte Folded Spill
	v_mad_u32_u24 v39, v47, 52, v104
	scratch_store_b64 off, v[0:1], off offset:244 ; 8-byte Folded Spill
	v_lshrrev_b32_e32 v0, 3, v64
	v_lshl_add_u32 v39, v39, 2, 0
	scratch_store_b32 off, v40, off offset:292 ; 4-byte Folded Spill
	v_mul_u32_u24_e32 v40, 0xd0, v44
	scratch_store_b32 off, v0, off offset:312 ; 4-byte Folded Spill
	v_and_b32_e32 v0, 7, v64
	scratch_store_b32 off, v39, off offset:388 ; 4-byte Folded Spill
	v_mad_u32_u24 v39, v49, 52, v104
	scratch_store_b64 off, v[0:1], off offset:284 ; 8-byte Folded Spill
	v_lshrrev_b32_e32 v0, 3, v67
	v_lshl_add_u32 v39, v39, 2, 0
	s_clause 0x1
	scratch_store_b32 off, v0, off offset:352
	scratch_store_b32 off, v39, off offset:428
	v_mad_u32_u24 v39, v52, 52, v104
	v_and_b32_e32 v0, 7, v67
	s_delay_alu instid0(VALU_DEP_2)
	v_lshl_add_u32 v39, v39, 2, 0
	scratch_store_b32 off, v40, off offset:332 ; 4-byte Folded Spill
	v_mul_u32_u24_e32 v40, 0xd0, v47
	scratch_store_b64 off, v[0:1], off offset:324 ; 8-byte Folded Spill
	v_add_co_u32 v0, s4, s22, v71
	scratch_store_b32 off, v39, off offset:468 ; 4-byte Folded Spill
	v_mad_u32_u24 v39, v54, 52, v104
	scratch_store_b32 off, v40, off offset:384 ; 4-byte Folded Spill
	v_mul_u32_u24_e32 v40, 0xd0, v48
	scratch_store_b32 off, v0, off offset:72 ; 4-byte Folded Spill
	v_add_co_ci_u32_e64 v0, null, s23, 0, s4
	v_lshl_add_u32 v39, v39, 2, 0
	scratch_store_b32 off, v40, off offset:404 ; 4-byte Folded Spill
	v_mul_u32_u24_e32 v40, 0xd0, v49
	s_clause 0x2
	scratch_store_b32 off, v18, off offset:52
	scratch_store_b32 off, v0, off offset:76
	;; [unrolled: 1-line block ×3, first 2 shown]
	v_mad_u32_u24 v39, v58, 52, v173
	scratch_store_b32 off, v40, off offset:424 ; 4-byte Folded Spill
	v_mul_u32_u24_e32 v40, 0xd0, v50
	v_add_co_u32 v0, vcc_lo, s20, v99
	v_lshl_add_u32 v39, v39, 2, 0
	scratch_store_b32 off, v40, off offset:444 ; 4-byte Folded Spill
	v_mul_u32_u24_e32 v40, 0xd0, v52
	s_clause 0x1
	scratch_store_b32 off, v0, off offset:80
	scratch_store_b32 off, v39, off offset:28
	v_mad_u32_u24 v39, v63, 52, v173
	v_add_co_ci_u32_e32 v0, vcc_lo, s21, v100, vcc_lo
	scratch_store_b32 off, v40, off offset:464 ; 4-byte Folded Spill
	v_mul_u32_u24_e32 v40, 0xd0, v53
	v_lshl_add_u32 v39, v39, 2, 0
	scratch_store_b32 off, v0, off offset:84 ; 4-byte Folded Spill
	v_add_co_u32 v0, vcc_lo, s20, v101
	scratch_store_b32 off, v40, off offset:484 ; 4-byte Folded Spill
	v_mul_u32_u24_e32 v40, 0xd0, v54
	scratch_store_b32 off, v39, off offset:192 ; 4-byte Folded Spill
	v_mul_u32_u24_e32 v39, 0xd0, v65
	scratch_store_b32 off, v0, off offset:88 ; 4-byte Folded Spill
	v_add_co_ci_u32_e32 v0, vcc_lo, s21, v102, vcc_lo
	scratch_store_b32 off, v40, off offset:504 ; 4-byte Folded Spill
	v_mul_u32_u24_e32 v40, 0xd0, v56
	scratch_store_b32 off, v39, off offset:220 ; 4-byte Folded Spill
	v_mad_u32_u24 v39, v66, 52, v173
	scratch_store_b32 off, v0, off offset:92 ; 4-byte Folded Spill
	v_add_co_u32 v0, vcc_lo, s20, v105
	scratch_store_b32 off, v40, off offset:516 ; 4-byte Folded Spill
	v_mul_u32_u24_e32 v40, 0xd0, v58
	v_lshl_add_u32 v39, v39, 2, 0
	scratch_store_b32 off, v0, off offset:96 ; 4-byte Folded Spill
	v_add_co_ci_u32_e32 v0, vcc_lo, s21, v106, vcc_lo
	scratch_store_b32 off, v40, off offset:24 ; 4-byte Folded Spill
	v_mul_u32_u24_e32 v40, 0xd0, v60
	scratch_store_b32 off, v39, off offset:264 ; 4-byte Folded Spill
	v_mad_u32_u24 v39, v69, 52, v173
	scratch_store_b32 off, v0, off offset:100 ; 4-byte Folded Spill
	v_add_co_u32 v0, vcc_lo, s20, v107
	scratch_store_b32 off, v40, off offset:148 ; 4-byte Folded Spill
	v_mul_u32_u24_e32 v40, 0xd0, v63
	v_lshl_add_u32 v39, v39, 2, 0
	scratch_store_b32 off, v0, off offset:104 ; 4-byte Folded Spill
	v_add_co_ci_u32_e32 v0, vcc_lo, s21, v108, vcc_lo
	scratch_store_b32 off, v40, off offset:188 ; 4-byte Folded Spill
	v_mul_u32_u24_e32 v40, 0xd0, v66
	scratch_store_b32 off, v39, off offset:344 ; 4-byte Folded Spill
	v_mul_u32_u24_e32 v39, 0xd0, v70
	scratch_store_b32 off, v0, off offset:108 ; 4-byte Folded Spill
	v_add_co_u32 v0, vcc_lo, s18, v111
	scratch_store_b32 off, v40, off offset:260 ; 4-byte Folded Spill
	v_mul_u32_u24_e32 v40, 0xd0, v68
	scratch_store_b32 off, v39, off offset:368 ; 4-byte Folded Spill
	v_add_co_ci_u32_e32 v201, vcc_lo, s19, v112, vcc_lo
	v_add_co_u32 v127, vcc_lo, s18, v113
	scratch_store_b32 off, v40, off offset:300 ; 4-byte Folded Spill
	v_add_co_ci_u32_e32 v124, vcc_lo, s19, v114, vcc_lo
	v_add_co_u32 v123, vcc_lo, s18, v115
	v_add_co_ci_u32_e32 v137, vcc_lo, s19, v116, vcc_lo
	v_add_co_u32 v197, vcc_lo, s18, v117
	v_add_co_ci_u32_e32 v198, vcc_lo, s19, v118, vcc_lo
	scratch_store_b32 off, v0, off offset:112 ; 4-byte Folded Spill
	s_branch .LBB14_12
.LBB14_10:                              ;   in Loop: Header=BB14_12 Depth=1
	s_or_b32 exec_lo, exec_lo, s6
	s_waitcnt_vscnt null, 0x0
	s_barrier
.LBB14_11:                              ;   in Loop: Header=BB14_12 Depth=1
	s_add_i32 s4, s50, s72
	s_mov_b32 s102, 0
	s_abs_i32 s5, s4
	s_waitcnt_vscnt null, 0x0
	buffer_gl0_inv
	s_mul_hi_u32 s6, s5, s75
	s_delay_alu instid0(SALU_CYCLE_1) | instskip(NEXT) | instid1(SALU_CYCLE_1)
	s_mul_i32 s6, s6, s73
	s_sub_i32 s5, s5, s6
	s_ashr_i32 s6, s4, 31
	s_sub_i32 s7, s5, s73
	s_cmp_ge_u32 s5, s73
	s_cselect_b32 s5, s7, s5
	s_delay_alu instid0(SALU_CYCLE_1) | instskip(SKIP_2) | instid1(SALU_CYCLE_1)
	s_sub_i32 s7, s5, s73
	s_cmp_ge_u32 s5, s73
	s_cselect_b32 s5, s7, s5
	s_xor_b32 s5, s5, s6
	s_delay_alu instid0(SALU_CYCLE_1) | instskip(NEXT) | instid1(SALU_CYCLE_1)
	s_sub_i32 s5, s6, s5
	s_add_i32 s50, s4, s5
	s_delay_alu instid0(SALU_CYCLE_1) | instskip(NEXT) | instid1(SALU_CYCLE_1)
	s_sub_i32 s5, s54, s50
	s_min_i32 s92, s72, s5
	s_cmp_gt_i32 s54, s50
	s_cselect_b32 s4, -1, 0
	s_cmp_le_i32 s72, s5
	s_cselect_b32 s5, -1, 0
	s_delay_alu instid0(SALU_CYCLE_1) | instskip(NEXT) | instid1(SALU_CYCLE_1)
	s_and_b32 s5, s5, s4
	s_and_b32 vcc_lo, exec_lo, s5
	s_cbranch_vccz .LBB14_377
.LBB14_12:                              ; =>This Loop Header: Depth=1
                                        ;     Child Loop BB14_249 Depth 2
                                        ;     Child Loop BB14_66 Depth 2
	s_abs_i32 s4, s50
	s_ashr_i32 s6, s50, 31
	s_mul_hi_u32 s5, s4, s81
	s_xor_b32 s6, s6, s80
	s_mul_i32 s7, s5, s77
	s_delay_alu instid0(SALU_CYCLE_1)
	s_sub_i32 s4, s4, s7
	s_add_i32 s7, s5, 1
	s_sub_i32 s41, s4, s77
	s_cmp_ge_u32 s4, s77
	s_cselect_b32 s5, s7, s5
	s_cselect_b32 s4, s41, s4
	s_add_i32 s7, s5, 1
	s_cmp_ge_u32 s4, s77
	s_cselect_b32 s4, s7, s5
	s_delay_alu instid0(SALU_CYCLE_1) | instskip(NEXT) | instid1(SALU_CYCLE_1)
	s_xor_b32 s4, s4, s6
	s_sub_i32 s4, s4, s6
	s_delay_alu instid0(SALU_CYCLE_1) | instskip(NEXT) | instid1(SALU_CYCLE_1)
	s_mul_i32 s5, s4, s71
	s_sub_i32 s6, s50, s5
	s_delay_alu instid0(SALU_CYCLE_1) | instskip(SKIP_4) | instid1(SALU_CYCLE_1)
	s_abs_i32 s5, s6
	s_ashr_i32 s41, s6, 31
	s_mul_hi_u32 s7, s5, s83
	s_xor_b32 s41, s41, s82
	s_mul_i32 s56, s7, s78
	s_sub_i32 s5, s5, s56
	s_add_i32 s56, s7, 1
	s_sub_i32 s59, s5, s78
	s_cmp_ge_u32 s5, s78
	s_cselect_b32 s7, s56, s7
	s_cselect_b32 s5, s59, s5
	s_add_i32 s56, s7, 1
	s_cmp_ge_u32 s5, s78
	s_cselect_b32 s5, s56, s7
	s_delay_alu instid0(SALU_CYCLE_1) | instskip(NEXT) | instid1(SALU_CYCLE_1)
	s_xor_b32 s5, s5, s41
	s_sub_i32 s5, s5, s41
	s_delay_alu instid0(SALU_CYCLE_1) | instskip(NEXT) | instid1(SALU_CYCLE_1)
	s_mul_i32 s7, s5, s70
	s_sub_i32 s7, s6, s7
	s_delay_alu instid0(SALU_CYCLE_1) | instskip(SKIP_4) | instid1(SALU_CYCLE_1)
	s_abs_i32 s6, s7
	s_ashr_i32 s56, s7, 31
	s_mul_hi_u32 s41, s6, s85
	s_xor_b32 s56, s56, s84
	s_mul_i32 s59, s41, s79
	;; [unrolled: 21-line block ×3, first 2 shown]
	s_sub_i32 s41, s41, s59
	s_add_i32 s59, s56, 1
	s_sub_i32 s64, s41, s73
	s_cmp_ge_u32 s41, s73
	s_cselect_b32 s56, s59, s56
	s_cselect_b32 s41, s64, s41
	s_add_i32 s59, s56, 1
	s_cmp_ge_u32 s41, s73
	s_cselect_b32 s41, s59, s56
	s_and_not1_b32 vcc_lo, exec_lo, s53
	s_xor_b32 s41, s41, s7
	s_delay_alu instid0(SALU_CYCLE_1)
	s_sub_i32 s89, s41, s7
	s_cbranch_vccnz .LBB14_14
; %bb.13:                               ;   in Loop: Header=BB14_12 Depth=1
	s_mul_i32 s7, s4, s68
	s_delay_alu instid0(SALU_CYCLE_1) | instskip(NEXT) | instid1(SALU_CYCLE_1)
	s_add_i32 s64, s89, s7
	s_ashr_i32 s65, s64, 31
	s_delay_alu instid0(SALU_CYCLE_1) | instskip(NEXT) | instid1(SALU_CYCLE_1)
	s_lshl_b64 s[64:65], s[64:65], 2
	s_add_u32 s64, s26, s64
	s_addc_u32 s65, s27, s65
	global_load_b32 v0, v216, s[64:65]
	s_waitcnt vmcnt(0)
	v_readfirstlane_b32 s7, v0
	s_delay_alu instid0(VALU_DEP_1) | instskip(NEXT) | instid1(SALU_CYCLE_1)
	s_ashr_i32 s41, s7, 31
	s_lshr_b32 s41, s41, 27
	s_delay_alu instid0(SALU_CYCLE_1) | instskip(NEXT) | instid1(SALU_CYCLE_1)
	s_add_i32 s7, s7, s41
	s_ashr_i32 s7, s7, 5
	s_delay_alu instid0(SALU_CYCLE_1)
	s_min_i32 s92, s92, s7
.LBB14_14:                              ;   in Loop: Header=BB14_12 Depth=1
	s_mul_i32 s7, s5, s33
	s_lshl_b32 s86, s6, 3
	s_mul_i32 s41, s4, s49
	s_add_i32 s6, s86, s7
	s_ashr_i32 s7, s41, 31
	s_mul_i32 s56, s6, s48
	s_add_u32 s41, s16, s41
	s_addc_u32 s7, s17, s7
	s_ashr_i32 s59, s56, 31
	s_add_u32 s100, s41, s56
	s_addc_u32 s101, s7, s59
	s_mul_i32 s7, s4, s37
	s_mul_hi_u32 s41, s4, s36
	s_ashr_i32 s66, s4, 31
	s_add_i32 s7, s41, s7
	s_mul_i32 s41, s66, s36
	s_mul_i32 s93, s4, s36
	s_add_i32 s94, s7, s41
	s_mul_i32 s95, s5, s47
	s_add_u32 s7, s18, s93
	s_addc_u32 s41, s19, s94
	s_ashr_i32 s96, s95, 31
	s_add_u32 s90, s7, s95
	s_addc_u32 s91, s41, s96
	s_abs_i32 s7, s4
	s_mul_i32 s67, s4, s43
	v_mul_hi_u32 v0, s7, v174
	s_mul_hi_u32 s87, s4, s42
	s_mul_i32 s97, s4, s42
	v_or_b32_e32 v82, s86, v158
	s_delay_alu instid0(VALU_DEP_2) | instskip(NEXT) | instid1(VALU_DEP_1)
	v_mul_lo_u32 v0, v0, s76
	v_sub_nc_u32_e32 v0, s7, v0
	s_mul_i32 s7, s46, s4
	s_mul_i32 s4, s66, s42
	s_add_i32 s7, s6, s7
	s_delay_alu instid0(VALU_DEP_1) | instskip(SKIP_2) | instid1(SALU_CYCLE_1)
	v_subrev_nc_u32_e32 v1, s76, v0
	v_cmp_le_u32_e32 vcc_lo, s76, v0
	s_mul_i32 s56, s7, 48
	s_lshl_b64 s[64:65], s[56:57], 3
	s_mul_i32 s56, s5, s39
	v_cndmask_b32_e32 v0, v0, v1, vcc_lo
	s_add_u32 s41, s28, s64
	s_addc_u32 s59, s29, s65
	s_add_i32 s7, s87, s67
	s_delay_alu instid0(VALU_DEP_1)
	v_subrev_nc_u32_e32 v1, s76, v0
	v_cmp_le_u32_e32 vcc_lo, s76, v0
	s_add_i32 s98, s7, s4
	s_add_u32 s4, s20, s97
	s_addc_u32 s5, s21, s98
	s_ashr_i32 s99, s56, 31
	v_cndmask_b32_e32 v0, v0, v1, vcc_lo
	s_add_u32 s87, s4, s56
	s_addc_u32 s88, s5, s99
	s_ashr_i32 s7, s6, 31
	s_delay_alu instid0(VALU_DEP_1) | instskip(SKIP_1) | instid1(SALU_CYCLE_1)
	v_xor_b32_e32 v0, s66, v0
	s_lshl_b64 s[4:5], s[6:7], 2
	s_add_u32 s4, s24, s4
	s_addc_u32 s5, s25, s5
	s_delay_alu instid0(VALU_DEP_1)
	v_subrev_nc_u32_e32 v0, s66, v0
	s_and_b32 s6, s38, exec_lo
	s_cselect_b32 s65, 0, s5
	s_cselect_b32 s64, 0, s4
	s_cmp_lg_u32 s102, 0
	v_ashrrev_i32_e32 v1, 31, v0
	v_mul_lo_u32 v2, v0, s45
	v_mul_hi_u32 v3, v0, s44
	v_mul_lo_u32 v80, v0, s44
	s_delay_alu instid0(VALU_DEP_4) | instskip(NEXT) | instid1(VALU_DEP_3)
	v_mul_lo_u32 v1, v1, s44
	v_add_nc_u32_e32 v0, v3, v2
	s_delay_alu instid0(VALU_DEP_3) | instskip(NEXT) | instid1(VALU_DEP_2)
	v_add_co_u32 v232, vcc_lo, s22, v80
	v_add_nc_u32_e32 v81, v0, v1
	s_delay_alu instid0(VALU_DEP_1)
	v_add_co_ci_u32_e32 v128, vcc_lo, s23, v81, vcc_lo
	v_cmp_gt_i32_e32 vcc_lo, s33, v82
	s_cbranch_scc0 .LBB14_68
; %bb.15:                               ;   in Loop: Header=BB14_12 Depth=1
	s_lshl_b32 s103, s89, 1
	s_xor_b32 s5, vcc_lo, -1
	v_add_nc_u32_e32 v1, s103, v162
	s_delay_alu instid0(VALU_DEP_1) | instskip(NEXT) | instid1(VALU_DEP_1)
	v_cmp_le_i32_e64 s4, s8, v1
	s_or_b32 s4, s4, s5
	s_delay_alu instid0(SALU_CYCLE_1) | instskip(NEXT) | instid1(SALU_CYCLE_1)
	s_and_saveexec_b32 s6, s4
	s_xor_b32 s4, exec_lo, s6
	s_cbranch_execz .LBB14_17
; %bb.16:                               ;   in Loop: Header=BB14_12 Depth=1
	ds_store_b32 v180, v216
                                        ; implicit-def: $vgpr1
.LBB14_17:                              ;   in Loop: Header=BB14_12 Depth=1
	s_and_not1_saveexec_b32 s4, s4
	s_cbranch_execz .LBB14_19
; %bb.18:                               ;   in Loop: Header=BB14_12 Depth=1
	v_mad_u64_u32 v[2:3], null, v1, s51, v[139:140]
	s_delay_alu instid0(VALU_DEP_1) | instskip(NEXT) | instid1(VALU_DEP_1)
	v_ashrrev_i32_e32 v3, 31, v2
	v_lshlrev_b64 v[0:1], 3, v[2:3]
	s_delay_alu instid0(VALU_DEP_1) | instskip(NEXT) | instid1(VALU_DEP_2)
	v_add_co_u32 v0, vcc_lo, s100, v0
	v_add_co_ci_u32_e32 v1, vcc_lo, s101, v1, vcc_lo
	global_load_b64 v[0:1], v[0:1], off
	s_waitcnt vmcnt(0)
	v_cvt_f16_f32_e32 v0, v0
	v_cvt_f16_f32_e32 v1, v1
	s_delay_alu instid0(VALU_DEP_1) | instskip(NEXT) | instid1(VALU_DEP_1)
	v_pack_b32_f16 v0, v0, v1
	v_pk_mul_f16 v0, v153, v0
	ds_store_b32 v180, v0
.LBB14_19:                              ;   in Loop: Header=BB14_12 Depth=1
	s_or_b32 exec_lo, exec_lo, s4
	v_add_nc_u32_e32 v1, s103, v255
	v_or_b32_e32 v0, s86, v160
	s_delay_alu instid0(VALU_DEP_2) | instskip(NEXT) | instid1(VALU_DEP_2)
	v_cmp_le_i32_e32 vcc_lo, s8, v1
	v_cmp_le_i32_e64 s4, s33, v0
	s_delay_alu instid0(VALU_DEP_1) | instskip(NEXT) | instid1(SALU_CYCLE_1)
	s_or_b32 s4, vcc_lo, s4
	s_and_saveexec_b32 s6, s4
	s_delay_alu instid0(SALU_CYCLE_1)
	s_xor_b32 s4, exec_lo, s6
	s_cbranch_execz .LBB14_21
; %bb.20:                               ;   in Loop: Header=BB14_12 Depth=1
	ds_store_b32 v180, v216 offset:416
                                        ; implicit-def: $vgpr1
.LBB14_21:                              ;   in Loop: Header=BB14_12 Depth=1
	s_and_not1_saveexec_b32 s4, s4
	s_cbranch_execz .LBB14_23
; %bb.22:                               ;   in Loop: Header=BB14_12 Depth=1
	v_mad_u64_u32 v[2:3], null, v1, s51, v[140:141]
	s_delay_alu instid0(VALU_DEP_1) | instskip(NEXT) | instid1(VALU_DEP_1)
	v_ashrrev_i32_e32 v3, 31, v2
	v_lshlrev_b64 v[0:1], 3, v[2:3]
	s_delay_alu instid0(VALU_DEP_1) | instskip(NEXT) | instid1(VALU_DEP_2)
	v_add_co_u32 v0, vcc_lo, s100, v0
	v_add_co_ci_u32_e32 v1, vcc_lo, s101, v1, vcc_lo
	global_load_b64 v[0:1], v[0:1], off
	s_waitcnt vmcnt(0)
	v_cvt_f16_f32_e32 v0, v0
	v_cvt_f16_f32_e32 v1, v1
	s_delay_alu instid0(VALU_DEP_1) | instskip(NEXT) | instid1(VALU_DEP_1)
	v_pack_b32_f16 v0, v0, v1
	v_pk_mul_f16 v0, v153, v0
	ds_store_b32 v180, v0 offset:416
.LBB14_23:                              ;   in Loop: Header=BB14_12 Depth=1
	s_or_b32 exec_lo, exec_lo, s4
	v_add_nc_u32_e32 v1, s103, v161
	v_or_b32_e32 v0, s86, v103
	s_delay_alu instid0(VALU_DEP_2) | instskip(NEXT) | instid1(VALU_DEP_2)
	v_cmp_le_i32_e32 vcc_lo, s8, v1
	v_cmp_le_i32_e64 s4, s33, v0
	s_delay_alu instid0(VALU_DEP_1) | instskip(NEXT) | instid1(SALU_CYCLE_1)
	s_or_b32 s4, vcc_lo, s4
	s_and_saveexec_b32 s6, s4
	s_delay_alu instid0(SALU_CYCLE_1)
	s_xor_b32 s4, exec_lo, s6
	s_cbranch_execz .LBB14_25
; %bb.24:                               ;   in Loop: Header=BB14_12 Depth=1
	ds_store_b32 v180, v216 offset:832
                                        ; implicit-def: $vgpr1
.LBB14_25:                              ;   in Loop: Header=BB14_12 Depth=1
	s_and_not1_saveexec_b32 s4, s4
	s_cbranch_execz .LBB14_27
; %bb.26:                               ;   in Loop: Header=BB14_12 Depth=1
	v_mad_u64_u32 v[2:3], null, v1, s51, v[141:142]
	s_delay_alu instid0(VALU_DEP_1) | instskip(NEXT) | instid1(VALU_DEP_1)
	v_ashrrev_i32_e32 v3, 31, v2
	v_lshlrev_b64 v[0:1], 3, v[2:3]
	s_delay_alu instid0(VALU_DEP_1) | instskip(NEXT) | instid1(VALU_DEP_2)
	v_add_co_u32 v0, vcc_lo, s100, v0
	v_add_co_ci_u32_e32 v1, vcc_lo, s101, v1, vcc_lo
	global_load_b64 v[0:1], v[0:1], off
	s_waitcnt vmcnt(0)
	v_cvt_f16_f32_e32 v0, v0
	v_cvt_f16_f32_e32 v1, v1
	s_delay_alu instid0(VALU_DEP_1) | instskip(NEXT) | instid1(VALU_DEP_1)
	v_pack_b32_f16 v0, v0, v1
	v_pk_mul_f16 v0, v153, v0
	ds_store_b32 v180, v0 offset:832
.LBB14_27:                              ;   in Loop: Header=BB14_12 Depth=1
	;; [unrolled: 35-line block ×3, first 2 shown]
	s_or_b32 exec_lo, exec_lo, s4
	v_add_nc_u32_e32 v1, s103, v190
	s_delay_alu instid0(VALU_DEP_1) | instskip(SKIP_1) | instid1(SALU_CYCLE_1)
	v_cmp_le_i32_e32 vcc_lo, s8, v1
	s_or_b32 s4, vcc_lo, s5
	s_and_saveexec_b32 s5, s4
	s_delay_alu instid0(SALU_CYCLE_1)
	s_xor_b32 s4, exec_lo, s5
	s_cbranch_execz .LBB14_33
; %bb.32:                               ;   in Loop: Header=BB14_12 Depth=1
	ds_store_b32 v180, v216 offset:1664
                                        ; implicit-def: $vgpr1
.LBB14_33:                              ;   in Loop: Header=BB14_12 Depth=1
	s_and_not1_saveexec_b32 s4, s4
	s_cbranch_execz .LBB14_35
; %bb.34:                               ;   in Loop: Header=BB14_12 Depth=1
	v_mad_u64_u32 v[2:3], null, v1, s51, v[139:140]
	s_delay_alu instid0(VALU_DEP_1) | instskip(NEXT) | instid1(VALU_DEP_1)
	v_ashrrev_i32_e32 v3, 31, v2
	v_lshlrev_b64 v[0:1], 3, v[2:3]
	s_delay_alu instid0(VALU_DEP_1) | instskip(NEXT) | instid1(VALU_DEP_2)
	v_add_co_u32 v0, vcc_lo, s100, v0
	v_add_co_ci_u32_e32 v1, vcc_lo, s101, v1, vcc_lo
	global_load_b64 v[0:1], v[0:1], off
	s_waitcnt vmcnt(0)
	v_cvt_f16_f32_e32 v0, v0
	v_cvt_f16_f32_e32 v1, v1
	s_delay_alu instid0(VALU_DEP_1) | instskip(NEXT) | instid1(VALU_DEP_1)
	v_pack_b32_f16 v0, v0, v1
	v_pk_mul_f16 v0, v153, v0
	ds_store_b32 v180, v0 offset:1664
.LBB14_35:                              ;   in Loop: Header=BB14_12 Depth=1
	s_or_b32 exec_lo, exec_lo, s4
	v_add_nc_u32_e32 v1, s103, v214
	v_or_b32_e32 v0, s86, v215
	s_delay_alu instid0(VALU_DEP_2) | instskip(NEXT) | instid1(VALU_DEP_2)
	v_cmp_le_i32_e32 vcc_lo, s8, v1
	v_cmp_le_i32_e64 s4, s33, v0
	s_delay_alu instid0(VALU_DEP_1) | instskip(NEXT) | instid1(SALU_CYCLE_1)
	s_or_b32 s4, vcc_lo, s4
	s_and_saveexec_b32 s5, s4
	s_delay_alu instid0(SALU_CYCLE_1)
	s_xor_b32 s4, exec_lo, s5
	s_cbranch_execz .LBB14_37
; %bb.36:                               ;   in Loop: Header=BB14_12 Depth=1
	ds_store_b32 v180, v216 offset:2080
                                        ; implicit-def: $vgpr1
.LBB14_37:                              ;   in Loop: Header=BB14_12 Depth=1
	s_and_not1_saveexec_b32 s4, s4
	s_cbranch_execz .LBB14_39
; %bb.38:                               ;   in Loop: Header=BB14_12 Depth=1
	v_mad_u64_u32 v[2:3], null, v1, s51, v[143:144]
	s_delay_alu instid0(VALU_DEP_1) | instskip(NEXT) | instid1(VALU_DEP_1)
	v_ashrrev_i32_e32 v3, 31, v2
	v_lshlrev_b64 v[0:1], 3, v[2:3]
	s_delay_alu instid0(VALU_DEP_1) | instskip(NEXT) | instid1(VALU_DEP_2)
	v_add_co_u32 v0, vcc_lo, s100, v0
	v_add_co_ci_u32_e32 v1, vcc_lo, s101, v1, vcc_lo
	global_load_b64 v[0:1], v[0:1], off
	s_waitcnt vmcnt(0)
	v_cvt_f16_f32_e32 v0, v0
	v_cvt_f16_f32_e32 v1, v1
	s_delay_alu instid0(VALU_DEP_1) | instskip(NEXT) | instid1(VALU_DEP_1)
	v_pack_b32_f16 v0, v0, v1
	v_pk_mul_f16 v0, v153, v0
	ds_store_b32 v180, v0 offset:2080
.LBB14_39:                              ;   in Loop: Header=BB14_12 Depth=1
	s_or_b32 exec_lo, exec_lo, s4
	v_add_nc_u32_e32 v1, s103, v212
	v_or_b32_e32 v0, s86, v213
	s_delay_alu instid0(VALU_DEP_2) | instskip(NEXT) | instid1(VALU_DEP_2)
	v_cmp_le_i32_e32 vcc_lo, s8, v1
	v_cmp_le_i32_e64 s4, s33, v0
	s_delay_alu instid0(VALU_DEP_1) | instskip(NEXT) | instid1(SALU_CYCLE_1)
	;; [unrolled: 35-line block ×3, first 2 shown]
	s_or_b32 s4, vcc_lo, s4
	s_and_saveexec_b32 s5, s4
	s_delay_alu instid0(SALU_CYCLE_1)
	s_xor_b32 s4, exec_lo, s5
	s_cbranch_execz .LBB14_45
; %bb.44:                               ;   in Loop: Header=BB14_12 Depth=1
	ds_store_b32 v180, v216 offset:2912
                                        ; implicit-def: $vgpr1
.LBB14_45:                              ;   in Loop: Header=BB14_12 Depth=1
	s_and_not1_saveexec_b32 s4, s4
	s_cbranch_execz .LBB14_47
; %bb.46:                               ;   in Loop: Header=BB14_12 Depth=1
	v_mad_u64_u32 v[2:3], null, v1, s51, v[145:146]
	s_delay_alu instid0(VALU_DEP_1) | instskip(NEXT) | instid1(VALU_DEP_1)
	v_ashrrev_i32_e32 v3, 31, v2
	v_lshlrev_b64 v[0:1], 3, v[2:3]
	s_delay_alu instid0(VALU_DEP_1) | instskip(NEXT) | instid1(VALU_DEP_2)
	v_add_co_u32 v0, vcc_lo, s100, v0
	v_add_co_ci_u32_e32 v1, vcc_lo, s101, v1, vcc_lo
	global_load_b64 v[0:1], v[0:1], off
	s_waitcnt vmcnt(0)
	v_cvt_f16_f32_e32 v0, v0
	v_cvt_f16_f32_e32 v1, v1
	s_delay_alu instid0(VALU_DEP_1) | instskip(NEXT) | instid1(VALU_DEP_1)
	v_pack_b32_f16 v0, v0, v1
	v_pk_mul_f16 v0, v153, v0
	ds_store_b32 v180, v0 offset:2912
.LBB14_47:                              ;   in Loop: Header=BB14_12 Depth=1
	s_or_b32 exec_lo, exec_lo, s4
	v_or_b32_e32 v0, s86, v182
	v_add_nc_u32_e32 v1, s103, v181
	s_delay_alu instid0(VALU_DEP_2) | instskip(NEXT) | instid1(VALU_DEP_2)
	v_cmp_gt_i32_e32 vcc_lo, s33, v0
	v_cmp_le_i32_e64 s4, s8, v1
	s_xor_b32 s5, vcc_lo, -1
	s_delay_alu instid0(VALU_DEP_1) | instid1(SALU_CYCLE_1)
	s_or_b32 s4, s4, s5
	s_delay_alu instid0(SALU_CYCLE_1) | instskip(NEXT) | instid1(SALU_CYCLE_1)
	s_and_saveexec_b32 s6, s4
	s_xor_b32 s4, exec_lo, s6
	s_cbranch_execz .LBB14_49
; %bb.48:                               ;   in Loop: Header=BB14_12 Depth=1
	ds_store_b32 v183, v216 offset:128
                                        ; implicit-def: $vgpr1
.LBB14_49:                              ;   in Loop: Header=BB14_12 Depth=1
	s_and_not1_saveexec_b32 s4, s4
	s_cbranch_execz .LBB14_51
; %bb.50:                               ;   in Loop: Header=BB14_12 Depth=1
	v_mad_u64_u32 v[2:3], null, v1, s51, v[90:91]
	s_delay_alu instid0(VALU_DEP_1) | instskip(NEXT) | instid1(VALU_DEP_1)
	v_ashrrev_i32_e32 v3, 31, v2
	v_lshlrev_b64 v[0:1], 3, v[2:3]
	s_delay_alu instid0(VALU_DEP_1) | instskip(NEXT) | instid1(VALU_DEP_2)
	v_add_co_u32 v0, vcc_lo, s100, v0
	v_add_co_ci_u32_e32 v1, vcc_lo, s101, v1, vcc_lo
	global_load_b64 v[0:1], v[0:1], off
	s_waitcnt vmcnt(0)
	v_cvt_f16_f32_e32 v0, v0
	v_cvt_f16_f32_e32 v1, v1
	s_delay_alu instid0(VALU_DEP_1) | instskip(NEXT) | instid1(VALU_DEP_1)
	v_pack_b32_f16 v0, v0, v1
	v_pk_mul_f16 v0, v153, v0
	ds_store_b32 v183, v0 offset:128
.LBB14_51:                              ;   in Loop: Header=BB14_12 Depth=1
	s_or_b32 exec_lo, exec_lo, s4
	v_add_nc_u32_e32 v1, s103, v184
	v_or_b32_e32 v0, s86, v185
	s_delay_alu instid0(VALU_DEP_2) | instskip(NEXT) | instid1(VALU_DEP_2)
	v_cmp_le_i32_e32 vcc_lo, s8, v1
	v_cmp_le_i32_e64 s4, s33, v0
	s_delay_alu instid0(VALU_DEP_1) | instskip(NEXT) | instid1(SALU_CYCLE_1)
	s_or_b32 s4, vcc_lo, s4
	s_and_saveexec_b32 s6, s4
	s_delay_alu instid0(SALU_CYCLE_1)
	s_xor_b32 s4, exec_lo, s6
	s_cbranch_execz .LBB14_53
; %bb.52:                               ;   in Loop: Header=BB14_12 Depth=1
	ds_store_b32 v183, v216 offset:960
                                        ; implicit-def: $vgpr1
.LBB14_53:                              ;   in Loop: Header=BB14_12 Depth=1
	s_and_not1_saveexec_b32 s4, s4
	s_cbranch_execz .LBB14_55
; %bb.54:                               ;   in Loop: Header=BB14_12 Depth=1
	v_mad_u64_u32 v[2:3], null, v1, s51, v[91:92]
	s_delay_alu instid0(VALU_DEP_1) | instskip(NEXT) | instid1(VALU_DEP_1)
	v_ashrrev_i32_e32 v3, 31, v2
	v_lshlrev_b64 v[0:1], 3, v[2:3]
	s_delay_alu instid0(VALU_DEP_1) | instskip(NEXT) | instid1(VALU_DEP_2)
	v_add_co_u32 v0, vcc_lo, s100, v0
	v_add_co_ci_u32_e32 v1, vcc_lo, s101, v1, vcc_lo
	global_load_b64 v[0:1], v[0:1], off
	s_waitcnt vmcnt(0)
	v_cvt_f16_f32_e32 v0, v0
	v_cvt_f16_f32_e32 v1, v1
	s_delay_alu instid0(VALU_DEP_1) | instskip(NEXT) | instid1(VALU_DEP_1)
	v_pack_b32_f16 v0, v0, v1
	v_pk_mul_f16 v0, v153, v0
	ds_store_b32 v183, v0 offset:960
.LBB14_55:                              ;   in Loop: Header=BB14_12 Depth=1
	s_or_b32 exec_lo, exec_lo, s4
	v_add_nc_u32_e32 v1, s103, v186
	s_delay_alu instid0(VALU_DEP_1) | instskip(SKIP_1) | instid1(SALU_CYCLE_1)
	v_cmp_le_i32_e32 vcc_lo, s8, v1
	s_or_b32 s4, vcc_lo, s5
	s_and_saveexec_b32 s5, s4
	s_delay_alu instid0(SALU_CYCLE_1)
	s_xor_b32 s4, exec_lo, s5
	s_cbranch_execz .LBB14_57
; %bb.56:                               ;   in Loop: Header=BB14_12 Depth=1
	ds_store_b32 v183, v216 offset:1792
                                        ; implicit-def: $vgpr1
.LBB14_57:                              ;   in Loop: Header=BB14_12 Depth=1
	s_and_not1_saveexec_b32 s4, s4
	s_cbranch_execz .LBB14_59
; %bb.58:                               ;   in Loop: Header=BB14_12 Depth=1
	v_mad_u64_u32 v[2:3], null, v1, s51, v[90:91]
	s_delay_alu instid0(VALU_DEP_1) | instskip(NEXT) | instid1(VALU_DEP_1)
	v_ashrrev_i32_e32 v3, 31, v2
	v_lshlrev_b64 v[0:1], 3, v[2:3]
	s_delay_alu instid0(VALU_DEP_1) | instskip(NEXT) | instid1(VALU_DEP_2)
	v_add_co_u32 v0, vcc_lo, s100, v0
	v_add_co_ci_u32_e32 v1, vcc_lo, s101, v1, vcc_lo
	global_load_b64 v[0:1], v[0:1], off
	s_waitcnt vmcnt(0)
	v_cvt_f16_f32_e32 v0, v0
	v_cvt_f16_f32_e32 v1, v1
	s_delay_alu instid0(VALU_DEP_1) | instskip(NEXT) | instid1(VALU_DEP_1)
	v_pack_b32_f16 v0, v0, v1
	v_pk_mul_f16 v0, v153, v0
	ds_store_b32 v183, v0 offset:1792
.LBB14_59:                              ;   in Loop: Header=BB14_12 Depth=1
	s_or_b32 exec_lo, exec_lo, s4
	v_add_nc_u32_e32 v1, s103, v187
	v_or_b32_e32 v0, s86, v188
	s_delay_alu instid0(VALU_DEP_2) | instskip(NEXT) | instid1(VALU_DEP_2)
	v_cmp_le_i32_e32 vcc_lo, s8, v1
	v_cmp_le_i32_e64 s4, s33, v0
	s_delay_alu instid0(VALU_DEP_1) | instskip(NEXT) | instid1(SALU_CYCLE_1)
	s_or_b32 s4, vcc_lo, s4
	s_and_saveexec_b32 s5, s4
	s_delay_alu instid0(SALU_CYCLE_1)
	s_xor_b32 s4, exec_lo, s5
	s_cbranch_execz .LBB14_61
; %bb.60:                               ;   in Loop: Header=BB14_12 Depth=1
	ds_store_b32 v183, v216 offset:2624
                                        ; implicit-def: $vgpr1
.LBB14_61:                              ;   in Loop: Header=BB14_12 Depth=1
	s_and_not1_saveexec_b32 s4, s4
	s_cbranch_execz .LBB14_63
; %bb.62:                               ;   in Loop: Header=BB14_12 Depth=1
	v_mad_u64_u32 v[2:3], null, v1, s51, v[92:93]
	s_delay_alu instid0(VALU_DEP_1) | instskip(NEXT) | instid1(VALU_DEP_1)
	v_ashrrev_i32_e32 v3, 31, v2
	v_lshlrev_b64 v[0:1], 3, v[2:3]
	s_delay_alu instid0(VALU_DEP_1) | instskip(NEXT) | instid1(VALU_DEP_2)
	v_add_co_u32 v0, vcc_lo, s100, v0
	v_add_co_ci_u32_e32 v1, vcc_lo, s101, v1, vcc_lo
	global_load_b64 v[0:1], v[0:1], off
	s_waitcnt vmcnt(0)
	v_cvt_f16_f32_e32 v0, v0
	v_cvt_f16_f32_e32 v1, v1
	s_delay_alu instid0(VALU_DEP_1) | instskip(NEXT) | instid1(VALU_DEP_1)
	v_pack_b32_f16 v0, v0, v1
	v_pk_mul_f16 v0, v153, v0
	ds_store_b32 v183, v0 offset:2624
.LBB14_63:                              ;   in Loop: Header=BB14_12 Depth=1
	s_or_b32 exec_lo, exec_lo, s4
	v_dual_mov_b32 v15, 0 :: v_dual_add_nc_u32 v0, v165, v248
	s_waitcnt lgkmcnt(0)
	s_waitcnt_vscnt null, 0x0
	s_barrier
	buffer_gl0_inv
	ds_load_b128 v[40:43], v0
	ds_load_b128 v[44:47], v0 offset:16
	ds_load_b128 v[32:35], v0 offset:32
	;; [unrolled: 1-line block ×11, first 2 shown]
	s_add_i32 s104, s92, -1
	s_waitcnt lgkmcnt(0)
	s_cmp_le_i32 s104, s102
	s_barrier
	buffer_gl0_inv
	s_cbranch_scc1 .LBB14_69
; %bb.64:                               ;   in Loop: Header=BB14_12 Depth=1
	v_dual_mov_b32 v83, 0xfeffffff :: v_dual_add_nc_u32 v0, s89, v149
	v_xor_b32_e32 v3, 16, v231
	s_lshl_b32 s66, s102, 5
	v_mov_b32_e32 v24, 0
	s_delay_alu instid0(VALU_DEP_3) | instskip(SKIP_2) | instid1(VALU_DEP_4)
	v_lshl_add_u32 v0, v0, 1, v163
	v_lshlrev_b32_e32 v2, 1, v164
	v_cmp_gt_i32_e32 vcc_lo, 32, v3
	v_dual_mov_b32 v84, 0 :: v_dual_mov_b32 v27, v24
	s_delay_alu instid0(VALU_DEP_4) | instskip(SKIP_4) | instid1(VALU_DEP_4)
	v_mul_hi_u32 v1, s12, v0
	v_dual_mov_b32 v26, v24 :: v_dual_cndmask_b32 v3, v231, v3
	v_mov_b32_e32 v25, v24
	v_mov_b32_e32 v28, v24
	v_mov_b32_e32 v29, v24
	v_dual_mov_b32 v30, v24 :: v_dual_lshlrev_b32 v85, 2, v3
	v_add_nc_u32_e32 v1, v0, v1
	v_mov_b32_e32 v31, v24
	v_mov_b32_e32 v16, v24
	;; [unrolled: 1-line block ×4, first 2 shown]
	v_lshrrev_b32_e32 v1, s13, v1
	v_mov_b32_e32 v19, v24
	v_mov_b32_e32 v20, v24
	;; [unrolled: 1-line block ×4, first 2 shown]
	v_mul_lo_u32 v1, v1, s8
	v_mov_b32_e32 v23, v24
	v_mov_b32_e32 v8, v24
	;; [unrolled: 1-line block ×7, first 2 shown]
	v_sub_nc_u32_e32 v4, v0, v1
	v_mov_b32_e32 v14, v24
	v_mov_b32_e32 v15, v24
	s_delay_alu instid0(VALU_DEP_3) | instskip(NEXT) | instid1(VALU_DEP_1)
	v_mad_i64_i32 v[0:1], null, v4, s40, 0
	v_lshlrev_b64 v[0:1], 1, v[0:1]
	s_delay_alu instid0(VALU_DEP_1) | instskip(NEXT) | instid1(VALU_DEP_2)
	v_add_co_u32 v0, vcc_lo, v232, v0
	v_add_co_ci_u32_e32 v1, vcc_lo, v128, v1, vcc_lo
	s_delay_alu instid0(VALU_DEP_2) | instskip(NEXT) | instid1(VALU_DEP_2)
	v_add_co_u32 v86, vcc_lo, v0, v2
	v_add_co_ci_u32_e32 v87, vcc_lo, 0, v1, vcc_lo
	s_ashr_i32 s67, s66, 31
	s_and_saveexec_b32 s4, s0
	s_cbranch_execz .LBB14_66
.LBB14_65:                              ;   in Loop: Header=BB14_12 Depth=1
	s_lshl_b64 s[6:7], s[66:67], 1
	s_delay_alu instid0(SALU_CYCLE_1)
	v_add_co_u32 v0, vcc_lo, v86, s6
	v_add_co_ci_u32_e32 v1, vcc_lo, s7, v87, vcc_lo
	global_load_b32 v0, v[0:1], off
	s_waitcnt vmcnt(0)
	ds_store_b32 v167, v0 offset:6656
.LBB14_66:                              ;   Parent Loop BB14_12 Depth=1
                                        ; =>  This Inner Loop Header: Depth=2
	s_or_b32 exec_lo, exec_lo, s4
	s_mul_hi_i32 s5, s66, s34
	s_mul_i32 s4, s66, s34
	v_dual_mov_b32 v218, v216 :: v_dual_lshlrev_b32 v119, 2, v166
	s_lshl_b64 s[4:5], s[4:5], 2
	v_dual_mov_b32 v217, v216 :: v_dual_lshlrev_b32 v120, 2, v169
	s_add_u32 s4, s90, s4
	s_addc_u32 s5, s91, s5
	v_add_co_u32 v0, vcc_lo, s4, v97
	v_add_co_ci_u32_e32 v2, vcc_lo, s5, v98, vcc_lo
	v_mov_b32_e32 v223, v216
	s_delay_alu instid0(VALU_DEP_3) | instskip(NEXT) | instid1(VALU_DEP_3)
	v_add_co_u32 v1, vcc_lo, v0, v119
	v_add_co_ci_u32_e32 v2, vcc_lo, 0, v2, vcc_lo
	v_add_co_u32 v0, vcc_lo, s4, v109
	v_add_co_ci_u32_e32 v3, vcc_lo, s5, v110, vcc_lo
	v_mov_b32_e32 v219, v216
	s_delay_alu instid0(VALU_DEP_3) | instskip(NEXT) | instid1(VALU_DEP_3)
	v_add_co_u32 v4, vcc_lo, v0, v119
	v_add_co_ci_u32_e32 v5, vcc_lo, 0, v3, vcc_lo
	s_clause 0x1
	global_load_b128 v[0:3], v[1:2], off offset:128
	global_load_b128 v[4:7], v[4:5], off offset:128
	v_mov_b32_e32 v220, v216
	v_mov_b32_e32 v221, v216
	;; [unrolled: 1-line block ×4, first 2 shown]
	s_delay_alu instid0(VALU_DEP_2) | instskip(NEXT) | instid1(VALU_DEP_4)
	v_mov_b32_e32 v223, v222
	v_mov_b32_e32 v222, v221
	;; [unrolled: 1-line block ×7, first 2 shown]
	s_waitcnt vmcnt(1)
	ds_store_b128 v168, v[0:3]
	s_waitcnt vmcnt(0)
	ds_store_b128 v170, v[4:7]
	v_add_co_u32 v0, vcc_lo, s4, v111
	v_add_co_ci_u32_e32 v1, vcc_lo, s5, v112, vcc_lo
	v_add_nc_u32_e32 v242, 0x800, v253
	s_delay_alu instid0(VALU_DEP_3) | instskip(NEXT) | instid1(VALU_DEP_3)
	v_add_co_u32 v0, vcc_lo, v0, v120
	v_add_co_ci_u32_e32 v1, vcc_lo, 0, v1, vcc_lo
	v_add_co_u32 v2, vcc_lo, s4, v113
	v_add_co_ci_u32_e32 v3, vcc_lo, s5, v114, vcc_lo
	s_delay_alu instid0(VALU_DEP_2) | instskip(NEXT) | instid1(VALU_DEP_2)
	v_add_co_u32 v4, vcc_lo, v2, v120
	v_add_co_ci_u32_e32 v5, vcc_lo, 0, v3, vcc_lo
	s_clause 0x1
	global_load_b128 v[0:3], v[0:1], off
	global_load_b128 v[4:7], v[4:5], off
	s_waitcnt vmcnt(1)
	ds_store_b128 v171, v[0:3]
	s_waitcnt vmcnt(0)
	ds_store_b128 v249, v[4:7]
	v_add_co_u32 v0, vcc_lo, s4, v115
	v_add_co_ci_u32_e32 v1, vcc_lo, s5, v116, vcc_lo
	s_delay_alu instid0(VALU_DEP_2) | instskip(NEXT) | instid1(VALU_DEP_2)
	v_add_co_u32 v0, vcc_lo, v0, v120
	v_add_co_ci_u32_e32 v1, vcc_lo, 0, v1, vcc_lo
	v_add_co_u32 v2, vcc_lo, s4, v117
	v_add_co_ci_u32_e32 v3, vcc_lo, s5, v118, vcc_lo
	s_mul_hi_i32 s5, s66, s10
	s_delay_alu instid0(VALU_DEP_2) | instskip(NEXT) | instid1(VALU_DEP_2)
	v_add_co_u32 v4, vcc_lo, v2, v120
	v_add_co_ci_u32_e32 v5, vcc_lo, 0, v3, vcc_lo
	s_clause 0x1
	global_load_b128 v[0:3], v[0:1], off
	global_load_b128 v[4:7], v[4:5], off
	s_waitcnt vmcnt(1)
	ds_store_b128 v250, v[0:3]
	s_waitcnt vmcnt(0)
	ds_store_b128 v251, v[4:7]
	s_waitcnt lgkmcnt(0)
	s_barrier
	buffer_gl0_inv
	ds_load_b128 v[0:3], v175
	ds_load_b128 v[4:7], v175 offset:16
	s_mul_i32 s4, s66, s10
	s_delay_alu instid0(SALU_CYCLE_1) | instskip(NEXT) | instid1(SALU_CYCLE_1)
	s_lshl_b64 s[6:7], s[4:5], 2
	s_add_u32 s5, s87, s6
	s_addc_u32 s4, s88, s7
	v_cmp_eq_u32_e64 s6, 1, v163
	s_add_i32 s102, s102, 1
	s_add_i32 s66, s66, 32
	s_cmp_lt_i32 s102, s104
	s_waitcnt lgkmcnt(0)
	v_wmma_f32_16x16x16_f16 v[217:224], v[0:7], v[40:47], v[217:224]
	ds_load_b128 v[0:3], v175 offset:32
	ds_load_b128 v[4:7], v175 offset:48
	s_waitcnt lgkmcnt(0)
	v_wmma_f32_16x16x16_f16 v[217:224], v[0:7], v[32:39], v[217:224]
	ds_load_b128 v[0:3], v175 offset:64
	ds_load_b128 v[4:7], v175 offset:80
	;; [unrolled: 4-line block ×5, first 2 shown]
	s_waitcnt lgkmcnt(0)
	s_barrier
	buffer_gl0_inv
	v_wmma_f32_16x16x16_f16 v[217:224], v[0:7], v[72:79], v[217:224]
	ds_load_u16 v0, v172 offset:6656
	ds_load_u16 v1, v172 offset:6660
	;; [unrolled: 1-line block ×8, first 2 shown]
	s_waitcnt lgkmcnt(7)
	v_cvt_f32_f16_e32 v0, v0
	s_waitcnt lgkmcnt(6)
	v_cvt_f32_f16_e32 v1, v1
	;; [unrolled: 2-line block ×7, first 2 shown]
	v_dual_add_f32 v129, v219, v2 :: v_dual_add_f32 v134, v220, v3
	s_waitcnt lgkmcnt(0)
	v_cvt_f32_f16_e32 v7, v7
	v_add_f32_e32 v3, v222, v5
	v_add_co_u32 v5, vcc_lo, s5, v93
	v_add_f32_e32 v2, v223, v6
	v_add_co_ci_u32_e32 v6, vcc_lo, s4, v94, vcc_lo
	s_delay_alu instid0(VALU_DEP_3) | instskip(SKIP_1) | instid1(VALU_DEP_3)
	v_add_co_u32 v5, vcc_lo, v5, v119
	v_add_f32_e32 v125, v218, v1
	v_add_co_ci_u32_e32 v6, vcc_lo, 0, v6, vcc_lo
	v_add_f32_e32 v1, v224, v7
	v_add_co_u32 v7, vcc_lo, s5, v95
	v_add_co_ci_u32_e32 v89, vcc_lo, s4, v96, vcc_lo
	v_add_f32_e32 v0, v217, v0
	s_delay_alu instid0(VALU_DEP_3) | instskip(NEXT) | instid1(VALU_DEP_3)
	v_add_co_u32 v88, vcc_lo, v7, v119
	v_add_co_ci_u32_e32 v89, vcc_lo, 0, v89, vcc_lo
	s_clause 0x1
	global_load_b128 v[191:194], v[5:6], off offset:128
	global_load_b128 v[217:220], v[88:89], off offset:128
	v_add_co_u32 v5, vcc_lo, s5, v99
	v_add_co_ci_u32_e32 v6, vcc_lo, s4, v100, vcc_lo
	s_waitcnt vmcnt(1)
	ds_store_b128 v168, v[191:194]
	s_waitcnt vmcnt(0)
	ds_store_b128 v170, v[217:220]
	v_add_co_u32 v5, vcc_lo, v5, v120
	v_add_co_ci_u32_e32 v6, vcc_lo, 0, v6, vcc_lo
	v_add_co_u32 v7, vcc_lo, s5, v101
	v_add_co_ci_u32_e32 v89, vcc_lo, s4, v102, vcc_lo
	v_add_f32_e32 v4, v221, v4
	s_delay_alu instid0(VALU_DEP_3) | instskip(NEXT) | instid1(VALU_DEP_3)
	v_add_co_u32 v88, vcc_lo, v7, v120
	v_add_co_ci_u32_e32 v89, vcc_lo, 0, v89, vcc_lo
	s_clause 0x1
	global_load_b128 v[191:194], v[5:6], off
	global_load_b128 v[217:220], v[88:89], off
	v_add_co_u32 v5, vcc_lo, s5, v105
	v_add_co_ci_u32_e32 v6, vcc_lo, s4, v106, vcc_lo
	s_waitcnt vmcnt(1)
	ds_store_b128 v171, v[191:194]
	s_waitcnt vmcnt(0)
	ds_store_b128 v249, v[217:220]
	v_add_co_u32 v5, vcc_lo, v5, v120
	v_add_co_ci_u32_e32 v6, vcc_lo, 0, v6, vcc_lo
	v_add_co_u32 v7, vcc_lo, s5, v107
	v_add_co_ci_u32_e32 v89, vcc_lo, s4, v108, vcc_lo
	v_cmp_eq_u32_e64 s5, 0, v163
	s_delay_alu instid0(VALU_DEP_3) | instskip(NEXT) | instid1(VALU_DEP_3)
	v_add_co_u32 v88, vcc_lo, v7, v120
	v_add_co_ci_u32_e32 v89, vcc_lo, 0, v89, vcc_lo
	s_clause 0x1
	global_load_b128 v[119:122], v[5:6], off
	global_load_b128 v[191:194], v[88:89], off
	v_dual_add_f32 v5, 0x40051340, v0 :: v_dual_add_f32 v6, 0x40051340, v125
	v_add_f32_e32 v7, 0x40051340, v134
	s_waitcnt vmcnt(1)
	ds_store_b128 v250, v[119:122]
	s_waitcnt vmcnt(0)
	ds_store_b128 v251, v[191:194]
	v_max3_f32 v5, v83, v5, v6
	v_add_f32_e32 v6, 0x40051340, v129
	s_waitcnt lgkmcnt(0)
	s_barrier
	buffer_gl0_inv
	v_max3_f32 v5, v5, v6, v7
	v_dual_add_f32 v6, 0x40051340, v4 :: v_dual_add_f32 v7, 0x40051340, v3
	s_delay_alu instid0(VALU_DEP_1) | instskip(SKIP_1) | instid1(VALU_DEP_1)
	v_max3_f32 v5, v5, v6, v7
	v_dual_add_f32 v6, 0x40051340, v2 :: v_dual_add_f32 v7, 0x40051340, v1
	v_max3_f32 v5, v5, v6, v7
	ds_bpermute_b32 v6, v85, v5
	s_waitcnt lgkmcnt(0)
	v_max_f32_e32 v6, v6, v6
	s_delay_alu instid0(VALU_DEP_1) | instskip(NEXT) | instid1(VALU_DEP_1)
	v_max_f32_e32 v119, v5, v6
	v_sub_f32_e32 v5, v125, v119
	s_delay_alu instid0(VALU_DEP_1)
	v_mul_f32_e32 v6, 0x3fb8aa3b, v5
	v_sub_f32_e32 v0, v0, v119
	v_sub_f32_e32 v4, v4, v119
	;; [unrolled: 1-line block ×4, first 2 shown]
	v_fma_f32 v7, 0x3fb8aa3b, v5, -v6
	v_rndne_f32_e32 v88, v6
	v_cmp_ngt_f32_e64 s4, 0xc2ce8ed0, v0
	s_delay_alu instid0(VALU_DEP_2) | instskip(NEXT) | instid1(VALU_DEP_4)
	v_dual_sub_f32 v3, v3, v119 :: v_dual_sub_f32 v6, v6, v88
	v_fmac_f32_e32 v7, 0x32a5705f, v5
	v_cvt_i32_f32_e32 v88, v88
	v_cmp_ngt_f32_e32 vcc_lo, 0xc2ce8ed0, v5
	s_delay_alu instid0(VALU_DEP_3) | instskip(NEXT) | instid1(VALU_DEP_1)
	v_dual_add_f32 v6, v6, v7 :: v_dual_mul_f32 v7, 0x3fb8aa3b, v0
	v_exp_f32_e32 v6, v6
	s_delay_alu instid0(VALU_DEP_1)
	v_fma_f32 v89, 0x3fb8aa3b, v0, -v7
	v_rndne_f32_e32 v120, v7
	s_waitcnt_depctr 0xfff
	v_ldexp_f32 v6, v6, v88
	v_fmac_f32_e32 v89, 0x32a5705f, v0
	v_cvt_i32_f32_e32 v88, v120
	s_delay_alu instid0(VALU_DEP_3) | instskip(SKIP_1) | instid1(VALU_DEP_2)
	v_cndmask_b32_e32 v6, 0, v6, vcc_lo
	v_cmp_nlt_f32_e32 vcc_lo, 0x42b17218, v5
	v_cndmask_b32_e32 v125, 0x7f800000, v6, vcc_lo
	v_cmp_eq_u32_e32 vcc_lo, 1, v252
	ds_bpermute_b32 v6, v85, v125
	v_sub_f32_e32 v7, v7, v120
	s_delay_alu instid0(VALU_DEP_1) | instskip(NEXT) | instid1(VALU_DEP_1)
	v_add_f32_e32 v7, v7, v89
	v_exp_f32_e32 v7, v7
	s_waitcnt_depctr 0xfff
	v_ldexp_f32 v7, v7, v88
	s_delay_alu instid0(VALU_DEP_1) | instskip(SKIP_1) | instid1(VALU_DEP_1)
	v_cndmask_b32_e64 v5, 0, v7, s4
	v_cmp_nlt_f32_e64 s4, 0x42b17218, v0
	v_cndmask_b32_e64 v122, 0x7f800000, v5, s4
	v_cmp_eq_u32_e64 s4, 0, v252
	ds_bpermute_b32 v0, v85, v122
	s_waitcnt lgkmcnt(0)
	v_cndmask_b32_e64 v5, v122, v0, s4
	v_cndmask_b32_e32 v0, v122, v0, vcc_lo
	s_delay_alu instid0(VALU_DEP_2) | instskip(NEXT) | instid1(VALU_DEP_2)
	v_cndmask_b32_e64 v7, v5, v125, s5
	v_cndmask_b32_e64 v88, v0, v125, s6
	v_cvt_f16_f32_e32 v5, v5
	v_cvt_f16_f32_e32 v0, v0
	s_delay_alu instid0(VALU_DEP_4) | instskip(NEXT) | instid1(VALU_DEP_4)
	v_cndmask_b32_e64 v7, v7, v6, s4
	v_cndmask_b32_e32 v6, v88, v6, vcc_lo
	s_delay_alu instid0(VALU_DEP_3) | instskip(SKIP_1) | instid1(VALU_DEP_4)
	v_pack_b32_f16 v217, v5, v0
	v_sub_f32_e32 v0, v129, v119
	v_cvt_f16_f32_e32 v88, v7
	s_delay_alu instid0(VALU_DEP_4) | instskip(NEXT) | instid1(VALU_DEP_3)
	v_cvt_f16_f32_e32 v89, v6
	v_mul_f32_e32 v5, 0x3fb8aa3b, v0
	v_cmp_ngt_f32_e64 s7, 0xc2ce8ed0, v0
	s_delay_alu instid0(VALU_DEP_3) | instskip(NEXT) | instid1(VALU_DEP_3)
	v_pack_b32_f16 v218, v88, v89
	v_fma_f32 v88, 0x3fb8aa3b, v0, -v5
	v_rndne_f32_e32 v89, v5
	s_delay_alu instid0(VALU_DEP_1) | instskip(NEXT) | instid1(VALU_DEP_1)
	v_dual_fmac_f32 v88, 0x32a5705f, v0 :: v_dual_sub_f32 v5, v5, v89
	v_add_f32_e32 v5, v5, v88
	v_cvt_i32_f32_e32 v88, v89
	s_delay_alu instid0(VALU_DEP_2) | instskip(SKIP_2) | instid1(VALU_DEP_1)
	v_exp_f32_e32 v5, v5
	s_waitcnt_depctr 0xfff
	v_ldexp_f32 v5, v5, v88
	v_cndmask_b32_e64 v5, 0, v5, s7
	v_cmp_nlt_f32_e64 s7, 0x42b17218, v0
	s_delay_alu instid0(VALU_DEP_1) | instskip(NEXT) | instid1(VALU_DEP_1)
	v_cndmask_b32_e64 v129, 0x7f800000, v5, s7
	v_cndmask_b32_e64 v5, v6, v129, s6
	ds_bpermute_b32 v6, v85, v129
	v_cndmask_b32_e64 v0, v7, v129, s5
	s_waitcnt lgkmcnt(0)
	s_delay_alu instid0(VALU_DEP_1) | instskip(SKIP_1) | instid1(VALU_DEP_2)
	v_cndmask_b32_e64 v0, v0, v6, s4
	v_cndmask_b32_e32 v5, v5, v6, vcc_lo
	v_cvt_f16_f32_e32 v6, v0
	s_delay_alu instid0(VALU_DEP_2) | instskip(NEXT) | instid1(VALU_DEP_1)
	v_cvt_f16_f32_e32 v7, v5
	v_pack_b32_f16 v219, v6, v7
	v_sub_f32_e32 v6, v134, v119
	s_delay_alu instid0(VALU_DEP_1) | instskip(SKIP_1) | instid1(VALU_DEP_2)
	v_mul_f32_e32 v7, 0x3fb8aa3b, v6
	v_cmp_ngt_f32_e64 s7, 0xc2ce8ed0, v6
	v_fma_f32 v88, 0x3fb8aa3b, v6, -v7
	v_rndne_f32_e32 v89, v7
	s_delay_alu instid0(VALU_DEP_1) | instskip(NEXT) | instid1(VALU_DEP_1)
	v_dual_fmac_f32 v88, 0x32a5705f, v6 :: v_dual_sub_f32 v7, v7, v89
	v_add_f32_e32 v7, v7, v88
	v_cvt_i32_f32_e32 v88, v89
	s_delay_alu instid0(VALU_DEP_2) | instskip(SKIP_2) | instid1(VALU_DEP_1)
	v_exp_f32_e32 v7, v7
	s_waitcnt_depctr 0xfff
	v_ldexp_f32 v7, v7, v88
	v_cndmask_b32_e64 v7, 0, v7, s7
	v_cmp_nlt_f32_e64 s7, 0x42b17218, v6
	s_delay_alu instid0(VALU_DEP_1)
	v_cndmask_b32_e64 v136, 0x7f800000, v7, s7
	v_cmp_ngt_f32_e64 s7, 0xc2ce8ed0, v4
	ds_bpermute_b32 v6, v85, v136
	v_cndmask_b32_e64 v0, v0, v136, s5
	v_cndmask_b32_e64 v5, v5, v136, s6
	s_waitcnt lgkmcnt(0)
	s_delay_alu instid0(VALU_DEP_2) | instskip(NEXT) | instid1(VALU_DEP_2)
	v_cndmask_b32_e64 v0, v0, v6, s4
	v_cndmask_b32_e32 v5, v5, v6, vcc_lo
	s_delay_alu instid0(VALU_DEP_2) | instskip(NEXT) | instid1(VALU_DEP_2)
	v_cvt_f16_f32_e32 v6, v0
	v_cvt_f16_f32_e32 v7, v5
	s_delay_alu instid0(VALU_DEP_1) | instskip(SKIP_1) | instid1(VALU_DEP_1)
	v_pack_b32_f16 v220, v6, v7
	v_mul_f32_e32 v6, 0x3fb8aa3b, v4
	v_fma_f32 v7, 0x3fb8aa3b, v4, -v6
	v_rndne_f32_e32 v88, v6
	s_delay_alu instid0(VALU_DEP_2) | instskip(NEXT) | instid1(VALU_DEP_2)
	v_fmac_f32_e32 v7, 0x32a5705f, v4
	v_sub_f32_e32 v6, v6, v88
	s_delay_alu instid0(VALU_DEP_1)
	v_add_f32_e32 v6, v6, v7
	v_cvt_i32_f32_e32 v7, v88
	ds_load_2addr_b32 v[88:89], v253 offset1:16
	ds_load_2addr_b32 v[120:121], v253 offset0:32 offset1:52
	ds_load_2addr_b32 v[134:135], v253 offset0:104 offset1:120
	;; [unrolled: 1-line block ×3, first 2 shown]
	v_exp_f32_e32 v6, v6
	s_waitcnt_depctr 0xfff
	v_ldexp_f32 v6, v6, v7
	s_delay_alu instid0(VALU_DEP_1) | instskip(SKIP_1) | instid1(VALU_DEP_1)
	v_cndmask_b32_e64 v6, 0, v6, s7
	v_cmp_nlt_f32_e64 s7, 0x42b17218, v4
	v_cndmask_b32_e64 v150, 0x7f800000, v6, s7
	v_cmp_ngt_f32_e64 s7, 0xc2ce8ed0, v3
	s_delay_alu instid0(VALU_DEP_2) | instskip(SKIP_3) | instid1(VALU_DEP_1)
	v_cndmask_b32_e64 v4, v5, v150, s6
	ds_bpermute_b32 v5, v85, v150
	v_cndmask_b32_e64 v0, v0, v150, s5
	s_waitcnt lgkmcnt(0)
	v_cndmask_b32_e64 v0, v0, v5, s4
	v_cndmask_b32_e32 v4, v4, v5, vcc_lo
	s_delay_alu instid0(VALU_DEP_2) | instskip(NEXT) | instid1(VALU_DEP_2)
	v_cvt_f16_f32_e32 v5, v0
	v_cvt_f16_f32_e32 v6, v4
	s_delay_alu instid0(VALU_DEP_1) | instskip(SKIP_1) | instid1(VALU_DEP_1)
	v_pack_b32_f16 v221, v5, v6
	v_mul_f32_e32 v5, 0x3fb8aa3b, v3
	v_fma_f32 v6, 0x3fb8aa3b, v3, -v5
	v_rndne_f32_e32 v7, v5
	s_delay_alu instid0(VALU_DEP_2) | instskip(NEXT) | instid1(VALU_DEP_2)
	v_fmac_f32_e32 v6, 0x32a5705f, v3
	v_sub_f32_e32 v5, v5, v7
	s_delay_alu instid0(VALU_DEP_1) | instskip(SKIP_2) | instid1(VALU_DEP_3)
	v_add_f32_e32 v5, v5, v6
	v_cvt_i32_f32_e32 v6, v7
	v_add_nc_u32_e32 v7, 0xa00, v253
	v_exp_f32_e32 v5, v5
	s_waitcnt_depctr 0xfff
	v_ldexp_f32 v5, v5, v6
	s_delay_alu instid0(VALU_DEP_1) | instskip(SKIP_1) | instid1(VALU_DEP_1)
	v_cndmask_b32_e64 v5, 0, v5, s7
	v_cmp_nlt_f32_e64 s7, 0x42b17218, v3
	v_cndmask_b32_e64 v152, 0x7f800000, v5, s7
	v_cmp_ngt_f32_e64 s7, 0xc2ce8ed0, v2
	s_delay_alu instid0(VALU_DEP_2) | instskip(SKIP_3) | instid1(VALU_DEP_1)
	v_cndmask_b32_e64 v3, v4, v152, s6
	ds_bpermute_b32 v4, v85, v152
	v_cndmask_b32_e64 v0, v0, v152, s5
	s_waitcnt lgkmcnt(0)
	v_cndmask_b32_e64 v0, v0, v4, s4
	v_cndmask_b32_e32 v3, v3, v4, vcc_lo
	s_delay_alu instid0(VALU_DEP_2) | instskip(NEXT) | instid1(VALU_DEP_2)
	v_cvt_f16_f32_e32 v4, v0
	v_cvt_f16_f32_e32 v5, v3
	s_delay_alu instid0(VALU_DEP_1) | instskip(SKIP_1) | instid1(VALU_DEP_1)
	v_pack_b32_f16 v222, v4, v5
	v_mul_f32_e32 v4, 0x3fb8aa3b, v2
	v_fma_f32 v5, 0x3fb8aa3b, v2, -v4
	v_rndne_f32_e32 v6, v4
	s_delay_alu instid0(VALU_DEP_2) | instskip(NEXT) | instid1(VALU_DEP_2)
	v_fmac_f32_e32 v5, 0x32a5705f, v2
	v_sub_f32_e32 v4, v4, v6
	s_delay_alu instid0(VALU_DEP_1) | instskip(SKIP_1) | instid1(VALU_DEP_2)
	v_add_f32_e32 v4, v4, v5
	v_cvt_i32_f32_e32 v5, v6
	v_exp_f32_e32 v4, v4
	s_waitcnt_depctr 0xfff
	v_ldexp_f32 v4, v4, v5
	s_delay_alu instid0(VALU_DEP_1) | instskip(SKIP_1) | instid1(VALU_DEP_1)
	v_cndmask_b32_e64 v4, 0, v4, s7
	v_cmp_nlt_f32_e64 s7, 0x42b17218, v2
	v_cndmask_b32_e64 v209, 0x7f800000, v4, s7
	v_cmp_ngt_f32_e64 s7, 0xc2ce8ed0, v1
	v_add_nc_u32_e32 v237, 0x400, v253
	s_delay_alu instid0(VALU_DEP_3) | instskip(SKIP_3) | instid1(VALU_DEP_1)
	v_cndmask_b32_e64 v2, v3, v209, s6
	ds_bpermute_b32 v3, v85, v209
	v_cndmask_b32_e64 v0, v0, v209, s5
	s_waitcnt lgkmcnt(0)
	v_cndmask_b32_e64 v0, v0, v3, s4
	v_cndmask_b32_e32 v2, v2, v3, vcc_lo
	s_delay_alu instid0(VALU_DEP_2) | instskip(NEXT) | instid1(VALU_DEP_2)
	v_cvt_f16_f32_e32 v3, v0
	v_cvt_f16_f32_e32 v4, v2
	s_delay_alu instid0(VALU_DEP_1) | instskip(SKIP_1) | instid1(VALU_DEP_1)
	v_pack_b32_f16 v223, v3, v4
	v_mul_f32_e32 v3, 0x3fb8aa3b, v1
	v_fma_f32 v4, 0x3fb8aa3b, v1, -v3
	v_rndne_f32_e32 v5, v3
	s_delay_alu instid0(VALU_DEP_2) | instskip(NEXT) | instid1(VALU_DEP_2)
	v_fmac_f32_e32 v4, 0x32a5705f, v1
	v_sub_f32_e32 v3, v3, v5
	s_delay_alu instid0(VALU_DEP_1) | instskip(SKIP_1) | instid1(VALU_DEP_2)
	v_add_f32_e32 v3, v3, v4
	v_cvt_i32_f32_e32 v4, v5
	v_exp_f32_e32 v3, v3
	s_waitcnt_depctr 0xfff
	v_ldexp_f32 v3, v3, v4
	s_delay_alu instid0(VALU_DEP_1) | instskip(SKIP_1) | instid1(VALU_DEP_1)
	v_cndmask_b32_e64 v3, 0, v3, s7
	v_cmp_nlt_f32_e64 s7, 0x42b17218, v1
	v_cndmask_b32_e64 v138, 0x7f800000, v3, s7
	s_delay_alu instid0(VALU_DEP_1) | instskip(SKIP_3) | instid1(VALU_DEP_1)
	v_cndmask_b32_e64 v1, v2, v138, s6
	ds_bpermute_b32 v2, v85, v138
	v_cndmask_b32_e64 v0, v0, v138, s5
	s_waitcnt lgkmcnt(0)
	v_cndmask_b32_e64 v0, v0, v2, s4
	v_cndmask_b32_e32 v1, v1, v2, vcc_lo
	s_delay_alu instid0(VALU_DEP_2) | instskip(NEXT) | instid1(VALU_DEP_2)
	v_cvt_f16_f32_e32 v0, v0
	v_cvt_f16_f32_e32 v1, v1
	s_delay_alu instid0(VALU_DEP_1) | instskip(SKIP_1) | instid1(VALU_DEP_1)
	v_pack_b32_f16 v224, v0, v1
	v_sub_f32_e32 v0, v83, v119
	v_mul_f32_e32 v1, 0x3fb8aa3b, v0
	v_cmp_ngt_f32_e32 vcc_lo, 0xc2ce8ed0, v0
	s_delay_alu instid0(VALU_DEP_2) | instskip(SKIP_1) | instid1(VALU_DEP_1)
	v_fma_f32 v2, 0x3fb8aa3b, v0, -v1
	v_rndne_f32_e32 v3, v1
	v_dual_fmac_f32 v2, 0x32a5705f, v0 :: v_dual_sub_f32 v1, v1, v3
	s_delay_alu instid0(VALU_DEP_1) | instskip(SKIP_1) | instid1(VALU_DEP_2)
	v_add_f32_e32 v1, v1, v2
	v_cvt_i32_f32_e32 v2, v3
	v_exp_f32_e32 v1, v1
	s_waitcnt_depctr 0xfff
	v_ldexp_f32 v1, v1, v2
	v_add_nc_u32_e32 v2, 0x200, v253
	s_delay_alu instid0(VALU_DEP_2)
	v_cndmask_b32_e32 v1, 0, v1, vcc_lo
	v_cmp_nlt_f32_e32 vcc_lo, 0x42b17218, v0
	ds_load_2addr_b32 v[154:155], v2 offset0:80 offset1:132
	ds_load_2addr_b32 v[156:157], v237 offset0:56 offset1:72
	;; [unrolled: 1-line block ×9, first 2 shown]
	v_cndmask_b32_e32 v1, 0x7f800000, v1, vcc_lo
	v_cmp_le_f32_e32 vcc_lo, 0xc1a00000, v0
	v_perm_b32 v0, v121, v88, 0x5040100
	ds_load_2addr_b32 v[225:226], v253 offset0:68 offset1:84
	ds_load_2addr_b32 v[227:228], v253 offset0:172 offset1:188
	v_cndmask_b32_e32 v159, 0, v1, vcc_lo
	v_perm_b32 v1, v148, v134, 0x5040100
	s_delay_alu instid0(VALU_DEP_2)
	v_cvt_f16_f32_e64 v83, v159
	s_waitcnt lgkmcnt(10)
	v_perm_b32 v2, v155, v154, 0x5040100
	s_waitcnt lgkmcnt(8)
	v_perm_b32 v3, v192, v156, 0x5040100
	v_pk_mul_f16 v24, v83, v24 op_sel_hi:[0,1]
	v_pk_mul_f16 v25, v83, v25 op_sel_hi:[0,1]
	;; [unrolled: 1-line block ×8, first 2 shown]
	s_waitcnt lgkmcnt(7)
	v_perm_b32 v4, v194, v193, 0x5040100
	s_waitcnt lgkmcnt(5)
	v_perm_b32 v5, v200, v195, 0x5040100
	;; [unrolled: 2-line block ×4, first 2 shown]
	v_pk_mul_f16 v16, v83, v16 op_sel_hi:[0,1]
	v_pk_mul_f16 v17, v83, v17 op_sel_hi:[0,1]
	;; [unrolled: 1-line block ×4, first 2 shown]
	v_wmma_f16_16x16x16_f16 v[24:31], v[0:7], v[217:224], v[24:31]
	v_add_nc_u32_e32 v2, 0x300, v176
	v_add_nc_u32_e32 v7, 0xc00, v253
	ds_load_2addr_b32 v[229:230], v2 offset0:16 offset1:224
	ds_load_2addr_b32 v[233:234], v237 offset0:20 offset1:36
	ds_load_2addr_b32 v[235:236], v237 offset0:124 offset1:140
	ds_load_2addr_b32 v[237:238], v237 offset0:228 offset1:244
	ds_load_2addr_b32 v[240:241], v242 offset0:76 offset1:92
	ds_load_2addr_b32 v[242:243], v242 offset0:180 offset1:196
	ds_load_b32 v151, v176 offset:2496
	ds_load_b32 v130, v177 offset:2496
	ds_load_2addr_b32 v[244:245], v7 offset0:28 offset1:44
	v_pk_mul_f16 v20, v83, v20 op_sel_hi:[0,1]
	v_pk_mul_f16 v21, v83, v21 op_sel_hi:[0,1]
	;; [unrolled: 1-line block ×4, first 2 shown]
	s_waitcnt lgkmcnt(10)
	v_perm_b32 v0, v225, v89, 0x5040100
	s_waitcnt lgkmcnt(9)
	v_perm_b32 v1, v227, v135, 0x5040100
	v_pk_mul_f16 v8, v83, v8 op_sel_hi:[0,1]
	v_pk_mul_f16 v9, v83, v9 op_sel_hi:[0,1]
	;; [unrolled: 1-line block ×8, first 2 shown]
	s_waitcnt lgkmcnt(7)
	v_perm_b32 v2, v233, v229, 0x5040100
	s_waitcnt lgkmcnt(6)
	v_perm_b32 v3, v235, v157, 0x5040100
	;; [unrolled: 2-line block ×6, first 2 shown]
	s_delay_alu instid0(VALU_DEP_1)
	v_wmma_f16_16x16x16_f16 v[16:23], v[0:7], v[217:224], v[16:23]
	v_add_nc_u32_e32 v2, 0x300, v177
	v_perm_b32 v0, v226, v120, 0x5040100
	v_perm_b32 v1, v228, v147, 0x5040100
	;; [unrolled: 1-line block ×4, first 2 shown]
	ds_load_2addr_b32 v[246:247], v2 offset0:16 offset1:224
	v_perm_b32 v6, v243, v130, 0x5040100
	v_perm_b32 v7, v245, v205, 0x5040100
	s_waitcnt lgkmcnt(0)
	s_barrier
	buffer_gl0_inv
	v_perm_b32 v2, v234, v246, 0x5040100
	v_perm_b32 v4, v238, v247, 0x5040100
	s_delay_alu instid0(VALU_DEP_1)
	v_wmma_f16_16x16x16_f16 v[8:15], v[0:7], v[217:224], v[8:15]
	v_perm_b32 v2, v155, v154, 0x7060302
	v_perm_b32 v4, v194, v193, 0x7060302
	;; [unrolled: 1-line block ×8, first 2 shown]
	s_delay_alu instid0(VALU_DEP_1)
	v_wmma_f16_16x16x16_f16 v[24:31], v[0:7], v[217:224], v[24:31] op_sel:[0,0,1]
	v_perm_b32 v0, v225, v89, 0x7060302
	v_perm_b32 v1, v227, v135, 0x7060302
	;; [unrolled: 1-line block ×8, first 2 shown]
	s_delay_alu instid0(VALU_DEP_1)
	v_wmma_f16_16x16x16_f16 v[16:23], v[0:7], v[217:224], v[16:23] op_sel:[0,0,1]
	v_perm_b32 v0, v226, v120, 0x7060302
	v_perm_b32 v1, v228, v147, 0x7060302
	;; [unrolled: 1-line block ×8, first 2 shown]
	s_delay_alu instid0(VALU_DEP_1) | instskip(SKIP_1) | instid1(VALU_DEP_1)
	v_wmma_f16_16x16x16_f16 v[8:15], v[0:7], v[217:224], v[8:15] op_sel:[0,0,1]
	v_add_f32_e32 v0, v122, v125
	v_add_f32_e32 v0, v129, v0
	s_delay_alu instid0(VALU_DEP_1) | instskip(NEXT) | instid1(VALU_DEP_1)
	v_add_f32_e32 v0, v136, v0
	v_add_f32_e32 v0, v150, v0
	s_delay_alu instid0(VALU_DEP_1) | instskip(NEXT) | instid1(VALU_DEP_1)
	v_add_f32_e32 v0, v152, v0
	v_add_f32_e32 v0, v209, v0
	s_delay_alu instid0(VALU_DEP_1) | instskip(NEXT) | instid1(VALU_DEP_1)
	v_add_f32_e32 v83, v138, v0
	v_fmac_f32_e32 v83, v84, v159
	s_cbranch_scc0 .LBB14_70
; %bb.67:                               ;   in Loop: Header=BB14_66 Depth=2
	s_delay_alu instid0(VALU_DEP_1)
	v_mov_b32_e32 v84, v83
	v_mov_b32_e32 v83, v119
	s_ashr_i32 s67, s66, 31
	s_and_saveexec_b32 s4, s0
	s_cbranch_execnz .LBB14_65
	s_branch .LBB14_66
.LBB14_68:                              ;   in Loop: Header=BB14_12 Depth=1
	s_cbranch_execz .LBB14_11
	s_branch .LBB14_198
.LBB14_69:                              ;   in Loop: Header=BB14_12 Depth=1
	v_dual_mov_b32 v83, 0 :: v_dual_mov_b32 v14, 0
	v_dual_mov_b32 v119, 0xfeffffff :: v_dual_mov_b32 v12, 0
	;; [unrolled: 1-line block ×12, first 2 shown]
	v_mov_b32_e32 v25, 0
.LBB14_70:                              ;   in Loop: Header=BB14_12 Depth=1
	s_lshl_b32 s4, s102, 5
	s_delay_alu instid0(SALU_CYCLE_1)
	s_ashr_i32 s5, s4, 31
	s_and_saveexec_b32 s6, s0
	s_cbranch_execz .LBB14_72
; %bb.71:                               ;   in Loop: Header=BB14_12 Depth=1
	v_add_nc_u32_e32 v0, s89, v149
	s_lshl_b64 s[66:67], s[4:5], 1
	v_lshlrev_b32_e32 v4, 1, v164
	s_delay_alu instid0(VALU_DEP_2) | instskip(NEXT) | instid1(VALU_DEP_1)
	v_lshl_or_b32 v0, v0, 1, v163
	v_mul_hi_u32 v1, s12, v0
	s_delay_alu instid0(VALU_DEP_1) | instskip(NEXT) | instid1(VALU_DEP_1)
	v_add_nc_u32_e32 v1, v0, v1
	v_lshrrev_b32_e32 v1, s13, v1
	s_delay_alu instid0(VALU_DEP_1) | instskip(NEXT) | instid1(VALU_DEP_1)
	v_mul_lo_u32 v1, v1, s8
	v_sub_nc_u32_e32 v2, v0, v1
	s_delay_alu instid0(VALU_DEP_1) | instskip(SKIP_2) | instid1(VALU_DEP_3)
	v_mad_i64_i32 v[0:1], null, v2, s40, 0
	v_add_co_u32 v2, vcc_lo, v232, s66
	v_add_co_ci_u32_e32 v3, vcc_lo, s67, v128, vcc_lo
	v_lshlrev_b64 v[0:1], 1, v[0:1]
	s_delay_alu instid0(VALU_DEP_1) | instskip(NEXT) | instid1(VALU_DEP_2)
	v_add_co_u32 v0, vcc_lo, v2, v0
	v_add_co_ci_u32_e32 v1, vcc_lo, v3, v1, vcc_lo
	s_delay_alu instid0(VALU_DEP_2) | instskip(NEXT) | instid1(VALU_DEP_2)
	v_add_co_u32 v0, vcc_lo, v0, v4
	v_add_co_ci_u32_e32 v1, vcc_lo, 0, v1, vcc_lo
	global_load_b32 v0, v[0:1], off
	s_waitcnt vmcnt(0)
	ds_store_b32 v167, v0 offset:6656
.LBB14_72:                              ;   in Loop: Header=BB14_12 Depth=1
	s_or_b32 exec_lo, exec_lo, s6
	s_mul_hi_i32 s7, s4, s34
	s_mul_i32 s6, s4, s34
	v_dual_mov_b32 v217, v216 :: v_dual_lshlrev_b32 v84, 2, v166
	s_lshl_b64 s[6:7], s[6:7], 2
	v_dual_mov_b32 v218, v216 :: v_dual_lshlrev_b32 v85, 2, v169
	s_add_u32 s5, s90, s6
	s_addc_u32 s6, s91, s7
	v_add_co_u32 v0, vcc_lo, s5, v97
	v_add_co_ci_u32_e32 v2, vcc_lo, s6, v98, vcc_lo
	v_mov_b32_e32 v223, v216
	s_delay_alu instid0(VALU_DEP_3) | instskip(NEXT) | instid1(VALU_DEP_3)
	v_add_co_u32 v1, vcc_lo, v0, v84
	v_add_co_ci_u32_e32 v2, vcc_lo, 0, v2, vcc_lo
	v_add_co_u32 v0, vcc_lo, s5, v109
	v_add_co_ci_u32_e32 v3, vcc_lo, s6, v110, vcc_lo
	v_mov_b32_e32 v219, v216
	s_delay_alu instid0(VALU_DEP_3) | instskip(NEXT) | instid1(VALU_DEP_3)
	v_add_co_u32 v4, vcc_lo, v0, v84
	v_add_co_ci_u32_e32 v5, vcc_lo, 0, v3, vcc_lo
	s_clause 0x1
	global_load_b128 v[0:3], v[1:2], off offset:128
	global_load_b128 v[4:7], v[4:5], off offset:128
	v_mov_b32_e32 v220, v216
	v_mov_b32_e32 v221, v216
	;; [unrolled: 1-line block ×4, first 2 shown]
	s_delay_alu instid0(VALU_DEP_2) | instskip(NEXT) | instid1(VALU_DEP_4)
	v_mov_b32_e32 v223, v222
	v_mov_b32_e32 v222, v221
	;; [unrolled: 1-line block ×6, first 2 shown]
	v_dual_mov_b32 v217, v216 :: v_dual_add_nc_u32 v86, 0x400, v253
	s_waitcnt vmcnt(1)
	ds_store_b128 v168, v[0:3]
	s_waitcnt vmcnt(0)
	ds_store_b128 v170, v[4:7]
	v_add_co_u32 v0, vcc_lo, s5, v111
	v_add_co_ci_u32_e32 v1, vcc_lo, s6, v112, vcc_lo
	s_delay_alu instid0(VALU_DEP_2) | instskip(NEXT) | instid1(VALU_DEP_2)
	v_add_co_u32 v0, vcc_lo, v0, v85
	v_add_co_ci_u32_e32 v1, vcc_lo, 0, v1, vcc_lo
	v_add_co_u32 v2, vcc_lo, s5, v113
	v_add_co_ci_u32_e32 v3, vcc_lo, s6, v114, vcc_lo
	s_delay_alu instid0(VALU_DEP_2) | instskip(NEXT) | instid1(VALU_DEP_2)
	v_add_co_u32 v4, vcc_lo, v2, v85
	v_add_co_ci_u32_e32 v5, vcc_lo, 0, v3, vcc_lo
	s_clause 0x1
	global_load_b128 v[0:3], v[0:1], off
	global_load_b128 v[4:7], v[4:5], off
	s_waitcnt vmcnt(1)
	ds_store_b128 v171, v[0:3]
	s_waitcnt vmcnt(0)
	ds_store_b128 v249, v[4:7]
	v_add_co_u32 v0, vcc_lo, s5, v115
	v_add_co_ci_u32_e32 v1, vcc_lo, s6, v116, vcc_lo
	s_delay_alu instid0(VALU_DEP_2) | instskip(NEXT) | instid1(VALU_DEP_2)
	v_add_co_u32 v0, vcc_lo, v0, v85
	v_add_co_ci_u32_e32 v1, vcc_lo, 0, v1, vcc_lo
	v_add_co_u32 v2, vcc_lo, s5, v117
	v_add_co_ci_u32_e32 v3, vcc_lo, s6, v118, vcc_lo
	s_mul_hi_i32 s5, s4, s10
	s_delay_alu instid0(VALU_DEP_2) | instskip(NEXT) | instid1(VALU_DEP_2)
	v_add_co_u32 v4, vcc_lo, v2, v85
	v_add_co_ci_u32_e32 v5, vcc_lo, 0, v3, vcc_lo
	s_clause 0x1
	global_load_b128 v[0:3], v[0:1], off
	global_load_b128 v[4:7], v[4:5], off
	s_mul_i32 s4, s4, s10
	v_cmp_eq_u32_e64 s6, 1, v163
	s_lshl_b64 s[4:5], s[4:5], 2
	s_waitcnt vmcnt(1)
	ds_store_b128 v250, v[0:3]
	s_waitcnt vmcnt(0)
	ds_store_b128 v251, v[4:7]
	s_waitcnt lgkmcnt(0)
	s_barrier
	buffer_gl0_inv
	ds_load_b128 v[0:3], v175
	ds_load_b128 v[4:7], v175 offset:16
	s_add_u32 s4, s87, s4
	s_addc_u32 s5, s88, s5
	s_cmp_lg_u64 s[64:65], 0
	s_waitcnt lgkmcnt(0)
	v_wmma_f32_16x16x16_f16 v[217:224], v[0:7], v[40:47], v[217:224]
	ds_load_b128 v[0:3], v175 offset:32
	ds_load_b128 v[4:7], v175 offset:48
	s_waitcnt lgkmcnt(0)
	v_wmma_f32_16x16x16_f16 v[217:224], v[0:7], v[32:39], v[217:224]
	ds_load_b128 v[0:3], v175 offset:64
	ds_load_b128 v[4:7], v175 offset:80
	;; [unrolled: 4-line block ×4, first 2 shown]
	v_add_nc_u32_e32 v56, 0xa00, v253
	s_waitcnt lgkmcnt(0)
	v_wmma_f32_16x16x16_f16 v[217:224], v[0:7], v[64:71], v[217:224]
	ds_load_b128 v[0:3], v175 offset:160
	ds_load_b128 v[4:7], v175 offset:176
	s_waitcnt lgkmcnt(0)
	s_barrier
	buffer_gl0_inv
	v_wmma_f32_16x16x16_f16 v[217:224], v[0:7], v[72:79], v[217:224]
	ds_load_u16 v0, v172 offset:6656
	ds_load_u16 v1, v172 offset:6660
	;; [unrolled: 1-line block ×8, first 2 shown]
	s_waitcnt lgkmcnt(7)
	v_cvt_f32_f16_e32 v0, v0
	s_waitcnt lgkmcnt(6)
	v_cvt_f32_f16_e32 v1, v1
	;; [unrolled: 2-line block ×5, first 2 shown]
	v_dual_add_f32 v0, v217, v0 :: v_dual_add_f32 v45, v218, v1
	s_waitcnt lgkmcnt(2)
	v_cvt_f32_f16_e32 v5, v5
	v_dual_add_f32 v40, v219, v2 :: v_dual_add_f32 v39, v220, v3
	s_delay_alu instid0(VALU_DEP_3)
	v_dual_add_f32 v1, 0x40051340, v0 :: v_dual_add_f32 v2, 0x40051340, v45
	s_waitcnt lgkmcnt(1)
	v_cvt_f32_f16_e32 v6, v6
	s_waitcnt lgkmcnt(0)
	v_cvt_f32_f16_e32 v7, v7
	v_dual_add_f32 v37, v221, v4 :: v_dual_add_f32 v36, v222, v5
	v_max3_f32 v1, v119, v1, v2
	v_dual_add_f32 v2, 0x40051340, v40 :: v_dual_add_f32 v3, 0x40051340, v39
	s_delay_alu instid0(VALU_DEP_4) | instskip(NEXT) | instid1(VALU_DEP_2)
	v_dual_add_f32 v35, v223, v6 :: v_dual_add_f32 v34, v224, v7
	v_max3_f32 v1, v1, v2, v3
	v_dual_add_f32 v2, 0x40051340, v37 :: v_dual_add_f32 v3, 0x40051340, v36
	s_delay_alu instid0(VALU_DEP_1) | instskip(NEXT) | instid1(VALU_DEP_4)
	v_max3_f32 v1, v1, v2, v3
	v_dual_add_f32 v2, 0x40051340, v35 :: v_dual_add_f32 v3, 0x40051340, v34
	s_delay_alu instid0(VALU_DEP_1) | instskip(SKIP_1) | instid1(VALU_DEP_1)
	v_max3_f32 v1, v1, v2, v3
	v_xor_b32_e32 v2, 16, v231
	v_cmp_gt_i32_e32 vcc_lo, 32, v2
	v_cndmask_b32_e32 v2, v231, v2, vcc_lo
	s_delay_alu instid0(VALU_DEP_1) | instskip(SKIP_3) | instid1(VALU_DEP_1)
	v_lshlrev_b32_e32 v32, 2, v2
	ds_bpermute_b32 v2, v32, v1
	s_waitcnt lgkmcnt(0)
	v_max_f32_e32 v2, v2, v2
	v_max_f32_e32 v33, v1, v2
	s_delay_alu instid0(VALU_DEP_1) | instskip(SKIP_1) | instid1(VALU_DEP_2)
	v_sub_f32_e32 v1, v119, v33
	v_add_nc_u32_e32 v119, 0x800, v253
	v_mul_f32_e32 v2, 0x3fb8aa3b, v1
	v_cmp_ngt_f32_e32 vcc_lo, 0xc2ce8ed0, v1
	v_sub_f32_e32 v0, v0, v33
	s_delay_alu instid0(VALU_DEP_3) | instskip(SKIP_1) | instid1(VALU_DEP_1)
	v_fma_f32 v3, 0x3fb8aa3b, v1, -v2
	v_rndne_f32_e32 v4, v2
	v_dual_fmac_f32 v3, 0x32a5705f, v1 :: v_dual_sub_f32 v2, v2, v4
	s_delay_alu instid0(VALU_DEP_1) | instskip(SKIP_1) | instid1(VALU_DEP_2)
	v_add_f32_e32 v2, v2, v3
	v_cvt_i32_f32_e32 v3, v4
	v_exp_f32_e32 v2, v2
	s_waitcnt_depctr 0xfff
	v_ldexp_f32 v2, v2, v3
	s_delay_alu instid0(VALU_DEP_1) | instskip(SKIP_1) | instid1(VALU_DEP_2)
	v_cndmask_b32_e32 v2, 0, v2, vcc_lo
	v_cmp_nlt_f32_e32 vcc_lo, 0x42b17218, v1
	v_cndmask_b32_e32 v2, 0x7f800000, v2, vcc_lo
	v_cmp_le_f32_e32 vcc_lo, 0xc1a00000, v1
	s_delay_alu instid0(VALU_DEP_2) | instskip(NEXT) | instid1(VALU_DEP_1)
	v_cndmask_b32_e32 v38, 0, v2, vcc_lo
	v_cvt_f16_f32_e32 v41, v38
	s_delay_alu instid0(VALU_DEP_1) | instskip(SKIP_3) | instid1(VALU_DEP_3)
	v_pk_mul_f16 v2, v41, v9 op_sel_hi:[0,1]
	v_add_co_u32 v9, vcc_lo, s4, v93
	v_pk_mul_f16 v3, v41, v10 op_sel_hi:[0,1]
	v_add_co_ci_u32_e32 v10, vcc_lo, s5, v94, vcc_lo
	v_add_co_u32 v9, vcc_lo, v9, v84
	v_pk_mul_f16 v4, v41, v11 op_sel_hi:[0,1]
	s_delay_alu instid0(VALU_DEP_3) | instskip(SKIP_4) | instid1(VALU_DEP_4)
	v_add_co_ci_u32_e32 v10, vcc_lo, 0, v10, vcc_lo
	v_add_co_u32 v11, vcc_lo, s4, v95
	v_pk_mul_f16 v5, v41, v12 op_sel_hi:[0,1]
	v_add_co_ci_u32_e32 v12, vcc_lo, s5, v96, vcc_lo
	v_pk_mul_f16 v6, v41, v13 op_sel_hi:[0,1]
	v_add_co_u32 v13, vcc_lo, v11, v84
	v_pk_mul_f16 v7, v41, v14 op_sel_hi:[0,1]
	s_delay_alu instid0(VALU_DEP_4)
	v_add_co_ci_u32_e32 v14, vcc_lo, 0, v12, vcc_lo
	v_pk_mul_f16 v24, v41, v24 op_sel_hi:[0,1]
	v_pk_mul_f16 v25, v41, v25 op_sel_hi:[0,1]
	;; [unrolled: 1-line block ×18, first 2 shown]
	s_clause 0x1
	global_load_b128 v[9:12], v[9:10], off offset:128
	global_load_b128 v[41:44], v[13:14], off offset:128
	s_waitcnt vmcnt(1)
	ds_store_b128 v168, v[9:12]
	s_waitcnt vmcnt(0)
	ds_store_b128 v170, v[41:44]
	v_add_co_u32 v9, vcc_lo, s4, v99
	v_add_co_ci_u32_e32 v10, vcc_lo, s5, v100, vcc_lo
	s_delay_alu instid0(VALU_DEP_2) | instskip(NEXT) | instid1(VALU_DEP_2)
	v_add_co_u32 v9, vcc_lo, v9, v85
	v_add_co_ci_u32_e32 v10, vcc_lo, 0, v10, vcc_lo
	v_add_co_u32 v11, vcc_lo, s4, v101
	v_add_co_ci_u32_e32 v12, vcc_lo, s5, v102, vcc_lo
	s_delay_alu instid0(VALU_DEP_2) | instskip(NEXT) | instid1(VALU_DEP_2)
	v_add_co_u32 v13, vcc_lo, v11, v85
	v_add_co_ci_u32_e32 v14, vcc_lo, 0, v12, vcc_lo
	s_clause 0x1
	global_load_b128 v[9:12], v[9:10], off
	global_load_b128 v[41:44], v[13:14], off
	s_waitcnt vmcnt(1)
	ds_store_b128 v171, v[9:12]
	s_waitcnt vmcnt(0)
	ds_store_b128 v249, v[41:44]
	v_add_co_u32 v9, vcc_lo, s4, v105
	v_add_co_ci_u32_e32 v10, vcc_lo, s5, v106, vcc_lo
	s_delay_alu instid0(VALU_DEP_2) | instskip(NEXT) | instid1(VALU_DEP_2)
	v_add_co_u32 v9, vcc_lo, v9, v85
	v_add_co_ci_u32_e32 v10, vcc_lo, 0, v10, vcc_lo
	v_add_co_u32 v11, vcc_lo, s4, v107
	v_add_co_ci_u32_e32 v12, vcc_lo, s5, v108, vcc_lo
	v_cmp_eq_u32_e64 s5, 0, v163
	s_delay_alu instid0(VALU_DEP_3) | instskip(NEXT) | instid1(VALU_DEP_3)
	v_add_co_u32 v13, vcc_lo, v11, v85
	v_add_co_ci_u32_e32 v14, vcc_lo, 0, v12, vcc_lo
	s_clause 0x1
	global_load_b128 v[9:12], v[9:10], off
	global_load_b128 v[41:44], v[13:14], off
	s_waitcnt vmcnt(1)
	ds_store_b128 v250, v[9:12]
	s_waitcnt vmcnt(0)
	ds_store_b128 v251, v[41:44]
	v_sub_f32_e32 v9, v45, v33
	s_waitcnt lgkmcnt(0)
	s_barrier
	buffer_gl0_inv
	v_mul_f32_e32 v10, 0x3fb8aa3b, v9
	v_cmp_ngt_f32_e32 vcc_lo, 0xc2ce8ed0, v9
	s_delay_alu instid0(VALU_DEP_2) | instskip(SKIP_1) | instid1(VALU_DEP_1)
	v_fma_f32 v11, 0x3fb8aa3b, v9, -v10
	v_rndne_f32_e32 v12, v10
	v_dual_fmac_f32 v11, 0x32a5705f, v9 :: v_dual_sub_f32 v10, v10, v12
	v_cvt_i32_f32_e32 v12, v12
	s_delay_alu instid0(VALU_DEP_2) | instskip(NEXT) | instid1(VALU_DEP_1)
	v_add_f32_e32 v10, v10, v11
	v_exp_f32_e32 v10, v10
	s_waitcnt_depctr 0xfff
	v_ldexp_f32 v10, v10, v12
	s_delay_alu instid0(VALU_DEP_1) | instskip(SKIP_1) | instid1(VALU_DEP_2)
	v_cndmask_b32_e32 v10, 0, v10, vcc_lo
	v_cmp_nlt_f32_e32 vcc_lo, 0x42b17218, v9
	v_cndmask_b32_e32 v15, 0x7f800000, v10, vcc_lo
	v_mul_f32_e32 v11, 0x3fb8aa3b, v0
	v_cmp_ngt_f32_e64 s4, 0xc2ce8ed0, v0
	v_cmp_eq_u32_e32 vcc_lo, 1, v252
	s_delay_alu instid0(VALU_DEP_3) | instskip(SKIP_1) | instid1(VALU_DEP_2)
	v_fma_f32 v13, 0x3fb8aa3b, v0, -v11
	v_rndne_f32_e32 v14, v11
	v_fmac_f32_e32 v13, 0x32a5705f, v0
	s_delay_alu instid0(VALU_DEP_2) | instskip(SKIP_1) | instid1(VALU_DEP_2)
	v_sub_f32_e32 v11, v11, v14
	v_cvt_i32_f32_e32 v12, v14
	v_add_f32_e32 v11, v11, v13
	s_delay_alu instid0(VALU_DEP_1) | instskip(SKIP_2) | instid1(VALU_DEP_1)
	v_exp_f32_e32 v11, v11
	s_waitcnt_depctr 0xfff
	v_ldexp_f32 v11, v11, v12
	v_cndmask_b32_e64 v9, 0, v11, s4
	v_cmp_nlt_f32_e64 s4, 0x42b17218, v0
	ds_bpermute_b32 v11, v32, v15
	v_cndmask_b32_e64 v0, 0x7f800000, v9, s4
	v_cmp_eq_u32_e64 s4, 0, v252
	ds_bpermute_b32 v9, v32, v0
	s_waitcnt lgkmcnt(0)
	v_cndmask_b32_e64 v10, v0, v9, s4
	v_cndmask_b32_e32 v9, v0, v9, vcc_lo
	v_add_f32_e32 v0, v0, v15
	s_delay_alu instid0(VALU_DEP_3) | instskip(NEXT) | instid1(VALU_DEP_3)
	v_cndmask_b32_e64 v12, v10, v15, s5
	v_cndmask_b32_e64 v13, v9, v15, s6
	v_cvt_f16_f32_e32 v10, v10
	v_cvt_f16_f32_e32 v9, v9
	s_delay_alu instid0(VALU_DEP_4) | instskip(NEXT) | instid1(VALU_DEP_4)
	v_cndmask_b32_e64 v12, v12, v11, s4
	v_cndmask_b32_e32 v11, v13, v11, vcc_lo
	s_delay_alu instid0(VALU_DEP_3) | instskip(SKIP_1) | instid1(VALU_DEP_4)
	v_pack_b32_f16 v41, v10, v9
	v_sub_f32_e32 v9, v40, v33
	v_cvt_f16_f32_e32 v13, v12
	s_delay_alu instid0(VALU_DEP_4) | instskip(NEXT) | instid1(VALU_DEP_3)
	v_cvt_f16_f32_e32 v14, v11
	v_mul_f32_e32 v10, 0x3fb8aa3b, v9
	v_cmp_ngt_f32_e64 s7, 0xc2ce8ed0, v9
	s_delay_alu instid0(VALU_DEP_3) | instskip(NEXT) | instid1(VALU_DEP_3)
	v_pack_b32_f16 v42, v13, v14
	v_fma_f32 v13, 0x3fb8aa3b, v9, -v10
	v_rndne_f32_e32 v14, v10
	s_delay_alu instid0(VALU_DEP_1) | instskip(NEXT) | instid1(VALU_DEP_1)
	v_dual_fmac_f32 v13, 0x32a5705f, v9 :: v_dual_sub_f32 v10, v10, v14
	v_add_f32_e32 v10, v10, v13
	v_cvt_i32_f32_e32 v13, v14
	s_delay_alu instid0(VALU_DEP_2) | instskip(SKIP_2) | instid1(VALU_DEP_1)
	v_exp_f32_e32 v10, v10
	s_waitcnt_depctr 0xfff
	v_ldexp_f32 v10, v10, v13
	v_cndmask_b32_e64 v10, 0, v10, s7
	v_cmp_nlt_f32_e64 s7, 0x42b17218, v9
	s_delay_alu instid0(VALU_DEP_1) | instskip(NEXT) | instid1(VALU_DEP_1)
	v_cndmask_b32_e64 v79, 0x7f800000, v10, s7
	v_cndmask_b32_e64 v10, v11, v79, s6
	ds_bpermute_b32 v11, v32, v79
	v_cndmask_b32_e64 v9, v12, v79, s5
	v_add_f32_e32 v0, v79, v0
	s_waitcnt lgkmcnt(0)
	s_delay_alu instid0(VALU_DEP_2) | instskip(SKIP_1) | instid1(VALU_DEP_2)
	v_cndmask_b32_e64 v9, v9, v11, s4
	v_cndmask_b32_e32 v10, v10, v11, vcc_lo
	v_cvt_f16_f32_e32 v11, v9
	s_delay_alu instid0(VALU_DEP_2) | instskip(NEXT) | instid1(VALU_DEP_1)
	v_cvt_f16_f32_e32 v12, v10
	v_pack_b32_f16 v43, v11, v12
	v_sub_f32_e32 v11, v39, v33
	s_delay_alu instid0(VALU_DEP_1) | instskip(SKIP_1) | instid1(VALU_DEP_2)
	v_mul_f32_e32 v12, 0x3fb8aa3b, v11
	v_cmp_ngt_f32_e64 s7, 0xc2ce8ed0, v11
	v_fma_f32 v13, 0x3fb8aa3b, v11, -v12
	v_rndne_f32_e32 v14, v12
	s_delay_alu instid0(VALU_DEP_1) | instskip(NEXT) | instid1(VALU_DEP_1)
	v_dual_fmac_f32 v13, 0x32a5705f, v11 :: v_dual_sub_f32 v12, v12, v14
	v_add_f32_e32 v12, v12, v13
	v_cvt_i32_f32_e32 v13, v14
	s_delay_alu instid0(VALU_DEP_2) | instskip(SKIP_2) | instid1(VALU_DEP_1)
	v_exp_f32_e32 v12, v12
	s_waitcnt_depctr 0xfff
	v_ldexp_f32 v12, v12, v13
	v_cndmask_b32_e64 v12, 0, v12, s7
	v_cmp_nlt_f32_e64 s7, 0x42b17218, v11
	s_delay_alu instid0(VALU_DEP_1)
	v_cndmask_b32_e64 v125, 0x7f800000, v12, s7
	ds_bpermute_b32 v11, v32, v125
	v_cndmask_b32_e64 v9, v9, v125, s5
	v_cndmask_b32_e64 v10, v10, v125, s6
	v_add_f32_e32 v0, v125, v0
	s_waitcnt lgkmcnt(0)
	s_delay_alu instid0(VALU_DEP_3) | instskip(NEXT) | instid1(VALU_DEP_3)
	v_cndmask_b32_e64 v9, v9, v11, s4
	v_cndmask_b32_e32 v10, v10, v11, vcc_lo
	s_delay_alu instid0(VALU_DEP_2) | instskip(NEXT) | instid1(VALU_DEP_2)
	v_cvt_f16_f32_e32 v11, v9
	v_cvt_f16_f32_e32 v12, v10
	s_delay_alu instid0(VALU_DEP_1) | instskip(SKIP_1) | instid1(VALU_DEP_1)
	v_pack_b32_f16 v44, v11, v12
	v_sub_f32_e32 v11, v37, v33
	v_mul_f32_e32 v12, 0x3fb8aa3b, v11
	v_cmp_ngt_f32_e64 s7, 0xc2ce8ed0, v11
	s_delay_alu instid0(VALU_DEP_2) | instskip(SKIP_1) | instid1(VALU_DEP_1)
	v_fma_f32 v13, 0x3fb8aa3b, v11, -v12
	v_rndne_f32_e32 v14, v12
	v_dual_fmac_f32 v13, 0x32a5705f, v11 :: v_dual_sub_f32 v12, v12, v14
	s_delay_alu instid0(VALU_DEP_1) | instskip(SKIP_1) | instid1(VALU_DEP_2)
	v_add_f32_e32 v12, v12, v13
	v_cvt_i32_f32_e32 v13, v14
	v_exp_f32_e32 v12, v12
	s_waitcnt_depctr 0xfff
	v_ldexp_f32 v12, v12, v13
	s_delay_alu instid0(VALU_DEP_1) | instskip(SKIP_1) | instid1(VALU_DEP_1)
	v_cndmask_b32_e64 v12, 0, v12, s7
	v_cmp_nlt_f32_e64 s7, 0x42b17218, v11
	v_cndmask_b32_e64 v129, 0x7f800000, v12, s7
	ds_bpermute_b32 v11, v32, v129
	v_cndmask_b32_e64 v9, v9, v129, s5
	v_cndmask_b32_e64 v10, v10, v129, s6
	v_add_f32_e32 v0, v129, v0
	s_waitcnt lgkmcnt(0)
	s_delay_alu instid0(VALU_DEP_3) | instskip(NEXT) | instid1(VALU_DEP_3)
	v_cndmask_b32_e64 v9, v9, v11, s4
	v_cndmask_b32_e32 v10, v10, v11, vcc_lo
	s_delay_alu instid0(VALU_DEP_2) | instskip(NEXT) | instid1(VALU_DEP_2)
	v_cvt_f16_f32_e32 v11, v9
	v_cvt_f16_f32_e32 v12, v10
	s_delay_alu instid0(VALU_DEP_1) | instskip(SKIP_2) | instid1(VALU_DEP_2)
	v_pack_b32_f16 v45, v11, v12
	v_sub_f32_e32 v11, v36, v33
	v_add_nc_u32_e32 v36, 0x200, v253
	v_mul_f32_e32 v12, 0x3fb8aa3b, v11
	v_cmp_ngt_f32_e64 s7, 0xc2ce8ed0, v11
	s_delay_alu instid0(VALU_DEP_2) | instskip(SKIP_1) | instid1(VALU_DEP_1)
	v_fma_f32 v13, 0x3fb8aa3b, v11, -v12
	v_rndne_f32_e32 v14, v12
	v_dual_fmac_f32 v13, 0x32a5705f, v11 :: v_dual_sub_f32 v12, v12, v14
	s_delay_alu instid0(VALU_DEP_1) | instskip(SKIP_1) | instid1(VALU_DEP_2)
	v_add_f32_e32 v12, v12, v13
	v_cvt_i32_f32_e32 v13, v14
	v_exp_f32_e32 v12, v12
	s_waitcnt_depctr 0xfff
	v_ldexp_f32 v12, v12, v13
	s_delay_alu instid0(VALU_DEP_1) | instskip(SKIP_1) | instid1(VALU_DEP_1)
	v_cndmask_b32_e64 v12, 0, v12, s7
	v_cmp_nlt_f32_e64 s7, 0x42b17218, v11
	v_cndmask_b32_e64 v130, 0x7f800000, v12, s7
	ds_bpermute_b32 v11, v32, v130
	v_cndmask_b32_e64 v9, v9, v130, s5
	v_cndmask_b32_e64 v10, v10, v130, s6
	v_add_f32_e32 v0, v130, v0
	s_waitcnt lgkmcnt(0)
	s_delay_alu instid0(VALU_DEP_3) | instskip(NEXT) | instid1(VALU_DEP_3)
	v_cndmask_b32_e64 v9, v9, v11, s4
	v_cndmask_b32_e32 v10, v10, v11, vcc_lo
	s_delay_alu instid0(VALU_DEP_2) | instskip(NEXT) | instid1(VALU_DEP_2)
	v_cvt_f16_f32_e32 v11, v9
	v_cvt_f16_f32_e32 v12, v10
	s_delay_alu instid0(VALU_DEP_1) | instskip(SKIP_1) | instid1(VALU_DEP_1)
	v_pack_b32_f16 v46, v11, v12
	v_sub_f32_e32 v11, v35, v33
	v_mul_f32_e32 v12, 0x3fb8aa3b, v11
	v_cmp_ngt_f32_e64 s7, 0xc2ce8ed0, v11
	s_delay_alu instid0(VALU_DEP_2) | instskip(SKIP_1) | instid1(VALU_DEP_1)
	v_fma_f32 v13, 0x3fb8aa3b, v11, -v12
	v_rndne_f32_e32 v14, v12
	v_dual_fmac_f32 v13, 0x32a5705f, v11 :: v_dual_sub_f32 v12, v12, v14
	s_delay_alu instid0(VALU_DEP_1) | instskip(SKIP_1) | instid1(VALU_DEP_2)
	v_add_f32_e32 v12, v12, v13
	v_cvt_i32_f32_e32 v13, v14
	v_exp_f32_e32 v12, v12
	s_waitcnt_depctr 0xfff
	v_ldexp_f32 v12, v12, v13
	s_delay_alu instid0(VALU_DEP_1) | instskip(SKIP_1) | instid1(VALU_DEP_1)
	v_cndmask_b32_e64 v12, 0, v12, s7
	v_cmp_nlt_f32_e64 s7, 0x42b17218, v11
	v_cndmask_b32_e64 v136, 0x7f800000, v12, s7
	ds_bpermute_b32 v11, v32, v136
	v_cndmask_b32_e64 v9, v9, v136, s5
	v_cndmask_b32_e64 v10, v10, v136, s6
	v_add_f32_e32 v0, v136, v0
	s_waitcnt lgkmcnt(0)
	s_delay_alu instid0(VALU_DEP_3) | instskip(NEXT) | instid1(VALU_DEP_3)
	v_cndmask_b32_e64 v9, v9, v11, s4
	v_cndmask_b32_e32 v10, v10, v11, vcc_lo
	s_delay_alu instid0(VALU_DEP_2) | instskip(NEXT) | instid1(VALU_DEP_2)
	v_cvt_f16_f32_e32 v11, v9
	v_cvt_f16_f32_e32 v12, v10
	s_delay_alu instid0(VALU_DEP_1) | instskip(SKIP_1) | instid1(VALU_DEP_1)
	v_pack_b32_f16 v47, v11, v12
	v_sub_f32_e32 v11, v34, v33
	v_mul_f32_e32 v12, 0x3fb8aa3b, v11
	v_cmp_ngt_f32_e64 s7, 0xc2ce8ed0, v11
	s_delay_alu instid0(VALU_DEP_2) | instskip(SKIP_1) | instid1(VALU_DEP_1)
	v_fma_f32 v13, 0x3fb8aa3b, v11, -v12
	v_rndne_f32_e32 v14, v12
	v_dual_fmac_f32 v13, 0x32a5705f, v11 :: v_dual_sub_f32 v12, v12, v14
	s_delay_alu instid0(VALU_DEP_1) | instskip(SKIP_1) | instid1(VALU_DEP_2)
	v_add_f32_e32 v12, v12, v13
	v_cvt_i32_f32_e32 v13, v14
	v_exp_f32_e32 v12, v12
	s_waitcnt_depctr 0xfff
	v_ldexp_f32 v12, v12, v13
	s_delay_alu instid0(VALU_DEP_1) | instskip(SKIP_1) | instid1(VALU_DEP_1)
	v_cndmask_b32_e64 v12, 0, v12, s7
	v_cmp_nlt_f32_e64 s7, 0x42b17218, v11
	v_cndmask_b32_e64 v138, 0x7f800000, v12, s7
	ds_bpermute_b32 v11, v32, v138
	v_cndmask_b32_e64 v9, v9, v138, s5
	v_cndmask_b32_e64 v10, v10, v138, s6
	v_add_f32_e32 v0, v138, v0
	s_delay_alu instid0(VALU_DEP_1) | instskip(SKIP_4) | instid1(SALU_CYCLE_1)
	v_fmac_f32_e32 v0, v83, v38
	s_waitcnt lgkmcnt(0)
	v_cndmask_b32_e64 v9, v9, v11, s4
	v_cndmask_b32_e32 v10, v10, v11, vcc_lo
	s_cselect_b32 s4, -1, 0
	s_and_b32 s5, s1, s4
	s_delay_alu instid0(VALU_DEP_2) | instskip(NEXT) | instid1(VALU_DEP_2)
	v_cvt_f16_f32_e32 v9, v9
	v_cvt_f16_f32_e32 v10, v10
	s_delay_alu instid0(VALU_DEP_1)
	v_pack_b32_f16 v48, v9, v10
	ds_load_2addr_b32 v[9:10], v253 offset1:16
	ds_load_2addr_b32 v[11:12], v253 offset0:32 offset1:52
	ds_load_2addr_b32 v[13:14], v253 offset0:104 offset1:120
	;; [unrolled: 1-line block ×14, first 2 shown]
	s_waitcnt lgkmcnt(13)
	v_perm_b32 v49, v12, v9, 0x5040100
	s_waitcnt lgkmcnt(11)
	v_perm_b32 v50, v35, v13, 0x5040100
	;; [unrolled: 2-line block ×8, first 2 shown]
	s_delay_alu instid0(VALU_DEP_1)
	v_wmma_f16_16x16x16_f16 v[24:31], v[49:56], v[41:48], v[24:31]
	v_add_nc_u32_e32 v51, 0x300, v176
	v_add_nc_u32_e32 v56, 0xc00, v253
	ds_load_2addr_b32 v[75:76], v51 offset0:16 offset1:224
	ds_load_2addr_b32 v[77:78], v86 offset0:20 offset1:36
	;; [unrolled: 1-line block ×6, first 2 shown]
	ds_load_b32 v147, v176 offset:2496
	ds_load_b32 v148, v177 offset:2496
	ds_load_2addr_b32 v[121:122], v56 offset0:28 offset1:44
	s_waitcnt lgkmcnt(10)
	v_perm_b32 v49, v71, v10, 0x5040100
	s_waitcnt lgkmcnt(9)
	v_perm_b32 v50, v73, v14, 0x5040100
	;; [unrolled: 2-line block ×8, first 2 shown]
	s_delay_alu instid0(VALU_DEP_1)
	v_wmma_f16_16x16x16_f16 v[16:23], v[49:56], v[41:48], v[16:23]
	v_add_nc_u32_e32 v51, 0x300, v177
	v_perm_b32 v49, v72, v11, 0x5040100
	v_perm_b32 v50, v74, v34, 0x5040100
	;; [unrolled: 1-line block ×4, first 2 shown]
	ds_load_2addr_b32 v[134:135], v51 offset0:16 offset1:224
	v_perm_b32 v55, v120, v148, 0x5040100
	v_perm_b32 v56, v122, v67, 0x5040100
	s_waitcnt lgkmcnt(0)
	s_barrier
	buffer_gl0_inv
	v_perm_b32 v51, v78, v134, 0x5040100
	v_perm_b32 v53, v87, v135, 0x5040100
	s_delay_alu instid0(VALU_DEP_1)
	v_wmma_f16_16x16x16_f16 v[1:8], v[49:56], v[41:48], v[1:8]
	v_perm_b32 v49, v12, v9, 0x7060302
	ds_bpermute_b32 v9, v32, v0
	v_perm_b32 v51, v37, v36, 0x7060302
	v_perm_b32 v53, v60, v59, 0x7060302
	;; [unrolled: 1-line block ×7, first 2 shown]
	s_delay_alu instid0(VALU_DEP_1)
	v_wmma_f16_16x16x16_f16 v[24:31], v[49:56], v[41:48], v[24:31] op_sel:[0,0,1]
	v_perm_b32 v49, v71, v10, 0x7060302
	v_perm_b32 v50, v73, v14, 0x7060302
	;; [unrolled: 1-line block ×7, first 2 shown]
	s_waitcnt lgkmcnt(0)
	v_add_f32_e32 v9, v0, v9
	v_perm_b32 v55, v119, v147, 0x7060302
	s_delay_alu instid0(VALU_DEP_1)
	v_wmma_f16_16x16x16_f16 v[16:23], v[49:56], v[41:48], v[16:23] op_sel:[0,0,1]
	v_perm_b32 v49, v72, v11, 0x7060302
	v_perm_b32 v50, v74, v34, 0x7060302
	;; [unrolled: 1-line block ×8, first 2 shown]
	s_delay_alu instid0(VALU_DEP_1)
	v_wmma_f16_16x16x16_f16 v[1:8], v[49:56], v[41:48], v[1:8] op_sel:[0,0,1]
	s_and_saveexec_b32 s4, s5
	s_cbranch_execz .LBB14_74
; %bb.73:                               ;   in Loop: Header=BB14_12 Depth=1
	v_lshlrev_b32_e32 v0, 2, v254
	global_load_b32 v0, v0, s[64:65]
	s_waitcnt vmcnt(0)
	v_dual_max_f32 v10, v33, v33 :: v_dual_max_f32 v11, v0, v0
	s_delay_alu instid0(VALU_DEP_1) | instskip(NEXT) | instid1(VALU_DEP_1)
	v_max_f32_e32 v10, v10, v11
	v_sub_f32_e32 v0, v0, v10
	s_delay_alu instid0(VALU_DEP_1) | instskip(SKIP_1) | instid1(VALU_DEP_2)
	v_mul_f32_e32 v15, 0x3fb8aa3b, v0
	v_sub_f32_e32 v11, v33, v10
	v_rndne_f32_e32 v34, v15
	s_delay_alu instid0(VALU_DEP_2) | instskip(SKIP_1) | instid1(VALU_DEP_2)
	v_mul_f32_e32 v12, 0x3fb8aa3b, v11
	v_fma_f32 v33, 0x3fb8aa3b, v0, -v15
	v_fma_f32 v13, 0x3fb8aa3b, v11, -v12
	v_rndne_f32_e32 v14, v12
	s_delay_alu instid0(VALU_DEP_3) | instskip(NEXT) | instid1(VALU_DEP_2)
	v_fmac_f32_e32 v33, 0x32a5705f, v0
	v_dual_fmac_f32 v13, 0x32a5705f, v11 :: v_dual_sub_f32 v12, v12, v14
	v_cvt_i32_f32_e32 v14, v14
	s_delay_alu instid0(VALU_DEP_2) | instskip(SKIP_1) | instid1(VALU_DEP_2)
	v_dual_add_f32 v12, v12, v13 :: v_dual_sub_f32 v13, v15, v34
	v_cmp_ngt_f32_e32 vcc_lo, 0xc2ce8ed0, v11
	v_exp_f32_e32 v12, v12
	s_delay_alu instid0(VALU_DEP_2) | instskip(SKIP_1) | instid1(VALU_DEP_2)
	v_add_f32_e32 v13, v13, v33
	v_mov_b32_e32 v33, v10
	v_exp_f32_e32 v13, v13
	s_waitcnt_depctr 0xfff
	v_ldexp_f32 v12, v12, v14
	v_cvt_i32_f32_e32 v14, v34
	s_delay_alu instid0(VALU_DEP_1) | instskip(NEXT) | instid1(VALU_DEP_3)
	v_ldexp_f32 v13, v13, v14
	v_cndmask_b32_e32 v12, 0, v12, vcc_lo
	v_cmp_nlt_f32_e32 vcc_lo, 0x42b17218, v11
	s_delay_alu instid0(VALU_DEP_2) | instskip(SKIP_3) | instid1(VALU_DEP_4)
	v_cndmask_b32_e32 v12, 0x7f800000, v12, vcc_lo
	v_cmp_ngt_f32_e32 vcc_lo, 0xc2ce8ed0, v0
	v_cndmask_b32_e32 v13, 0, v13, vcc_lo
	v_cmp_le_f32_e32 vcc_lo, 0xc1a00000, v11
	v_cndmask_b32_e32 v11, 0, v12, vcc_lo
	v_cmp_nlt_f32_e32 vcc_lo, 0x42b17218, v0
	s_delay_alu instid0(VALU_DEP_2) | instskip(SKIP_1) | instid1(VALU_DEP_2)
	v_cvt_f16_f32_e32 v12, v11
	v_cndmask_b32_e32 v0, 0x7f800000, v13, vcc_lo
	v_pk_mul_f16 v24, v12, v24 op_sel_hi:[0,1]
	s_delay_alu instid0(VALU_DEP_2)
	v_fmac_f32_e32 v0, v9, v11
	v_pk_mul_f16 v25, v12, v25 op_sel_hi:[0,1]
	v_pk_mul_f16 v26, v12, v26 op_sel_hi:[0,1]
	;; [unrolled: 1-line block ×23, first 2 shown]
	v_mov_b32_e32 v9, v0
.LBB14_74:                              ;   in Loop: Header=BB14_12 Depth=1
	s_or_b32 exec_lo, exec_lo, s4
	s_and_saveexec_b32 s4, s3
	s_cbranch_execz .LBB14_76
; %bb.75:                               ;   in Loop: Header=BB14_12 Depth=1
	v_add_nc_u32_e32 v0, 0, v178
	ds_store_2addr_b32 v0, v33, v9 offset0:48 offset1:49
.LBB14_76:                              ;   in Loop: Header=BB14_12 Depth=1
	s_or_b32 exec_lo, exec_lo, s4
	s_waitcnt lgkmcnt(0)
	s_barrier
	buffer_gl0_inv
	s_and_saveexec_b32 s4, s2
	s_delay_alu instid0(SALU_CYCLE_1)
	s_xor_b32 s4, exec_lo, s4
	s_cbranch_execz .LBB14_78
; %bb.77:                               ;   in Loop: Header=BB14_12 Depth=1
	s_barrier
	buffer_gl0_inv
                                        ; implicit-def: $vgpr32
.LBB14_78:                              ;   in Loop: Header=BB14_12 Depth=1
	s_and_not1_saveexec_b32 s4, s4
	s_cbranch_execz .LBB14_82
; %bb.79:                               ;   in Loop: Header=BB14_12 Depth=1
	v_add_nc_u32_e32 v0, 0, v178
	ds_load_b64 v[11:12], v0 offset:192
	s_waitcnt lgkmcnt(0)
	s_barrier
	buffer_gl0_inv
	ds_bpermute_b32 v9, v32, v11
	s_waitcnt lgkmcnt(0)
	v_dual_max_f32 v10, v11, v11 :: v_dual_max_f32 v9, v9, v9
	s_delay_alu instid0(VALU_DEP_1) | instskip(NEXT) | instid1(VALU_DEP_1)
	v_max_f32_e32 v9, v10, v9
	v_sub_f32_e32 v10, v11, v9
	s_delay_alu instid0(VALU_DEP_1) | instskip(SKIP_1) | instid1(VALU_DEP_2)
	v_mul_f32_e32 v11, 0x3fb8aa3b, v10
	v_cmp_ngt_f32_e32 vcc_lo, 0xc2ce8ed0, v10
	v_fma_f32 v13, 0x3fb8aa3b, v10, -v11
	v_rndne_f32_e32 v14, v11
	s_delay_alu instid0(VALU_DEP_2) | instskip(NEXT) | instid1(VALU_DEP_2)
	v_fmac_f32_e32 v13, 0x32a5705f, v10
	v_sub_f32_e32 v11, v11, v14
	s_delay_alu instid0(VALU_DEP_1) | instskip(SKIP_1) | instid1(VALU_DEP_2)
	v_add_f32_e32 v11, v11, v13
	v_cvt_i32_f32_e32 v13, v14
	v_exp_f32_e32 v11, v11
	s_waitcnt_depctr 0xfff
	v_ldexp_f32 v11, v11, v13
	s_delay_alu instid0(VALU_DEP_1) | instskip(SKIP_1) | instid1(VALU_DEP_2)
	v_cndmask_b32_e32 v11, 0, v11, vcc_lo
	v_cmp_nlt_f32_e32 vcc_lo, 0x42b17218, v10
	v_cndmask_b32_e32 v10, 0x7f800000, v11, vcc_lo
	s_delay_alu instid0(VALU_DEP_1)
	v_mul_f32_e32 v11, v12, v10
	ds_bpermute_b32 v11, v32, v11
	s_waitcnt lgkmcnt(0)
	v_fmac_f32_e32 v11, v12, v10
	ds_store_b64 v0, v[10:11] offset:192
	s_and_saveexec_b32 s5, s3
	s_cbranch_execz .LBB14_81
; %bb.80:                               ;   in Loop: Header=BB14_12 Depth=1
	v_mov_b32_e32 v10, v11
	scratch_load_b64 v[11:12], off, off offset:132 ; 8-byte Folded Reload
	s_waitcnt vmcnt(0)
	global_store_b64 v[11:12], v[9:10], off
.LBB14_81:                              ;   in Loop: Header=BB14_12 Depth=1
	s_or_b32 exec_lo, exec_lo, s5
.LBB14_82:                              ;   in Loop: Header=BB14_12 Depth=1
	s_delay_alu instid0(SALU_CYCLE_1)
	s_or_b32 exec_lo, exec_lo, s4
	ds_store_2addr_b32 v179, v24, v25 offset1:2
	ds_store_2addr_b32 v179, v26, v27 offset0:4 offset1:6
	ds_store_2addr_b32 v179, v28, v29 offset0:8 offset1:10
	;; [unrolled: 1-line block ×11, first 2 shown]
	s_waitcnt lgkmcnt(0)
	s_waitcnt_vscnt null, 0x0
	s_barrier
	buffer_gl0_inv
	s_and_saveexec_b32 s6, s1
	s_cbranch_execz .LBB14_197
; %bb.83:                               ;   in Loop: Header=BB14_12 Depth=1
	v_dual_mov_b32 v1, 0x47 :: v_dual_add_nc_u32 v2, s103, v131
	v_or_b32_e32 v0, s86, v146
	s_delay_alu instid0(VALU_DEP_2) | instskip(NEXT) | instid1(VALU_DEP_2)
	v_cmp_gt_i32_e64 s4, s8, v2
	v_cmp_gt_i32_e32 vcc_lo, s33, v0
	s_delay_alu instid0(VALU_DEP_2) | instskip(NEXT) | instid1(SALU_CYCLE_1)
	s_and_b32 s4, s4, vcc_lo
	s_and_saveexec_b32 s5, s4
	s_cbranch_execz .LBB14_85
; %bb.84:                               ;   in Loop: Header=BB14_12 Depth=1
	scratch_load_b32 v0, off, off offset:16 ; 4-byte Folded Reload
	v_mad_u64_u32 v[5:6], null, v2, s9, v[146:147]
	s_delay_alu instid0(VALU_DEP_1) | instskip(NEXT) | instid1(VALU_DEP_1)
	v_mad_u64_u32 v[6:7], null, v5, 48, v[104:105]
	v_ashrrev_i32_e32 v7, 31, v6
	s_waitcnt vmcnt(0)
	v_add_nc_u32_e32 v0, 0, v0
	s_delay_alu instid0(VALU_DEP_1)
	v_add_nc_u32_e32 v3, 0xc0, v0
	scratch_load_b32 v0, off, off offset:20 ; 4-byte Folded Reload
	s_waitcnt vmcnt(0)
	ds_load_2addr_stride64_b32 v[0:1], v0 offset1:13
	ds_load_2addr_stride64_b32 v[3:4], v3 offset1:13
	s_waitcnt lgkmcnt(0)
	v_fma_mix_f32 v5, v3, v0, 0 op_sel_hi:[0,1,0]
	v_fma_mix_f32 v0, v3, v0, 0 op_sel:[0,1,0] op_sel_hi:[0,1,0]
	v_lshlrev_b64 v[2:3], 3, v[6:7]
	s_delay_alu instid0(VALU_DEP_3) | instskip(NEXT) | instid1(VALU_DEP_3)
	v_fma_mix_f32 v5, v4, v1, v5 op_sel_hi:[0,1,0]
	v_fma_mix_f32 v6, v4, v1, v0 op_sel:[0,1,0] op_sel_hi:[0,1,0]
	v_mov_b32_e32 v1, 0
	s_delay_alu instid0(VALU_DEP_4) | instskip(NEXT) | instid1(VALU_DEP_1)
	v_add_co_u32 v2, s4, s41, v2
	v_add_co_ci_u32_e64 v3, s4, s59, v3, s4
	global_store_b64 v[2:3], v[5:6], off
.LBB14_85:                              ;   in Loop: Header=BB14_12 Depth=1
	s_or_b32 exec_lo, exec_lo, s5
	s_mov_b32 s5, -1
	s_mov_b32 s7, exec_lo
	v_cmpx_gt_i32_e32 0x47, v1
; %bb.86:                               ;   in Loop: Header=BB14_12 Depth=1
	v_cmp_eq_u32_e64 s4, 0, v1
	s_delay_alu instid0(VALU_DEP_1)
	s_or_not1_b32 s5, s4, exec_lo
; %bb.87:                               ;   in Loop: Header=BB14_12 Depth=1
	s_or_b32 exec_lo, exec_lo, s7
	s_and_saveexec_b32 s7, s5
	s_cbranch_execz .LBB14_160
; %bb.88:                               ;   in Loop: Header=BB14_12 Depth=1
	scratch_load_b32 v0, off, off offset:32 ; 4-byte Folded Reload
	s_waitcnt vmcnt(0)
	v_add_nc_u32_e32 v2, s103, v0
	scratch_load_b64 v[0:1], off, off       ; 8-byte Folded Reload
	s_waitcnt vmcnt(0)
	v_mov_b32_e32 v1, 0x47
	v_cmp_gt_i32_e64 s4, s8, v2
	v_or_b32_e32 v0, s86, v0
	s_delay_alu instid0(VALU_DEP_1) | instskip(NEXT) | instid1(VALU_DEP_1)
	v_cmp_gt_i32_e64 s5, s33, v0
	s_and_b32 s4, s4, s5
	s_delay_alu instid0(SALU_CYCLE_1)
	s_and_saveexec_b32 s5, s4
	s_cbranch_execz .LBB14_90
; %bb.89:                               ;   in Loop: Header=BB14_12 Depth=1
	scratch_load_b32 v0, off, off offset:140 ; 4-byte Folded Reload
	s_waitcnt vmcnt(0)
	v_add_nc_u32_e32 v0, 0, v0
	s_delay_alu instid0(VALU_DEP_1)
	v_add_nc_u32_e32 v3, 0xc0, v0
	scratch_load_b32 v0, off, off offset:144 ; 4-byte Folded Reload
	s_waitcnt vmcnt(0)
	ds_load_2addr_stride64_b32 v[0:1], v0 offset1:13
	ds_load_2addr_stride64_b32 v[3:4], v3 offset1:13
	scratch_load_b64 v[7:8], off, off       ; 8-byte Folded Reload
	s_waitcnt vmcnt(0)
	v_mad_u64_u32 v[5:6], null, v2, s9, v[7:8]
	s_delay_alu instid0(VALU_DEP_1) | instskip(SKIP_3) | instid1(VALU_DEP_2)
	v_mad_u64_u32 v[6:7], null, v5, 48, v[104:105]
	s_waitcnt lgkmcnt(0)
	v_fma_mix_f32 v5, v3, v0, 0 op_sel_hi:[0,1,0]
	v_fma_mix_f32 v0, v3, v0, 0 op_sel:[0,1,0] op_sel_hi:[0,1,0]
	v_fma_mix_f32 v5, v4, v1, v5 op_sel_hi:[0,1,0]
	s_delay_alu instid0(VALU_DEP_4) | instskip(NEXT) | instid1(VALU_DEP_1)
	v_ashrrev_i32_e32 v7, 31, v6
	v_lshlrev_b64 v[2:3], 3, v[6:7]
	s_delay_alu instid0(VALU_DEP_4) | instskip(SKIP_1) | instid1(VALU_DEP_3)
	v_fma_mix_f32 v6, v4, v1, v0 op_sel:[0,1,0] op_sel_hi:[0,1,0]
	v_mov_b32_e32 v1, 0
	v_add_co_u32 v2, s4, s41, v2
	s_delay_alu instid0(VALU_DEP_1)
	v_add_co_ci_u32_e64 v3, s4, s59, v3, s4
	global_store_b64 v[2:3], v[5:6], off
.LBB14_90:                              ;   in Loop: Header=BB14_12 Depth=1
	s_or_b32 exec_lo, exec_lo, s5
	s_mov_b32 s5, -1
	s_mov_b32 s66, exec_lo
	v_cmpx_gt_i32_e32 0x47, v1
; %bb.91:                               ;   in Loop: Header=BB14_12 Depth=1
	v_cmp_eq_u32_e64 s4, 0, v1
	s_delay_alu instid0(VALU_DEP_1)
	s_or_not1_b32 s5, s4, exec_lo
; %bb.92:                               ;   in Loop: Header=BB14_12 Depth=1
	s_or_b32 exec_lo, exec_lo, s66
	s_delay_alu instid0(SALU_CYCLE_1)
	s_and_b32 exec_lo, exec_lo, s5
	s_cbranch_execz .LBB14_160
; %bb.93:                               ;   in Loop: Header=BB14_12 Depth=1
	scratch_load_b32 v0, off, off offset:156 ; 4-byte Folded Reload
	s_waitcnt vmcnt(0)
	v_add_nc_u32_e32 v2, s103, v0
	scratch_load_b64 v[0:1], off, off offset:116 ; 8-byte Folded Reload
	s_waitcnt vmcnt(0)
	v_mov_b32_e32 v1, 0x47
	v_cmp_gt_i32_e64 s4, s8, v2
	v_or_b32_e32 v0, s86, v0
	s_delay_alu instid0(VALU_DEP_1) | instskip(NEXT) | instid1(VALU_DEP_1)
	v_cmp_gt_i32_e64 s5, s33, v0
	s_and_b32 s4, s4, s5
	s_delay_alu instid0(SALU_CYCLE_1)
	s_and_saveexec_b32 s5, s4
	s_cbranch_execz .LBB14_95
; %bb.94:                               ;   in Loop: Header=BB14_12 Depth=1
	scratch_load_b32 v0, off, off offset:180 ; 4-byte Folded Reload
	s_waitcnt vmcnt(0)
	v_add_nc_u32_e32 v0, 0, v0
	s_delay_alu instid0(VALU_DEP_1)
	v_add_nc_u32_e32 v3, 0xc0, v0
	scratch_load_b32 v0, off, off offset:184 ; 4-byte Folded Reload
	s_waitcnt vmcnt(0)
	ds_load_2addr_stride64_b32 v[0:1], v0 offset1:13
	ds_load_2addr_stride64_b32 v[3:4], v3 offset1:13
	scratch_load_b64 v[7:8], off, off offset:116 ; 8-byte Folded Reload
	s_waitcnt vmcnt(0)
	v_mad_u64_u32 v[5:6], null, v2, s9, v[7:8]
	s_delay_alu instid0(VALU_DEP_1) | instskip(SKIP_3) | instid1(VALU_DEP_2)
	v_mad_u64_u32 v[6:7], null, v5, 48, v[104:105]
	s_waitcnt lgkmcnt(0)
	v_fma_mix_f32 v5, v3, v0, 0 op_sel_hi:[0,1,0]
	v_fma_mix_f32 v0, v3, v0, 0 op_sel:[0,1,0] op_sel_hi:[0,1,0]
	v_fma_mix_f32 v5, v4, v1, v5 op_sel_hi:[0,1,0]
	s_delay_alu instid0(VALU_DEP_4) | instskip(NEXT) | instid1(VALU_DEP_1)
	v_ashrrev_i32_e32 v7, 31, v6
	v_lshlrev_b64 v[2:3], 3, v[6:7]
	s_delay_alu instid0(VALU_DEP_4) | instskip(SKIP_1) | instid1(VALU_DEP_3)
	v_fma_mix_f32 v6, v4, v1, v0 op_sel:[0,1,0] op_sel_hi:[0,1,0]
	v_mov_b32_e32 v1, 0
	v_add_co_u32 v2, s4, s41, v2
	s_delay_alu instid0(VALU_DEP_1)
	v_add_co_ci_u32_e64 v3, s4, s59, v3, s4
	global_store_b64 v[2:3], v[5:6], off
.LBB14_95:                              ;   in Loop: Header=BB14_12 Depth=1
	s_or_b32 exec_lo, exec_lo, s5
	s_mov_b32 s5, -1
	s_mov_b32 s66, exec_lo
	v_cmpx_gt_i32_e32 0x47, v1
; %bb.96:                               ;   in Loop: Header=BB14_12 Depth=1
	v_cmp_eq_u32_e64 s4, 0, v1
	s_delay_alu instid0(VALU_DEP_1)
	s_or_not1_b32 s5, s4, exec_lo
; %bb.97:                               ;   in Loop: Header=BB14_12 Depth=1
	s_or_b32 exec_lo, exec_lo, s66
	s_delay_alu instid0(SALU_CYCLE_1)
	s_and_b32 exec_lo, exec_lo, s5
	s_cbranch_execz .LBB14_160
; %bb.98:                               ;   in Loop: Header=BB14_12 Depth=1
	scratch_load_b32 v0, off, off offset:196 ; 4-byte Folded Reload
	s_waitcnt vmcnt(0)
	v_add_nc_u32_e32 v2, s103, v0
	scratch_load_b64 v[0:1], off, off offset:164 ; 8-byte Folded Reload
	s_waitcnt vmcnt(0)
	v_mov_b32_e32 v1, 0x47
	v_cmp_gt_i32_e64 s4, s8, v2
	v_or_b32_e32 v0, s86, v0
	s_delay_alu instid0(VALU_DEP_1) | instskip(NEXT) | instid1(VALU_DEP_1)
	v_cmp_gt_i32_e64 s5, s33, v0
	s_and_b32 s4, s4, s5
	s_delay_alu instid0(SALU_CYCLE_1)
	s_and_saveexec_b32 s5, s4
	s_cbranch_execz .LBB14_100
; %bb.99:                               ;   in Loop: Header=BB14_12 Depth=1
	scratch_load_b32 v0, off, off offset:212 ; 4-byte Folded Reload
	s_waitcnt vmcnt(0)
	v_add_nc_u32_e32 v0, 0, v0
	s_delay_alu instid0(VALU_DEP_1)
	v_add_nc_u32_e32 v3, 0xc0, v0
	scratch_load_b32 v0, off, off offset:216 ; 4-byte Folded Reload
	s_waitcnt vmcnt(0)
	ds_load_2addr_stride64_b32 v[0:1], v0 offset1:13
	ds_load_2addr_stride64_b32 v[3:4], v3 offset1:13
	scratch_load_b64 v[7:8], off, off offset:164 ; 8-byte Folded Reload
	s_waitcnt vmcnt(0)
	v_mad_u64_u32 v[5:6], null, v2, s9, v[7:8]
	s_delay_alu instid0(VALU_DEP_1) | instskip(SKIP_3) | instid1(VALU_DEP_2)
	v_mad_u64_u32 v[6:7], null, v5, 48, v[104:105]
	s_waitcnt lgkmcnt(0)
	v_fma_mix_f32 v5, v3, v0, 0 op_sel_hi:[0,1,0]
	v_fma_mix_f32 v0, v3, v0, 0 op_sel:[0,1,0] op_sel_hi:[0,1,0]
	v_fma_mix_f32 v5, v4, v1, v5 op_sel_hi:[0,1,0]
	s_delay_alu instid0(VALU_DEP_4) | instskip(NEXT) | instid1(VALU_DEP_1)
	v_ashrrev_i32_e32 v7, 31, v6
	v_lshlrev_b64 v[2:3], 3, v[6:7]
	s_delay_alu instid0(VALU_DEP_4) | instskip(SKIP_1) | instid1(VALU_DEP_3)
	v_fma_mix_f32 v6, v4, v1, v0 op_sel:[0,1,0] op_sel_hi:[0,1,0]
	v_mov_b32_e32 v1, 0
	v_add_co_u32 v2, s4, s41, v2
	s_delay_alu instid0(VALU_DEP_1)
	v_add_co_ci_u32_e64 v3, s4, s59, v3, s4
	global_store_b64 v[2:3], v[5:6], off
.LBB14_100:                             ;   in Loop: Header=BB14_12 Depth=1
	s_or_b32 exec_lo, exec_lo, s5
	s_mov_b32 s5, -1
	s_mov_b32 s66, exec_lo
	v_cmpx_gt_i32_e32 0x47, v1
; %bb.101:                              ;   in Loop: Header=BB14_12 Depth=1
	v_cmp_eq_u32_e64 s4, 0, v1
	s_delay_alu instid0(VALU_DEP_1)
	s_or_not1_b32 s5, s4, exec_lo
; %bb.102:                              ;   in Loop: Header=BB14_12 Depth=1
	s_or_b32 exec_lo, exec_lo, s66
	s_delay_alu instid0(SALU_CYCLE_1)
	s_and_b32 exec_lo, exec_lo, s5
	s_cbranch_execz .LBB14_160
; %bb.103:                              ;   in Loop: Header=BB14_12 Depth=1
	scratch_load_b32 v0, off, off offset:232 ; 4-byte Folded Reload
	s_waitcnt vmcnt(0)
	v_add_nc_u32_e32 v2, s103, v0
	scratch_load_b64 v[0:1], off, off offset:204 ; 8-byte Folded Reload
	s_waitcnt vmcnt(0)
	v_mov_b32_e32 v1, 0x47
	v_cmp_gt_i32_e64 s4, s8, v2
	v_or_b32_e32 v0, s86, v0
	s_delay_alu instid0(VALU_DEP_1) | instskip(NEXT) | instid1(VALU_DEP_1)
	v_cmp_gt_i32_e64 s5, s33, v0
	s_and_b32 s4, s4, s5
	s_delay_alu instid0(SALU_CYCLE_1)
	s_and_saveexec_b32 s5, s4
	s_cbranch_execz .LBB14_105
; %bb.104:                              ;   in Loop: Header=BB14_12 Depth=1
	scratch_load_b32 v0, off, off offset:252 ; 4-byte Folded Reload
	s_waitcnt vmcnt(0)
	v_add_nc_u32_e32 v0, 0, v0
	s_delay_alu instid0(VALU_DEP_1)
	v_add_nc_u32_e32 v3, 0xc0, v0
	scratch_load_b32 v0, off, off offset:256 ; 4-byte Folded Reload
	s_waitcnt vmcnt(0)
	ds_load_2addr_stride64_b32 v[0:1], v0 offset1:13
	ds_load_2addr_stride64_b32 v[3:4], v3 offset1:13
	scratch_load_b64 v[7:8], off, off offset:204 ; 8-byte Folded Reload
	s_waitcnt vmcnt(0)
	v_mad_u64_u32 v[5:6], null, v2, s9, v[7:8]
	s_delay_alu instid0(VALU_DEP_1) | instskip(SKIP_3) | instid1(VALU_DEP_2)
	v_mad_u64_u32 v[6:7], null, v5, 48, v[104:105]
	s_waitcnt lgkmcnt(0)
	v_fma_mix_f32 v5, v3, v0, 0 op_sel_hi:[0,1,0]
	v_fma_mix_f32 v0, v3, v0, 0 op_sel:[0,1,0] op_sel_hi:[0,1,0]
	v_fma_mix_f32 v5, v4, v1, v5 op_sel_hi:[0,1,0]
	s_delay_alu instid0(VALU_DEP_4) | instskip(NEXT) | instid1(VALU_DEP_1)
	v_ashrrev_i32_e32 v7, 31, v6
	v_lshlrev_b64 v[2:3], 3, v[6:7]
	s_delay_alu instid0(VALU_DEP_4) | instskip(SKIP_1) | instid1(VALU_DEP_3)
	v_fma_mix_f32 v6, v4, v1, v0 op_sel:[0,1,0] op_sel_hi:[0,1,0]
	v_mov_b32_e32 v1, 0
	v_add_co_u32 v2, s4, s41, v2
	s_delay_alu instid0(VALU_DEP_1)
	v_add_co_ci_u32_e64 v3, s4, s59, v3, s4
	global_store_b64 v[2:3], v[5:6], off
.LBB14_105:                             ;   in Loop: Header=BB14_12 Depth=1
	s_or_b32 exec_lo, exec_lo, s5
	s_mov_b32 s5, -1
	s_mov_b32 s66, exec_lo
	v_cmpx_gt_i32_e32 0x47, v1
; %bb.106:                              ;   in Loop: Header=BB14_12 Depth=1
	v_cmp_eq_u32_e64 s4, 0, v1
	s_delay_alu instid0(VALU_DEP_1)
	s_or_not1_b32 s5, s4, exec_lo
; %bb.107:                              ;   in Loop: Header=BB14_12 Depth=1
	s_or_b32 exec_lo, exec_lo, s66
	s_delay_alu instid0(SALU_CYCLE_1)
	s_and_b32 exec_lo, exec_lo, s5
	s_cbranch_execz .LBB14_160
; %bb.108:                              ;   in Loop: Header=BB14_12 Depth=1
	scratch_load_b32 v0, off, off offset:268 ; 4-byte Folded Reload
	s_waitcnt vmcnt(0)
	v_add_nc_u32_e32 v2, s103, v0
	scratch_load_b64 v[0:1], off, off offset:236 ; 8-byte Folded Reload
	s_waitcnt vmcnt(0)
	v_mov_b32_e32 v1, 0x47
	v_cmp_gt_i32_e64 s4, s8, v2
	v_or_b32_e32 v0, s86, v0
	s_delay_alu instid0(VALU_DEP_1) | instskip(NEXT) | instid1(VALU_DEP_1)
	v_cmp_gt_i32_e64 s5, s33, v0
	s_and_b32 s4, s4, s5
	s_delay_alu instid0(SALU_CYCLE_1)
	s_and_saveexec_b32 s5, s4
	s_cbranch_execz .LBB14_110
; %bb.109:                              ;   in Loop: Header=BB14_12 Depth=1
	scratch_load_b32 v0, off, off offset:292 ; 4-byte Folded Reload
	s_waitcnt vmcnt(0)
	v_add_nc_u32_e32 v0, 0, v0
	s_delay_alu instid0(VALU_DEP_1)
	v_add_nc_u32_e32 v3, 0xc0, v0
	scratch_load_b32 v0, off, off offset:296 ; 4-byte Folded Reload
	s_waitcnt vmcnt(0)
	ds_load_2addr_stride64_b32 v[0:1], v0 offset1:13
	ds_load_2addr_stride64_b32 v[3:4], v3 offset1:13
	scratch_load_b64 v[7:8], off, off offset:236 ; 8-byte Folded Reload
	s_waitcnt vmcnt(0)
	v_mad_u64_u32 v[5:6], null, v2, s9, v[7:8]
	s_delay_alu instid0(VALU_DEP_1) | instskip(SKIP_3) | instid1(VALU_DEP_2)
	v_mad_u64_u32 v[6:7], null, v5, 48, v[104:105]
	s_waitcnt lgkmcnt(0)
	v_fma_mix_f32 v5, v3, v0, 0 op_sel_hi:[0,1,0]
	v_fma_mix_f32 v0, v3, v0, 0 op_sel:[0,1,0] op_sel_hi:[0,1,0]
	v_fma_mix_f32 v5, v4, v1, v5 op_sel_hi:[0,1,0]
	s_delay_alu instid0(VALU_DEP_4) | instskip(NEXT) | instid1(VALU_DEP_1)
	v_ashrrev_i32_e32 v7, 31, v6
	v_lshlrev_b64 v[2:3], 3, v[6:7]
	s_delay_alu instid0(VALU_DEP_4) | instskip(SKIP_1) | instid1(VALU_DEP_3)
	v_fma_mix_f32 v6, v4, v1, v0 op_sel:[0,1,0] op_sel_hi:[0,1,0]
	v_mov_b32_e32 v1, 0
	v_add_co_u32 v2, s4, s41, v2
	s_delay_alu instid0(VALU_DEP_1)
	v_add_co_ci_u32_e64 v3, s4, s59, v3, s4
	global_store_b64 v[2:3], v[5:6], off
.LBB14_110:                             ;   in Loop: Header=BB14_12 Depth=1
	;; [unrolled: 58-line block ×4, first 2 shown]
	s_or_b32 exec_lo, exec_lo, s5
	s_mov_b32 s5, -1
	s_mov_b32 s66, exec_lo
	v_cmpx_gt_i32_e32 0x47, v1
; %bb.121:                              ;   in Loop: Header=BB14_12 Depth=1
	v_cmp_eq_u32_e64 s4, 0, v1
	s_delay_alu instid0(VALU_DEP_1)
	s_or_not1_b32 s5, s4, exec_lo
; %bb.122:                              ;   in Loop: Header=BB14_12 Depth=1
	s_or_b32 exec_lo, exec_lo, s66
	s_delay_alu instid0(SALU_CYCLE_1)
	s_and_b32 exec_lo, exec_lo, s5
	s_cbranch_execz .LBB14_160
; %bb.123:                              ;   in Loop: Header=BB14_12 Depth=1
	scratch_load_b32 v0, off, off offset:364 ; 4-byte Folded Reload
	s_waitcnt vmcnt(0)
	v_dual_mov_b32 v1, 0x47 :: v_dual_add_nc_u32 v2, s103, v0
	s_delay_alu instid0(VALU_DEP_1) | instskip(NEXT) | instid1(VALU_DEP_1)
	v_cmp_gt_i32_e64 s4, s8, v2
	s_and_b32 s5, s4, vcc_lo
	s_delay_alu instid0(SALU_CYCLE_1)
	s_and_saveexec_b32 s4, s5
	s_cbranch_execz .LBB14_125
; %bb.124:                              ;   in Loop: Header=BB14_12 Depth=1
	scratch_load_b32 v0, off, off offset:384 ; 4-byte Folded Reload
	v_mad_u64_u32 v[5:6], null, v2, s9, v[146:147]
	s_delay_alu instid0(VALU_DEP_1) | instskip(NEXT) | instid1(VALU_DEP_1)
	v_mad_u64_u32 v[6:7], null, v5, 48, v[104:105]
	v_ashrrev_i32_e32 v7, 31, v6
	s_waitcnt vmcnt(0)
	v_add_nc_u32_e32 v0, 0, v0
	s_delay_alu instid0(VALU_DEP_1)
	v_add_nc_u32_e32 v3, 0xc0, v0
	scratch_load_b32 v0, off, off offset:388 ; 4-byte Folded Reload
	s_waitcnt vmcnt(0)
	ds_load_2addr_stride64_b32 v[0:1], v0 offset1:13
	ds_load_2addr_stride64_b32 v[3:4], v3 offset1:13
	s_waitcnt lgkmcnt(0)
	v_fma_mix_f32 v5, v3, v0, 0 op_sel_hi:[0,1,0]
	v_fma_mix_f32 v0, v3, v0, 0 op_sel:[0,1,0] op_sel_hi:[0,1,0]
	v_lshlrev_b64 v[2:3], 3, v[6:7]
	s_delay_alu instid0(VALU_DEP_3) | instskip(NEXT) | instid1(VALU_DEP_3)
	v_fma_mix_f32 v5, v4, v1, v5 op_sel_hi:[0,1,0]
	v_fma_mix_f32 v6, v4, v1, v0 op_sel:[0,1,0] op_sel_hi:[0,1,0]
	v_mov_b32_e32 v1, 0
	s_delay_alu instid0(VALU_DEP_4)
	v_add_co_u32 v2, vcc_lo, s41, v2
	v_add_co_ci_u32_e32 v3, vcc_lo, s59, v3, vcc_lo
	global_store_b64 v[2:3], v[5:6], off
.LBB14_125:                             ;   in Loop: Header=BB14_12 Depth=1
	s_or_b32 exec_lo, exec_lo, s4
	s_mov_b32 s4, -1
	s_mov_b32 s5, exec_lo
	v_cmpx_gt_i32_e32 0x47, v1
; %bb.126:                              ;   in Loop: Header=BB14_12 Depth=1
	v_cmp_eq_u32_e32 vcc_lo, 0, v1
	s_or_not1_b32 s4, vcc_lo, exec_lo
; %bb.127:                              ;   in Loop: Header=BB14_12 Depth=1
	s_or_b32 exec_lo, exec_lo, s5
	s_delay_alu instid0(SALU_CYCLE_1)
	s_and_b32 exec_lo, exec_lo, s4
	s_cbranch_execz .LBB14_160
; %bb.128:                              ;   in Loop: Header=BB14_12 Depth=1
	scratch_load_b32 v0, off, off offset:392 ; 4-byte Folded Reload
	s_waitcnt vmcnt(0)
	v_add_nc_u32_e32 v2, s103, v0
	scratch_load_b64 v[0:1], off, off offset:376 ; 8-byte Folded Reload
	s_waitcnt vmcnt(0)
	v_mov_b32_e32 v1, 0x47
	v_cmp_gt_i32_e32 vcc_lo, s8, v2
	v_or_b32_e32 v0, s86, v0
	s_delay_alu instid0(VALU_DEP_1) | instskip(NEXT) | instid1(VALU_DEP_1)
	v_cmp_gt_i32_e64 s4, s33, v0
	s_and_b32 s5, vcc_lo, s4
	s_delay_alu instid0(SALU_CYCLE_1)
	s_and_saveexec_b32 s4, s5
	s_cbranch_execz .LBB14_130
; %bb.129:                              ;   in Loop: Header=BB14_12 Depth=1
	scratch_load_b32 v0, off, off offset:404 ; 4-byte Folded Reload
	s_waitcnt vmcnt(0)
	v_add_nc_u32_e32 v0, 0, v0
	s_delay_alu instid0(VALU_DEP_1)
	v_add_nc_u32_e32 v3, 0xc0, v0
	scratch_load_b32 v0, off, off offset:408 ; 4-byte Folded Reload
	s_waitcnt vmcnt(0)
	ds_load_2addr_stride64_b32 v[0:1], v0 offset1:13
	ds_load_2addr_stride64_b32 v[3:4], v3 offset1:13
	scratch_load_b64 v[7:8], off, off offset:376 ; 8-byte Folded Reload
	s_waitcnt vmcnt(0)
	v_mad_u64_u32 v[5:6], null, v2, s9, v[7:8]
	s_delay_alu instid0(VALU_DEP_1) | instskip(SKIP_3) | instid1(VALU_DEP_2)
	v_mad_u64_u32 v[6:7], null, v5, 48, v[104:105]
	s_waitcnt lgkmcnt(0)
	v_fma_mix_f32 v5, v3, v0, 0 op_sel_hi:[0,1,0]
	v_fma_mix_f32 v0, v3, v0, 0 op_sel:[0,1,0] op_sel_hi:[0,1,0]
	v_fma_mix_f32 v5, v4, v1, v5 op_sel_hi:[0,1,0]
	s_delay_alu instid0(VALU_DEP_4) | instskip(NEXT) | instid1(VALU_DEP_1)
	v_ashrrev_i32_e32 v7, 31, v6
	v_lshlrev_b64 v[2:3], 3, v[6:7]
	s_delay_alu instid0(VALU_DEP_4) | instskip(SKIP_1) | instid1(VALU_DEP_3)
	v_fma_mix_f32 v6, v4, v1, v0 op_sel:[0,1,0] op_sel_hi:[0,1,0]
	v_mov_b32_e32 v1, 0
	v_add_co_u32 v2, vcc_lo, s41, v2
	s_delay_alu instid0(VALU_DEP_4)
	v_add_co_ci_u32_e32 v3, vcc_lo, s59, v3, vcc_lo
	global_store_b64 v[2:3], v[5:6], off
.LBB14_130:                             ;   in Loop: Header=BB14_12 Depth=1
	s_or_b32 exec_lo, exec_lo, s4
	s_mov_b32 s4, -1
	s_mov_b32 s5, exec_lo
	v_cmpx_gt_i32_e32 0x47, v1
; %bb.131:                              ;   in Loop: Header=BB14_12 Depth=1
	v_cmp_eq_u32_e32 vcc_lo, 0, v1
	s_or_not1_b32 s4, vcc_lo, exec_lo
; %bb.132:                              ;   in Loop: Header=BB14_12 Depth=1
	s_or_b32 exec_lo, exec_lo, s5
	s_delay_alu instid0(SALU_CYCLE_1)
	s_and_b32 exec_lo, exec_lo, s4
	s_cbranch_execz .LBB14_160
; %bb.133:                              ;   in Loop: Header=BB14_12 Depth=1
	scratch_load_b32 v0, off, off offset:412 ; 4-byte Folded Reload
	s_waitcnt vmcnt(0)
	v_add_nc_u32_e32 v2, s103, v0
	scratch_load_b64 v[0:1], off, off offset:396 ; 8-byte Folded Reload
	s_waitcnt vmcnt(0)
	v_mov_b32_e32 v1, 0x47
	v_cmp_gt_i32_e32 vcc_lo, s8, v2
	v_or_b32_e32 v0, s86, v0
	s_delay_alu instid0(VALU_DEP_1) | instskip(NEXT) | instid1(VALU_DEP_1)
	v_cmp_gt_i32_e64 s4, s33, v0
	s_and_b32 s5, vcc_lo, s4
	s_delay_alu instid0(SALU_CYCLE_1)
	s_and_saveexec_b32 s4, s5
	s_cbranch_execz .LBB14_135
; %bb.134:                              ;   in Loop: Header=BB14_12 Depth=1
	scratch_load_b32 v0, off, off offset:424 ; 4-byte Folded Reload
	s_waitcnt vmcnt(0)
	v_add_nc_u32_e32 v0, 0, v0
	s_delay_alu instid0(VALU_DEP_1)
	v_add_nc_u32_e32 v3, 0xc0, v0
	scratch_load_b32 v0, off, off offset:428 ; 4-byte Folded Reload
	s_waitcnt vmcnt(0)
	ds_load_2addr_stride64_b32 v[0:1], v0 offset1:13
	ds_load_2addr_stride64_b32 v[3:4], v3 offset1:13
	scratch_load_b64 v[7:8], off, off offset:396 ; 8-byte Folded Reload
	s_waitcnt vmcnt(0)
	v_mad_u64_u32 v[5:6], null, v2, s9, v[7:8]
	s_delay_alu instid0(VALU_DEP_1) | instskip(SKIP_3) | instid1(VALU_DEP_2)
	v_mad_u64_u32 v[6:7], null, v5, 48, v[104:105]
	s_waitcnt lgkmcnt(0)
	v_fma_mix_f32 v5, v3, v0, 0 op_sel_hi:[0,1,0]
	v_fma_mix_f32 v0, v3, v0, 0 op_sel:[0,1,0] op_sel_hi:[0,1,0]
	v_fma_mix_f32 v5, v4, v1, v5 op_sel_hi:[0,1,0]
	s_delay_alu instid0(VALU_DEP_4) | instskip(NEXT) | instid1(VALU_DEP_1)
	v_ashrrev_i32_e32 v7, 31, v6
	v_lshlrev_b64 v[2:3], 3, v[6:7]
	s_delay_alu instid0(VALU_DEP_4) | instskip(SKIP_1) | instid1(VALU_DEP_3)
	v_fma_mix_f32 v6, v4, v1, v0 op_sel:[0,1,0] op_sel_hi:[0,1,0]
	v_mov_b32_e32 v1, 0
	v_add_co_u32 v2, vcc_lo, s41, v2
	s_delay_alu instid0(VALU_DEP_4)
	v_add_co_ci_u32_e32 v3, vcc_lo, s59, v3, vcc_lo
	global_store_b64 v[2:3], v[5:6], off
.LBB14_135:                             ;   in Loop: Header=BB14_12 Depth=1
	;; [unrolled: 57-line block ×6, first 2 shown]
	s_or_b32 exec_lo, exec_lo, s4
	s_mov_b32 s4, -1
	s_mov_b32 s5, exec_lo
	v_cmpx_gt_i32_e32 0x47, v1
; %bb.156:                              ;   in Loop: Header=BB14_12 Depth=1
	v_cmp_eq_u32_e32 vcc_lo, 0, v1
	s_or_not1_b32 s4, vcc_lo, exec_lo
; %bb.157:                              ;   in Loop: Header=BB14_12 Depth=1
	s_or_b32 exec_lo, exec_lo, s5
	s_delay_alu instid0(SALU_CYCLE_1)
	s_and_b32 exec_lo, exec_lo, s4
	s_cbranch_execz .LBB14_160
; %bb.158:                              ;   in Loop: Header=BB14_12 Depth=1
	s_clause 0x1
	scratch_load_b32 v0, off, off offset:512
	scratch_load_b64 v[2:3], off, off offset:496
	s_waitcnt vmcnt(1)
	v_add_nc_u32_e32 v1, s103, v0
	s_waitcnt vmcnt(0)
	v_or_b32_e32 v0, s86, v2
	s_delay_alu instid0(VALU_DEP_2) | instskip(NEXT) | instid1(VALU_DEP_2)
	v_cmp_gt_i32_e32 vcc_lo, s8, v1
	v_cmp_gt_i32_e64 s4, s33, v0
	s_delay_alu instid0(VALU_DEP_1) | instskip(NEXT) | instid1(SALU_CYCLE_1)
	s_and_b32 s4, vcc_lo, s4
	s_and_b32 exec_lo, exec_lo, s4
	s_cbranch_execz .LBB14_160
; %bb.159:                              ;   in Loop: Header=BB14_12 Depth=1
	s_clause 0x1
	scratch_load_b32 v0, off, off offset:516
	scratch_load_b32 v2, off, off offset:520
	s_waitcnt vmcnt(1)
	v_add_nc_u32_e32 v0, 0, v0
	s_delay_alu instid0(VALU_DEP_1)
	v_add_nc_u32_e32 v0, 0xc0, v0
	s_waitcnt vmcnt(0)
	ds_load_2addr_stride64_b32 v[2:3], v2 offset1:13
	ds_load_2addr_stride64_b32 v[4:5], v0 offset1:13
	scratch_load_b64 v[8:9], off, off offset:496 ; 8-byte Folded Reload
	s_waitcnt vmcnt(0)
	v_mad_u64_u32 v[6:7], null, v1, s9, v[8:9]
	s_delay_alu instid0(VALU_DEP_1) | instskip(SKIP_3) | instid1(VALU_DEP_2)
	v_mad_u64_u32 v[0:1], null, v6, 48, v[104:105]
	s_waitcnt lgkmcnt(0)
	v_fma_mix_f32 v6, v4, v2, 0 op_sel_hi:[0,1,0]
	v_fma_mix_f32 v4, v4, v2, 0 op_sel:[0,1,0] op_sel_hi:[0,1,0]
	v_fma_mix_f32 v2, v5, v3, v6 op_sel_hi:[0,1,0]
	s_delay_alu instid0(VALU_DEP_4) | instskip(NEXT) | instid1(VALU_DEP_3)
	v_ashrrev_i32_e32 v1, 31, v0
	v_fma_mix_f32 v3, v5, v3, v4 op_sel:[0,1,0] op_sel_hi:[0,1,0]
	s_delay_alu instid0(VALU_DEP_2) | instskip(NEXT) | instid1(VALU_DEP_1)
	v_lshlrev_b64 v[0:1], 3, v[0:1]
	v_add_co_u32 v0, vcc_lo, s41, v0
	s_delay_alu instid0(VALU_DEP_2)
	v_add_co_ci_u32_e32 v1, vcc_lo, s59, v1, vcc_lo
	global_store_b64 v[0:1], v[2:3], off
.LBB14_160:                             ;   in Loop: Header=BB14_12 Depth=1
	s_or_b32 exec_lo, exec_lo, s7
	v_dual_mov_b32 v1, 0x47 :: v_dual_add_nc_u32 v2, s103, v126
	v_or_b32_e32 v0, s86, v132
	s_delay_alu instid0(VALU_DEP_2) | instskip(NEXT) | instid1(VALU_DEP_2)
	v_cmp_gt_i32_e64 s4, s8, v2
	v_cmp_gt_i32_e32 vcc_lo, s33, v0
	s_delay_alu instid0(VALU_DEP_2) | instskip(NEXT) | instid1(SALU_CYCLE_1)
	s_and_b32 s4, s4, vcc_lo
	s_and_saveexec_b32 s5, s4
	s_cbranch_execz .LBB14_162
; %bb.161:                              ;   in Loop: Header=BB14_12 Depth=1
	s_clause 0x1
	scratch_load_b32 v0, off, off offset:24
	scratch_load_b32 v1, off, off offset:28
	s_waitcnt vmcnt(1)
	v_add_nc_u32_e32 v0, 0, v0
	s_waitcnt vmcnt(0)
	v_add_nc_u32_e32 v3, 0x80, v1
	s_delay_alu instid0(VALU_DEP_2) | instskip(SKIP_4) | instid1(VALU_DEP_1)
	v_add_nc_u32_e32 v4, 0xc0, v0
	v_mad_u64_u32 v[0:1], null, v2, s9, v[132:133]
	ds_load_2addr_stride64_b32 v[1:2], v3 offset1:13
	ds_load_2addr_stride64_b32 v[3:4], v4 offset1:13
	v_mul_lo_u32 v0, v0, 48
	v_ashrrev_i32_e32 v6, 31, v0
	v_or_b32_e32 v5, v0, v173
	s_delay_alu instid0(VALU_DEP_2) | instskip(SKIP_3) | instid1(VALU_DEP_3)
	v_or_b32_e32 v6, 0, v6
	s_waitcnt lgkmcnt(0)
	v_fma_mix_f32 v7, v3, v1, 0 op_sel_hi:[0,1,0]
	v_fma_mix_f32 v8, v3, v1, 0 op_sel:[0,1,0] op_sel_hi:[0,1,0]
	v_lshlrev_b64 v[0:1], 3, v[5:6]
	s_delay_alu instid0(VALU_DEP_3) | instskip(NEXT) | instid1(VALU_DEP_3)
	v_fma_mix_f32 v3, v4, v2, v7 op_sel_hi:[0,1,0]
	v_fma_mix_f32 v4, v4, v2, v8 op_sel:[0,1,0] op_sel_hi:[0,1,0]
	s_delay_alu instid0(VALU_DEP_3) | instskip(NEXT) | instid1(VALU_DEP_1)
	v_add_co_u32 v5, s4, s41, v0
	v_add_co_ci_u32_e64 v6, s4, s59, v1, s4
	v_mov_b32_e32 v1, 0
	global_store_b64 v[5:6], v[3:4], off offset:256
.LBB14_162:                             ;   in Loop: Header=BB14_12 Depth=1
	s_or_b32 exec_lo, exec_lo, s5
	s_mov_b32 s5, -1
	s_mov_b32 s7, exec_lo
	v_cmpx_gt_i32_e32 0x47, v1
; %bb.163:                              ;   in Loop: Header=BB14_12 Depth=1
	v_cmp_eq_u32_e64 s4, 0, v1
	s_delay_alu instid0(VALU_DEP_1)
	s_or_not1_b32 s5, s4, exec_lo
; %bb.164:                              ;   in Loop: Header=BB14_12 Depth=1
	s_or_b32 exec_lo, exec_lo, s7
	s_delay_alu instid0(SALU_CYCLE_1)
	s_and_b32 exec_lo, exec_lo, s5
	s_cbranch_execz .LBB14_197
; %bb.165:                              ;   in Loop: Header=BB14_12 Depth=1
	scratch_load_b32 v0, off, off offset:36 ; 4-byte Folded Reload
	s_waitcnt vmcnt(0)
	v_add_nc_u32_e32 v2, s103, v0
	scratch_load_b64 v[0:1], off, off offset:8 ; 8-byte Folded Reload
	s_waitcnt vmcnt(0)
	v_mov_b32_e32 v1, 0x47
	v_cmp_gt_i32_e64 s4, s8, v2
	v_or_b32_e32 v0, s86, v0
	s_delay_alu instid0(VALU_DEP_1) | instskip(NEXT) | instid1(VALU_DEP_1)
	v_cmp_gt_i32_e64 s5, s33, v0
	s_and_b32 s4, s4, s5
	s_delay_alu instid0(SALU_CYCLE_1)
	s_and_saveexec_b32 s5, s4
	s_cbranch_execz .LBB14_167
; %bb.166:                              ;   in Loop: Header=BB14_12 Depth=1
	s_clause 0x2
	scratch_load_b32 v0, off, off offset:148
	scratch_load_b32 v1, off, off offset:152
	scratch_load_b64 v[5:6], off, off offset:8
	s_waitcnt vmcnt(2)
	v_add_nc_u32_e32 v0, 0, v0
	s_waitcnt vmcnt(1)
	v_add_nc_u32_e32 v3, 0x80, v1
	s_delay_alu instid0(VALU_DEP_2)
	v_add_nc_u32_e32 v4, 0xc0, v0
	s_waitcnt vmcnt(0)
	v_mad_u64_u32 v[0:1], null, v2, s9, v[5:6]
	ds_load_2addr_stride64_b32 v[1:2], v3 offset1:13
	ds_load_2addr_stride64_b32 v[3:4], v4 offset1:13
	v_mul_lo_u32 v0, v0, 48
	s_delay_alu instid0(VALU_DEP_1) | instskip(SKIP_1) | instid1(VALU_DEP_2)
	v_ashrrev_i32_e32 v6, 31, v0
	v_or_b32_e32 v5, v0, v173
	v_or_b32_e32 v6, 0, v6
	s_waitcnt lgkmcnt(0)
	v_fma_mix_f32 v7, v3, v1, 0 op_sel_hi:[0,1,0]
	v_fma_mix_f32 v8, v3, v1, 0 op_sel:[0,1,0] op_sel_hi:[0,1,0]
	s_delay_alu instid0(VALU_DEP_3) | instskip(NEXT) | instid1(VALU_DEP_3)
	v_lshlrev_b64 v[0:1], 3, v[5:6]
	v_fma_mix_f32 v3, v4, v2, v7 op_sel_hi:[0,1,0]
	s_delay_alu instid0(VALU_DEP_3) | instskip(NEXT) | instid1(VALU_DEP_3)
	v_fma_mix_f32 v4, v4, v2, v8 op_sel:[0,1,0] op_sel_hi:[0,1,0]
	v_add_co_u32 v5, s4, s41, v0
	s_delay_alu instid0(VALU_DEP_1)
	v_add_co_ci_u32_e64 v6, s4, s59, v1, s4
	v_mov_b32_e32 v1, 0
	global_store_b64 v[5:6], v[3:4], off offset:256
.LBB14_167:                             ;   in Loop: Header=BB14_12 Depth=1
	s_or_b32 exec_lo, exec_lo, s5
	s_mov_b32 s5, -1
	s_mov_b32 s7, exec_lo
	v_cmpx_gt_i32_e32 0x47, v1
; %bb.168:                              ;   in Loop: Header=BB14_12 Depth=1
	v_cmp_eq_u32_e64 s4, 0, v1
	s_delay_alu instid0(VALU_DEP_1)
	s_or_not1_b32 s5, s4, exec_lo
; %bb.169:                              ;   in Loop: Header=BB14_12 Depth=1
	s_or_b32 exec_lo, exec_lo, s7
	s_delay_alu instid0(SALU_CYCLE_1)
	s_and_b32 exec_lo, exec_lo, s5
	s_cbranch_execz .LBB14_197
; %bb.170:                              ;   in Loop: Header=BB14_12 Depth=1
	scratch_load_b32 v0, off, off offset:160 ; 4-byte Folded Reload
	s_waitcnt vmcnt(0)
	v_add_nc_u32_e32 v2, s103, v0
	scratch_load_b64 v[0:1], off, off offset:124 ; 8-byte Folded Reload
	s_waitcnt vmcnt(0)
	v_mov_b32_e32 v1, 0x47
	v_cmp_gt_i32_e64 s4, s8, v2
	v_or_b32_e32 v0, s86, v0
	s_delay_alu instid0(VALU_DEP_1) | instskip(NEXT) | instid1(VALU_DEP_1)
	v_cmp_gt_i32_e64 s5, s33, v0
	s_and_b32 s4, s4, s5
	s_delay_alu instid0(SALU_CYCLE_1)
	s_and_saveexec_b32 s5, s4
	s_cbranch_execz .LBB14_172
; %bb.171:                              ;   in Loop: Header=BB14_12 Depth=1
	s_clause 0x2
	scratch_load_b32 v0, off, off offset:188
	scratch_load_b32 v1, off, off offset:192
	scratch_load_b64 v[5:6], off, off offset:124
	s_waitcnt vmcnt(2)
	v_add_nc_u32_e32 v0, 0, v0
	s_waitcnt vmcnt(1)
	v_add_nc_u32_e32 v3, 0x80, v1
	s_delay_alu instid0(VALU_DEP_2)
	v_add_nc_u32_e32 v4, 0xc0, v0
	s_waitcnt vmcnt(0)
	v_mad_u64_u32 v[0:1], null, v2, s9, v[5:6]
	ds_load_2addr_stride64_b32 v[1:2], v3 offset1:13
	ds_load_2addr_stride64_b32 v[3:4], v4 offset1:13
	v_mul_lo_u32 v0, v0, 48
	s_delay_alu instid0(VALU_DEP_1) | instskip(SKIP_1) | instid1(VALU_DEP_2)
	v_ashrrev_i32_e32 v6, 31, v0
	v_or_b32_e32 v5, v0, v173
	v_or_b32_e32 v6, 0, v6
	s_waitcnt lgkmcnt(0)
	v_fma_mix_f32 v7, v3, v1, 0 op_sel_hi:[0,1,0]
	v_fma_mix_f32 v8, v3, v1, 0 op_sel:[0,1,0] op_sel_hi:[0,1,0]
	s_delay_alu instid0(VALU_DEP_3) | instskip(NEXT) | instid1(VALU_DEP_3)
	v_lshlrev_b64 v[0:1], 3, v[5:6]
	v_fma_mix_f32 v3, v4, v2, v7 op_sel_hi:[0,1,0]
	s_delay_alu instid0(VALU_DEP_3) | instskip(NEXT) | instid1(VALU_DEP_3)
	v_fma_mix_f32 v4, v4, v2, v8 op_sel:[0,1,0] op_sel_hi:[0,1,0]
	v_add_co_u32 v5, s4, s41, v0
	s_delay_alu instid0(VALU_DEP_1)
	v_add_co_ci_u32_e64 v6, s4, s59, v1, s4
	v_mov_b32_e32 v1, 0
	global_store_b64 v[5:6], v[3:4], off offset:256
.LBB14_172:                             ;   in Loop: Header=BB14_12 Depth=1
	;; [unrolled: 62-line block ×3, first 2 shown]
	s_or_b32 exec_lo, exec_lo, s5
	s_mov_b32 s5, -1
	s_mov_b32 s7, exec_lo
	v_cmpx_gt_i32_e32 0x47, v1
; %bb.178:                              ;   in Loop: Header=BB14_12 Depth=1
	v_cmp_eq_u32_e64 s4, 0, v1
	s_delay_alu instid0(VALU_DEP_1)
	s_or_not1_b32 s5, s4, exec_lo
; %bb.179:                              ;   in Loop: Header=BB14_12 Depth=1
	s_or_b32 exec_lo, exec_lo, s7
	s_delay_alu instid0(SALU_CYCLE_1)
	s_and_b32 exec_lo, exec_lo, s5
	s_cbranch_execz .LBB14_197
; %bb.180:                              ;   in Loop: Header=BB14_12 Depth=1
	scratch_load_b32 v0, off, off offset:228 ; 4-byte Folded Reload
	s_waitcnt vmcnt(0)
	v_dual_mov_b32 v1, 0x47 :: v_dual_add_nc_u32 v2, s103, v0
	s_delay_alu instid0(VALU_DEP_1) | instskip(NEXT) | instid1(VALU_DEP_1)
	v_cmp_gt_i32_e64 s4, s8, v2
	s_and_b32 s5, s4, vcc_lo
	s_delay_alu instid0(SALU_CYCLE_1)
	s_and_saveexec_b32 s4, s5
	s_cbranch_execz .LBB14_182
; %bb.181:                              ;   in Loop: Header=BB14_12 Depth=1
	s_clause 0x1
	scratch_load_b32 v0, off, off offset:260
	scratch_load_b32 v1, off, off offset:264
	s_waitcnt vmcnt(1)
	v_add_nc_u32_e32 v0, 0, v0
	s_waitcnt vmcnt(0)
	v_add_nc_u32_e32 v3, 0x80, v1
	s_delay_alu instid0(VALU_DEP_2) | instskip(SKIP_4) | instid1(VALU_DEP_1)
	v_add_nc_u32_e32 v4, 0xc0, v0
	v_mad_u64_u32 v[0:1], null, v2, s9, v[132:133]
	ds_load_2addr_stride64_b32 v[1:2], v3 offset1:13
	ds_load_2addr_stride64_b32 v[3:4], v4 offset1:13
	v_mul_lo_u32 v0, v0, 48
	v_ashrrev_i32_e32 v6, 31, v0
	v_or_b32_e32 v5, v0, v173
	s_delay_alu instid0(VALU_DEP_2) | instskip(SKIP_3) | instid1(VALU_DEP_3)
	v_or_b32_e32 v6, 0, v6
	s_waitcnt lgkmcnt(0)
	v_fma_mix_f32 v7, v3, v1, 0 op_sel_hi:[0,1,0]
	v_fma_mix_f32 v8, v3, v1, 0 op_sel:[0,1,0] op_sel_hi:[0,1,0]
	v_lshlrev_b64 v[0:1], 3, v[5:6]
	s_delay_alu instid0(VALU_DEP_3) | instskip(NEXT) | instid1(VALU_DEP_3)
	v_fma_mix_f32 v3, v4, v2, v7 op_sel_hi:[0,1,0]
	v_fma_mix_f32 v4, v4, v2, v8 op_sel:[0,1,0] op_sel_hi:[0,1,0]
	s_delay_alu instid0(VALU_DEP_3) | instskip(NEXT) | instid1(VALU_DEP_4)
	v_add_co_u32 v5, vcc_lo, s41, v0
	v_add_co_ci_u32_e32 v6, vcc_lo, s59, v1, vcc_lo
	v_mov_b32_e32 v1, 0
	global_store_b64 v[5:6], v[3:4], off offset:256
.LBB14_182:                             ;   in Loop: Header=BB14_12 Depth=1
	s_or_b32 exec_lo, exec_lo, s4
	s_mov_b32 s4, -1
	s_mov_b32 s5, exec_lo
	v_cmpx_gt_i32_e32 0x47, v1
; %bb.183:                              ;   in Loop: Header=BB14_12 Depth=1
	v_cmp_eq_u32_e32 vcc_lo, 0, v1
	s_or_not1_b32 s4, vcc_lo, exec_lo
; %bb.184:                              ;   in Loop: Header=BB14_12 Depth=1
	s_or_b32 exec_lo, exec_lo, s5
	s_delay_alu instid0(SALU_CYCLE_1)
	s_and_b32 exec_lo, exec_lo, s4
	s_cbranch_execz .LBB14_197
; %bb.185:                              ;   in Loop: Header=BB14_12 Depth=1
	scratch_load_b32 v0, off, off offset:272 ; 4-byte Folded Reload
	s_waitcnt vmcnt(0)
	v_add_nc_u32_e32 v2, s103, v0
	scratch_load_b64 v[0:1], off, off offset:244 ; 8-byte Folded Reload
	s_waitcnt vmcnt(0)
	v_mov_b32_e32 v1, 0x47
	v_cmp_gt_i32_e32 vcc_lo, s8, v2
	v_or_b32_e32 v0, s86, v0
	s_delay_alu instid0(VALU_DEP_1) | instskip(NEXT) | instid1(VALU_DEP_1)
	v_cmp_gt_i32_e64 s4, s33, v0
	s_and_b32 s5, vcc_lo, s4
	s_delay_alu instid0(SALU_CYCLE_1)
	s_and_saveexec_b32 s4, s5
	s_cbranch_execz .LBB14_187
; %bb.186:                              ;   in Loop: Header=BB14_12 Depth=1
	s_clause 0x2
	scratch_load_b32 v0, off, off offset:300
	scratch_load_b32 v1, off, off offset:304
	scratch_load_b64 v[5:6], off, off offset:244
	s_waitcnt vmcnt(2)
	v_add_nc_u32_e32 v0, 0, v0
	s_waitcnt vmcnt(1)
	v_add_nc_u32_e32 v3, 0x80, v1
	s_delay_alu instid0(VALU_DEP_2)
	v_add_nc_u32_e32 v4, 0xc0, v0
	s_waitcnt vmcnt(0)
	v_mad_u64_u32 v[0:1], null, v2, s9, v[5:6]
	ds_load_2addr_stride64_b32 v[1:2], v3 offset1:13
	ds_load_2addr_stride64_b32 v[3:4], v4 offset1:13
	v_mul_lo_u32 v0, v0, 48
	s_delay_alu instid0(VALU_DEP_1) | instskip(SKIP_1) | instid1(VALU_DEP_2)
	v_ashrrev_i32_e32 v6, 31, v0
	v_or_b32_e32 v5, v0, v173
	v_or_b32_e32 v6, 0, v6
	s_waitcnt lgkmcnt(0)
	v_fma_mix_f32 v7, v3, v1, 0 op_sel_hi:[0,1,0]
	v_fma_mix_f32 v8, v3, v1, 0 op_sel:[0,1,0] op_sel_hi:[0,1,0]
	s_delay_alu instid0(VALU_DEP_3) | instskip(NEXT) | instid1(VALU_DEP_3)
	v_lshlrev_b64 v[0:1], 3, v[5:6]
	v_fma_mix_f32 v3, v4, v2, v7 op_sel_hi:[0,1,0]
	s_delay_alu instid0(VALU_DEP_3) | instskip(NEXT) | instid1(VALU_DEP_3)
	v_fma_mix_f32 v4, v4, v2, v8 op_sel:[0,1,0] op_sel_hi:[0,1,0]
	v_add_co_u32 v5, vcc_lo, s41, v0
	s_delay_alu instid0(VALU_DEP_4)
	v_add_co_ci_u32_e32 v6, vcc_lo, s59, v1, vcc_lo
	v_mov_b32_e32 v1, 0
	global_store_b64 v[5:6], v[3:4], off offset:256
.LBB14_187:                             ;   in Loop: Header=BB14_12 Depth=1
	s_or_b32 exec_lo, exec_lo, s4
	s_mov_b32 s4, -1
	s_mov_b32 s5, exec_lo
	v_cmpx_gt_i32_e32 0x47, v1
; %bb.188:                              ;   in Loop: Header=BB14_12 Depth=1
	v_cmp_eq_u32_e32 vcc_lo, 0, v1
	s_or_not1_b32 s4, vcc_lo, exec_lo
; %bb.189:                              ;   in Loop: Header=BB14_12 Depth=1
	s_or_b32 exec_lo, exec_lo, s5
	s_delay_alu instid0(SALU_CYCLE_1)
	s_and_b32 exec_lo, exec_lo, s4
	s_cbranch_execz .LBB14_197
; %bb.190:                              ;   in Loop: Header=BB14_12 Depth=1
	scratch_load_b32 v0, off, off offset:312 ; 4-byte Folded Reload
	s_waitcnt vmcnt(0)
	v_add_nc_u32_e32 v2, s103, v0
	scratch_load_b64 v[0:1], off, off offset:284 ; 8-byte Folded Reload
	s_waitcnt vmcnt(0)
	v_mov_b32_e32 v1, 0x47
	v_cmp_gt_i32_e32 vcc_lo, s8, v2
	v_or_b32_e32 v0, s86, v0
	s_delay_alu instid0(VALU_DEP_1) | instskip(NEXT) | instid1(VALU_DEP_1)
	v_cmp_gt_i32_e64 s4, s33, v0
	s_and_b32 s5, vcc_lo, s4
	s_delay_alu instid0(SALU_CYCLE_1)
	s_and_saveexec_b32 s4, s5
	s_cbranch_execz .LBB14_192
; %bb.191:                              ;   in Loop: Header=BB14_12 Depth=1
	s_clause 0x2
	scratch_load_b32 v0, off, off offset:340
	scratch_load_b32 v1, off, off offset:344
	scratch_load_b64 v[5:6], off, off offset:284
	s_waitcnt vmcnt(2)
	v_add_nc_u32_e32 v0, 0, v0
	s_waitcnt vmcnt(1)
	v_add_nc_u32_e32 v3, 0x80, v1
	s_delay_alu instid0(VALU_DEP_2)
	v_add_nc_u32_e32 v4, 0xc0, v0
	s_waitcnt vmcnt(0)
	v_mad_u64_u32 v[0:1], null, v2, s9, v[5:6]
	ds_load_2addr_stride64_b32 v[1:2], v3 offset1:13
	ds_load_2addr_stride64_b32 v[3:4], v4 offset1:13
	v_mul_lo_u32 v0, v0, 48
	s_delay_alu instid0(VALU_DEP_1) | instskip(SKIP_1) | instid1(VALU_DEP_2)
	v_ashrrev_i32_e32 v6, 31, v0
	v_or_b32_e32 v5, v0, v173
	v_or_b32_e32 v6, 0, v6
	s_waitcnt lgkmcnt(0)
	v_fma_mix_f32 v7, v3, v1, 0 op_sel_hi:[0,1,0]
	v_fma_mix_f32 v8, v3, v1, 0 op_sel:[0,1,0] op_sel_hi:[0,1,0]
	s_delay_alu instid0(VALU_DEP_3) | instskip(NEXT) | instid1(VALU_DEP_3)
	v_lshlrev_b64 v[0:1], 3, v[5:6]
	v_fma_mix_f32 v3, v4, v2, v7 op_sel_hi:[0,1,0]
	s_delay_alu instid0(VALU_DEP_3) | instskip(NEXT) | instid1(VALU_DEP_3)
	v_fma_mix_f32 v4, v4, v2, v8 op_sel:[0,1,0] op_sel_hi:[0,1,0]
	v_add_co_u32 v5, vcc_lo, s41, v0
	s_delay_alu instid0(VALU_DEP_4)
	v_add_co_ci_u32_e32 v6, vcc_lo, s59, v1, vcc_lo
	v_mov_b32_e32 v1, 0
	global_store_b64 v[5:6], v[3:4], off offset:256
.LBB14_192:                             ;   in Loop: Header=BB14_12 Depth=1
	s_or_b32 exec_lo, exec_lo, s4
	s_mov_b32 s4, -1
	s_mov_b32 s5, exec_lo
	v_cmpx_gt_i32_e32 0x47, v1
; %bb.193:                              ;   in Loop: Header=BB14_12 Depth=1
	v_cmp_eq_u32_e32 vcc_lo, 0, v1
	s_or_not1_b32 s4, vcc_lo, exec_lo
; %bb.194:                              ;   in Loop: Header=BB14_12 Depth=1
	s_or_b32 exec_lo, exec_lo, s5
	s_delay_alu instid0(SALU_CYCLE_1)
	s_and_b32 exec_lo, exec_lo, s4
	s_cbranch_execz .LBB14_197
; %bb.195:                              ;   in Loop: Header=BB14_12 Depth=1
	s_clause 0x1
	scratch_load_b32 v0, off, off offset:352
	scratch_load_b64 v[2:3], off, off offset:324
	s_waitcnt vmcnt(1)
	v_add_nc_u32_e32 v1, s103, v0
	s_waitcnt vmcnt(0)
	v_or_b32_e32 v0, s86, v2
	s_delay_alu instid0(VALU_DEP_2) | instskip(NEXT) | instid1(VALU_DEP_2)
	v_cmp_gt_i32_e32 vcc_lo, s8, v1
	v_cmp_gt_i32_e64 s4, s33, v0
	s_delay_alu instid0(VALU_DEP_1) | instskip(NEXT) | instid1(SALU_CYCLE_1)
	s_and_b32 s4, vcc_lo, s4
	s_and_b32 exec_lo, exec_lo, s4
	s_cbranch_execz .LBB14_197
; %bb.196:                              ;   in Loop: Header=BB14_12 Depth=1
	s_clause 0x2
	scratch_load_b32 v0, off, off offset:368
	scratch_load_b32 v2, off, off offset:372
	scratch_load_b64 v[6:7], off, off offset:324
	s_waitcnt vmcnt(2)
	v_add_nc_u32_e32 v0, 0, v0
	s_waitcnt vmcnt(1)
	v_add_nc_u32_e32 v4, 0x80, v2
	s_waitcnt vmcnt(0)
	v_mad_u64_u32 v[2:3], null, v1, s9, v[6:7]
	v_add_nc_u32_e32 v5, 0xc0, v0
	ds_load_2addr_stride64_b32 v[0:1], v4 offset1:13
	ds_load_2addr_stride64_b32 v[3:4], v5 offset1:13
	v_mul_lo_u32 v2, v2, 48
	s_delay_alu instid0(VALU_DEP_1) | instskip(SKIP_1) | instid1(VALU_DEP_2)
	v_ashrrev_i32_e32 v6, 31, v2
	v_or_b32_e32 v5, v2, v173
	v_or_b32_e32 v6, 0, v6
	s_waitcnt lgkmcnt(0)
	v_fma_mix_f32 v7, v3, v0, 0 op_sel_hi:[0,1,0]
	v_fma_mix_f32 v8, v3, v0, 0 op_sel:[0,1,0] op_sel_hi:[0,1,0]
	s_delay_alu instid0(VALU_DEP_3) | instskip(NEXT) | instid1(VALU_DEP_3)
	v_lshlrev_b64 v[2:3], 3, v[5:6]
	v_fma_mix_f32 v0, v4, v1, v7 op_sel_hi:[0,1,0]
	s_delay_alu instid0(VALU_DEP_3) | instskip(NEXT) | instid1(VALU_DEP_3)
	v_fma_mix_f32 v1, v4, v1, v8 op_sel:[0,1,0] op_sel_hi:[0,1,0]
	v_add_co_u32 v2, vcc_lo, s41, v2
	s_delay_alu instid0(VALU_DEP_4)
	v_add_co_ci_u32_e32 v3, vcc_lo, s59, v3, vcc_lo
	global_store_b64 v[2:3], v[0:1], off offset:256
.LBB14_197:                             ;   in Loop: Header=BB14_12 Depth=1
	s_or_b32 exec_lo, exec_lo, s6
	s_waitcnt_vscnt null, 0x0
	s_barrier
	s_branch .LBB14_11
.LBB14_198:                             ;   in Loop: Header=BB14_12 Depth=1
	s_lshl_b32 s66, s89, 1
	v_cmp_gt_i32_e32 vcc_lo, s33, v82
	v_add_nc_u32_e32 v1, s66, v162
	s_xor_b32 s5, vcc_lo, -1
	s_delay_alu instid0(VALU_DEP_1) | instskip(NEXT) | instid1(VALU_DEP_1)
	v_cmp_le_i32_e64 s4, s8, v1
	s_or_b32 s4, s4, s5
	s_delay_alu instid0(SALU_CYCLE_1) | instskip(NEXT) | instid1(SALU_CYCLE_1)
	s_and_saveexec_b32 s6, s4
	s_xor_b32 s4, exec_lo, s6
	s_cbranch_execz .LBB14_200
; %bb.199:                              ;   in Loop: Header=BB14_12 Depth=1
	ds_store_b32 v180, v216
                                        ; implicit-def: $vgpr1
.LBB14_200:                             ;   in Loop: Header=BB14_12 Depth=1
	s_and_not1_saveexec_b32 s4, s4
	s_cbranch_execz .LBB14_202
; %bb.201:                              ;   in Loop: Header=BB14_12 Depth=1
	v_mad_u64_u32 v[2:3], null, v1, s51, v[139:140]
	s_delay_alu instid0(VALU_DEP_1) | instskip(NEXT) | instid1(VALU_DEP_1)
	v_ashrrev_i32_e32 v3, 31, v2
	v_lshlrev_b64 v[0:1], 3, v[2:3]
	s_delay_alu instid0(VALU_DEP_1) | instskip(NEXT) | instid1(VALU_DEP_2)
	v_add_co_u32 v0, vcc_lo, s100, v0
	v_add_co_ci_u32_e32 v1, vcc_lo, s101, v1, vcc_lo
	global_load_b64 v[0:1], v[0:1], off
	s_waitcnt vmcnt(0)
	v_cvt_f16_f32_e32 v0, v0
	v_cvt_f16_f32_e32 v1, v1
	s_delay_alu instid0(VALU_DEP_1) | instskip(NEXT) | instid1(VALU_DEP_1)
	v_pack_b32_f16 v0, v0, v1
	v_pk_mul_f16 v0, v153, v0
	ds_store_b32 v180, v0
.LBB14_202:                             ;   in Loop: Header=BB14_12 Depth=1
	s_or_b32 exec_lo, exec_lo, s4
	v_add_nc_u32_e32 v1, s66, v255
	v_or_b32_e32 v0, s86, v160
	s_delay_alu instid0(VALU_DEP_2) | instskip(NEXT) | instid1(VALU_DEP_2)
	v_cmp_le_i32_e32 vcc_lo, s8, v1
	v_cmp_le_i32_e64 s4, s33, v0
	s_delay_alu instid0(VALU_DEP_1) | instskip(NEXT) | instid1(SALU_CYCLE_1)
	s_or_b32 s4, vcc_lo, s4
	s_and_saveexec_b32 s6, s4
	s_delay_alu instid0(SALU_CYCLE_1)
	s_xor_b32 s4, exec_lo, s6
	s_cbranch_execz .LBB14_204
; %bb.203:                              ;   in Loop: Header=BB14_12 Depth=1
	ds_store_b32 v180, v216 offset:416
                                        ; implicit-def: $vgpr1
.LBB14_204:                             ;   in Loop: Header=BB14_12 Depth=1
	s_and_not1_saveexec_b32 s4, s4
	s_cbranch_execz .LBB14_206
; %bb.205:                              ;   in Loop: Header=BB14_12 Depth=1
	v_mad_u64_u32 v[2:3], null, v1, s51, v[140:141]
	s_delay_alu instid0(VALU_DEP_1) | instskip(NEXT) | instid1(VALU_DEP_1)
	v_ashrrev_i32_e32 v3, 31, v2
	v_lshlrev_b64 v[0:1], 3, v[2:3]
	s_delay_alu instid0(VALU_DEP_1) | instskip(NEXT) | instid1(VALU_DEP_2)
	v_add_co_u32 v0, vcc_lo, s100, v0
	v_add_co_ci_u32_e32 v1, vcc_lo, s101, v1, vcc_lo
	global_load_b64 v[0:1], v[0:1], off
	s_waitcnt vmcnt(0)
	v_cvt_f16_f32_e32 v0, v0
	v_cvt_f16_f32_e32 v1, v1
	s_delay_alu instid0(VALU_DEP_1) | instskip(NEXT) | instid1(VALU_DEP_1)
	v_pack_b32_f16 v0, v0, v1
	v_pk_mul_f16 v0, v153, v0
	ds_store_b32 v180, v0 offset:416
.LBB14_206:                             ;   in Loop: Header=BB14_12 Depth=1
	s_or_b32 exec_lo, exec_lo, s4
	v_add_nc_u32_e32 v1, s66, v161
	v_or_b32_e32 v0, s86, v103
	s_delay_alu instid0(VALU_DEP_2) | instskip(NEXT) | instid1(VALU_DEP_2)
	v_cmp_le_i32_e32 vcc_lo, s8, v1
	v_cmp_le_i32_e64 s4, s33, v0
	s_delay_alu instid0(VALU_DEP_1) | instskip(NEXT) | instid1(SALU_CYCLE_1)
	s_or_b32 s4, vcc_lo, s4
	s_and_saveexec_b32 s6, s4
	s_delay_alu instid0(SALU_CYCLE_1)
	s_xor_b32 s4, exec_lo, s6
	s_cbranch_execz .LBB14_208
; %bb.207:                              ;   in Loop: Header=BB14_12 Depth=1
	ds_store_b32 v180, v216 offset:832
                                        ; implicit-def: $vgpr1
.LBB14_208:                             ;   in Loop: Header=BB14_12 Depth=1
	s_and_not1_saveexec_b32 s4, s4
	s_cbranch_execz .LBB14_210
; %bb.209:                              ;   in Loop: Header=BB14_12 Depth=1
	v_mad_u64_u32 v[2:3], null, v1, s51, v[141:142]
	s_delay_alu instid0(VALU_DEP_1) | instskip(NEXT) | instid1(VALU_DEP_1)
	v_ashrrev_i32_e32 v3, 31, v2
	v_lshlrev_b64 v[0:1], 3, v[2:3]
	s_delay_alu instid0(VALU_DEP_1) | instskip(NEXT) | instid1(VALU_DEP_2)
	v_add_co_u32 v0, vcc_lo, s100, v0
	v_add_co_ci_u32_e32 v1, vcc_lo, s101, v1, vcc_lo
	global_load_b64 v[0:1], v[0:1], off
	s_waitcnt vmcnt(0)
	v_cvt_f16_f32_e32 v0, v0
	v_cvt_f16_f32_e32 v1, v1
	s_delay_alu instid0(VALU_DEP_1) | instskip(NEXT) | instid1(VALU_DEP_1)
	v_pack_b32_f16 v0, v0, v1
	v_pk_mul_f16 v0, v153, v0
	ds_store_b32 v180, v0 offset:832
.LBB14_210:                             ;   in Loop: Header=BB14_12 Depth=1
	;; [unrolled: 35-line block ×3, first 2 shown]
	s_or_b32 exec_lo, exec_lo, s4
	v_add_nc_u32_e32 v1, s66, v190
	s_delay_alu instid0(VALU_DEP_1) | instskip(SKIP_1) | instid1(SALU_CYCLE_1)
	v_cmp_le_i32_e32 vcc_lo, s8, v1
	s_or_b32 s4, vcc_lo, s5
	s_and_saveexec_b32 s5, s4
	s_delay_alu instid0(SALU_CYCLE_1)
	s_xor_b32 s4, exec_lo, s5
	s_cbranch_execz .LBB14_216
; %bb.215:                              ;   in Loop: Header=BB14_12 Depth=1
	ds_store_b32 v180, v216 offset:1664
                                        ; implicit-def: $vgpr1
.LBB14_216:                             ;   in Loop: Header=BB14_12 Depth=1
	s_and_not1_saveexec_b32 s4, s4
	s_cbranch_execz .LBB14_218
; %bb.217:                              ;   in Loop: Header=BB14_12 Depth=1
	v_mad_u64_u32 v[2:3], null, v1, s51, v[139:140]
	s_delay_alu instid0(VALU_DEP_1) | instskip(NEXT) | instid1(VALU_DEP_1)
	v_ashrrev_i32_e32 v3, 31, v2
	v_lshlrev_b64 v[0:1], 3, v[2:3]
	s_delay_alu instid0(VALU_DEP_1) | instskip(NEXT) | instid1(VALU_DEP_2)
	v_add_co_u32 v0, vcc_lo, s100, v0
	v_add_co_ci_u32_e32 v1, vcc_lo, s101, v1, vcc_lo
	global_load_b64 v[0:1], v[0:1], off
	s_waitcnt vmcnt(0)
	v_cvt_f16_f32_e32 v0, v0
	v_cvt_f16_f32_e32 v1, v1
	s_delay_alu instid0(VALU_DEP_1) | instskip(NEXT) | instid1(VALU_DEP_1)
	v_pack_b32_f16 v0, v0, v1
	v_pk_mul_f16 v0, v153, v0
	ds_store_b32 v180, v0 offset:1664
.LBB14_218:                             ;   in Loop: Header=BB14_12 Depth=1
	s_or_b32 exec_lo, exec_lo, s4
	v_add_nc_u32_e32 v1, s66, v214
	v_or_b32_e32 v0, s86, v215
	s_delay_alu instid0(VALU_DEP_2) | instskip(NEXT) | instid1(VALU_DEP_2)
	v_cmp_le_i32_e32 vcc_lo, s8, v1
	v_cmp_le_i32_e64 s4, s33, v0
	s_delay_alu instid0(VALU_DEP_1) | instskip(NEXT) | instid1(SALU_CYCLE_1)
	s_or_b32 s4, vcc_lo, s4
	s_and_saveexec_b32 s5, s4
	s_delay_alu instid0(SALU_CYCLE_1)
	s_xor_b32 s4, exec_lo, s5
	s_cbranch_execz .LBB14_220
; %bb.219:                              ;   in Loop: Header=BB14_12 Depth=1
	ds_store_b32 v180, v216 offset:2080
                                        ; implicit-def: $vgpr1
.LBB14_220:                             ;   in Loop: Header=BB14_12 Depth=1
	s_and_not1_saveexec_b32 s4, s4
	s_cbranch_execz .LBB14_222
; %bb.221:                              ;   in Loop: Header=BB14_12 Depth=1
	v_mad_u64_u32 v[2:3], null, v1, s51, v[143:144]
	s_delay_alu instid0(VALU_DEP_1) | instskip(NEXT) | instid1(VALU_DEP_1)
	v_ashrrev_i32_e32 v3, 31, v2
	v_lshlrev_b64 v[0:1], 3, v[2:3]
	s_delay_alu instid0(VALU_DEP_1) | instskip(NEXT) | instid1(VALU_DEP_2)
	v_add_co_u32 v0, vcc_lo, s100, v0
	v_add_co_ci_u32_e32 v1, vcc_lo, s101, v1, vcc_lo
	global_load_b64 v[0:1], v[0:1], off
	s_waitcnt vmcnt(0)
	v_cvt_f16_f32_e32 v0, v0
	v_cvt_f16_f32_e32 v1, v1
	s_delay_alu instid0(VALU_DEP_1) | instskip(NEXT) | instid1(VALU_DEP_1)
	v_pack_b32_f16 v0, v0, v1
	v_pk_mul_f16 v0, v153, v0
	ds_store_b32 v180, v0 offset:2080
.LBB14_222:                             ;   in Loop: Header=BB14_12 Depth=1
	s_or_b32 exec_lo, exec_lo, s4
	v_add_nc_u32_e32 v1, s66, v212
	v_or_b32_e32 v0, s86, v213
	s_delay_alu instid0(VALU_DEP_2) | instskip(NEXT) | instid1(VALU_DEP_2)
	v_cmp_le_i32_e32 vcc_lo, s8, v1
	v_cmp_le_i32_e64 s4, s33, v0
	s_delay_alu instid0(VALU_DEP_1) | instskip(NEXT) | instid1(SALU_CYCLE_1)
	;; [unrolled: 35-line block ×3, first 2 shown]
	s_or_b32 s4, vcc_lo, s4
	s_and_saveexec_b32 s5, s4
	s_delay_alu instid0(SALU_CYCLE_1)
	s_xor_b32 s4, exec_lo, s5
	s_cbranch_execz .LBB14_228
; %bb.227:                              ;   in Loop: Header=BB14_12 Depth=1
	ds_store_b32 v180, v216 offset:2912
                                        ; implicit-def: $vgpr1
.LBB14_228:                             ;   in Loop: Header=BB14_12 Depth=1
	s_and_not1_saveexec_b32 s4, s4
	s_cbranch_execz .LBB14_230
; %bb.229:                              ;   in Loop: Header=BB14_12 Depth=1
	v_mad_u64_u32 v[2:3], null, v1, s51, v[145:146]
	s_delay_alu instid0(VALU_DEP_1) | instskip(NEXT) | instid1(VALU_DEP_1)
	v_ashrrev_i32_e32 v3, 31, v2
	v_lshlrev_b64 v[0:1], 3, v[2:3]
	s_delay_alu instid0(VALU_DEP_1) | instskip(NEXT) | instid1(VALU_DEP_2)
	v_add_co_u32 v0, vcc_lo, s100, v0
	v_add_co_ci_u32_e32 v1, vcc_lo, s101, v1, vcc_lo
	global_load_b64 v[0:1], v[0:1], off
	s_waitcnt vmcnt(0)
	v_cvt_f16_f32_e32 v0, v0
	v_cvt_f16_f32_e32 v1, v1
	s_delay_alu instid0(VALU_DEP_1) | instskip(NEXT) | instid1(VALU_DEP_1)
	v_pack_b32_f16 v0, v0, v1
	v_pk_mul_f16 v0, v153, v0
	ds_store_b32 v180, v0 offset:2912
.LBB14_230:                             ;   in Loop: Header=BB14_12 Depth=1
	s_or_b32 exec_lo, exec_lo, s4
	v_or_b32_e32 v0, s86, v182
	v_add_nc_u32_e32 v1, s66, v181
	s_delay_alu instid0(VALU_DEP_2) | instskip(NEXT) | instid1(VALU_DEP_2)
	v_cmp_gt_i32_e32 vcc_lo, s33, v0
	v_cmp_le_i32_e64 s4, s8, v1
	s_xor_b32 s5, vcc_lo, -1
	s_delay_alu instid0(VALU_DEP_1) | instid1(SALU_CYCLE_1)
	s_or_b32 s4, s4, s5
	s_delay_alu instid0(SALU_CYCLE_1) | instskip(NEXT) | instid1(SALU_CYCLE_1)
	s_and_saveexec_b32 s6, s4
	s_xor_b32 s4, exec_lo, s6
	s_cbranch_execz .LBB14_232
; %bb.231:                              ;   in Loop: Header=BB14_12 Depth=1
	ds_store_b32 v183, v216 offset:128
                                        ; implicit-def: $vgpr1
.LBB14_232:                             ;   in Loop: Header=BB14_12 Depth=1
	s_and_not1_saveexec_b32 s4, s4
	s_cbranch_execz .LBB14_234
; %bb.233:                              ;   in Loop: Header=BB14_12 Depth=1
	v_mad_u64_u32 v[2:3], null, v1, s51, v[90:91]
	s_delay_alu instid0(VALU_DEP_1) | instskip(NEXT) | instid1(VALU_DEP_1)
	v_ashrrev_i32_e32 v3, 31, v2
	v_lshlrev_b64 v[0:1], 3, v[2:3]
	s_delay_alu instid0(VALU_DEP_1) | instskip(NEXT) | instid1(VALU_DEP_2)
	v_add_co_u32 v0, vcc_lo, s100, v0
	v_add_co_ci_u32_e32 v1, vcc_lo, s101, v1, vcc_lo
	global_load_b64 v[0:1], v[0:1], off
	s_waitcnt vmcnt(0)
	v_cvt_f16_f32_e32 v0, v0
	v_cvt_f16_f32_e32 v1, v1
	s_delay_alu instid0(VALU_DEP_1) | instskip(NEXT) | instid1(VALU_DEP_1)
	v_pack_b32_f16 v0, v0, v1
	v_pk_mul_f16 v0, v153, v0
	ds_store_b32 v183, v0 offset:128
.LBB14_234:                             ;   in Loop: Header=BB14_12 Depth=1
	s_or_b32 exec_lo, exec_lo, s4
	v_add_nc_u32_e32 v1, s66, v184
	v_or_b32_e32 v0, s86, v185
	s_delay_alu instid0(VALU_DEP_2) | instskip(NEXT) | instid1(VALU_DEP_2)
	v_cmp_le_i32_e32 vcc_lo, s8, v1
	v_cmp_le_i32_e64 s4, s33, v0
	s_delay_alu instid0(VALU_DEP_1) | instskip(NEXT) | instid1(SALU_CYCLE_1)
	s_or_b32 s4, vcc_lo, s4
	s_and_saveexec_b32 s6, s4
	s_delay_alu instid0(SALU_CYCLE_1)
	s_xor_b32 s4, exec_lo, s6
	s_cbranch_execz .LBB14_236
; %bb.235:                              ;   in Loop: Header=BB14_12 Depth=1
	ds_store_b32 v183, v216 offset:960
                                        ; implicit-def: $vgpr1
.LBB14_236:                             ;   in Loop: Header=BB14_12 Depth=1
	s_and_not1_saveexec_b32 s4, s4
	s_cbranch_execz .LBB14_238
; %bb.237:                              ;   in Loop: Header=BB14_12 Depth=1
	v_mad_u64_u32 v[2:3], null, v1, s51, v[91:92]
	s_delay_alu instid0(VALU_DEP_1) | instskip(NEXT) | instid1(VALU_DEP_1)
	v_ashrrev_i32_e32 v3, 31, v2
	v_lshlrev_b64 v[0:1], 3, v[2:3]
	s_delay_alu instid0(VALU_DEP_1) | instskip(NEXT) | instid1(VALU_DEP_2)
	v_add_co_u32 v0, vcc_lo, s100, v0
	v_add_co_ci_u32_e32 v1, vcc_lo, s101, v1, vcc_lo
	global_load_b64 v[0:1], v[0:1], off
	s_waitcnt vmcnt(0)
	v_cvt_f16_f32_e32 v0, v0
	v_cvt_f16_f32_e32 v1, v1
	s_delay_alu instid0(VALU_DEP_1) | instskip(NEXT) | instid1(VALU_DEP_1)
	v_pack_b32_f16 v0, v0, v1
	v_pk_mul_f16 v0, v153, v0
	ds_store_b32 v183, v0 offset:960
.LBB14_238:                             ;   in Loop: Header=BB14_12 Depth=1
	s_or_b32 exec_lo, exec_lo, s4
	v_add_nc_u32_e32 v1, s66, v186
	s_delay_alu instid0(VALU_DEP_1) | instskip(SKIP_1) | instid1(SALU_CYCLE_1)
	v_cmp_le_i32_e32 vcc_lo, s8, v1
	s_or_b32 s4, vcc_lo, s5
	s_and_saveexec_b32 s5, s4
	s_delay_alu instid0(SALU_CYCLE_1)
	s_xor_b32 s4, exec_lo, s5
	s_cbranch_execz .LBB14_240
; %bb.239:                              ;   in Loop: Header=BB14_12 Depth=1
	ds_store_b32 v183, v216 offset:1792
                                        ; implicit-def: $vgpr1
.LBB14_240:                             ;   in Loop: Header=BB14_12 Depth=1
	s_and_not1_saveexec_b32 s4, s4
	s_cbranch_execz .LBB14_242
; %bb.241:                              ;   in Loop: Header=BB14_12 Depth=1
	v_mad_u64_u32 v[2:3], null, v1, s51, v[90:91]
	s_delay_alu instid0(VALU_DEP_1) | instskip(NEXT) | instid1(VALU_DEP_1)
	v_ashrrev_i32_e32 v3, 31, v2
	v_lshlrev_b64 v[0:1], 3, v[2:3]
	s_delay_alu instid0(VALU_DEP_1) | instskip(NEXT) | instid1(VALU_DEP_2)
	v_add_co_u32 v0, vcc_lo, s100, v0
	v_add_co_ci_u32_e32 v1, vcc_lo, s101, v1, vcc_lo
	global_load_b64 v[0:1], v[0:1], off
	s_waitcnt vmcnt(0)
	v_cvt_f16_f32_e32 v0, v0
	v_cvt_f16_f32_e32 v1, v1
	s_delay_alu instid0(VALU_DEP_1) | instskip(NEXT) | instid1(VALU_DEP_1)
	v_pack_b32_f16 v0, v0, v1
	v_pk_mul_f16 v0, v153, v0
	ds_store_b32 v183, v0 offset:1792
.LBB14_242:                             ;   in Loop: Header=BB14_12 Depth=1
	s_or_b32 exec_lo, exec_lo, s4
	v_add_nc_u32_e32 v1, s66, v187
	v_or_b32_e32 v0, s86, v188
	s_delay_alu instid0(VALU_DEP_2) | instskip(NEXT) | instid1(VALU_DEP_2)
	v_cmp_le_i32_e32 vcc_lo, s8, v1
	v_cmp_le_i32_e64 s4, s33, v0
	s_delay_alu instid0(VALU_DEP_1) | instskip(NEXT) | instid1(SALU_CYCLE_1)
	s_or_b32 s4, vcc_lo, s4
	s_and_saveexec_b32 s5, s4
	s_delay_alu instid0(SALU_CYCLE_1)
	s_xor_b32 s4, exec_lo, s5
	s_cbranch_execz .LBB14_244
; %bb.243:                              ;   in Loop: Header=BB14_12 Depth=1
	ds_store_b32 v183, v216 offset:2624
                                        ; implicit-def: $vgpr1
.LBB14_244:                             ;   in Loop: Header=BB14_12 Depth=1
	s_and_not1_saveexec_b32 s4, s4
	s_cbranch_execz .LBB14_246
; %bb.245:                              ;   in Loop: Header=BB14_12 Depth=1
	v_mad_u64_u32 v[2:3], null, v1, s51, v[92:93]
	s_delay_alu instid0(VALU_DEP_1) | instskip(NEXT) | instid1(VALU_DEP_1)
	v_ashrrev_i32_e32 v3, 31, v2
	v_lshlrev_b64 v[0:1], 3, v[2:3]
	s_delay_alu instid0(VALU_DEP_1) | instskip(NEXT) | instid1(VALU_DEP_2)
	v_add_co_u32 v0, vcc_lo, s100, v0
	v_add_co_ci_u32_e32 v1, vcc_lo, s101, v1, vcc_lo
	global_load_b64 v[0:1], v[0:1], off
	s_waitcnt vmcnt(0)
	v_cvt_f16_f32_e32 v0, v0
	v_cvt_f16_f32_e32 v1, v1
	s_delay_alu instid0(VALU_DEP_1) | instskip(NEXT) | instid1(VALU_DEP_1)
	v_pack_b32_f16 v0, v0, v1
	v_pk_mul_f16 v0, v153, v0
	ds_store_b32 v183, v0 offset:2624
.LBB14_246:                             ;   in Loop: Header=BB14_12 Depth=1
	s_or_b32 exec_lo, exec_lo, s4
	v_dual_mov_b32 v15, 0 :: v_dual_add_nc_u32 v0, v165, v248
	s_waitcnt lgkmcnt(0)
	s_waitcnt_vscnt null, 0x0
	s_barrier
	buffer_gl0_inv
	ds_load_b128 v[40:43], v0
	ds_load_b128 v[44:47], v0 offset:16
	ds_load_b128 v[32:35], v0 offset:32
	;; [unrolled: 1-line block ×11, first 2 shown]
	v_xor_b32_e32 v122, 16, v231
	s_cmp_lt_i32 s92, 2
	s_mov_b32 s7, 0
	s_waitcnt lgkmcnt(0)
	s_barrier
	buffer_gl0_inv
	s_cbranch_scc1 .LBB14_251
; %bb.247:                              ;   in Loop: Header=BB14_12 Depth=1
	v_mov_b32_e32 v24, 0
	v_add_nc_u32_e32 v0, s89, v149
	s_add_i32 s7, s92, -1
	s_add_u32 s4, s97, s56
	s_addc_u32 s5, s98, s99
	v_mov_b32_e32 v25, v24
	v_lshl_add_u32 v0, v0, 1, v163
	s_add_u32 s6, s93, s95
	s_addc_u32 s67, s94, s96
	s_mov_b32 s56, s7
	s_delay_alu instid0(VALU_DEP_1) | instskip(NEXT) | instid1(VALU_DEP_1)
	v_mul_hi_u32 v1, s12, v0
	v_add_nc_u32_e32 v1, v0, v1
	s_delay_alu instid0(VALU_DEP_1) | instskip(NEXT) | instid1(VALU_DEP_1)
	v_lshrrev_b32_e32 v1, s13, v1
	v_mul_lo_u32 v1, v1, s8
	s_delay_alu instid0(VALU_DEP_1) | instskip(NEXT) | instid1(VALU_DEP_1)
	v_sub_nc_u32_e32 v2, v0, v1
	v_mad_i64_i32 v[0:1], null, s58, v2, v[80:81]
	scratch_load_b32 v2, off, off offset:72 ; 4-byte Folded Reload
	v_dual_mov_b32 v80, 0 :: v_dual_mov_b32 v81, 0xfeffffff
	s_waitcnt vmcnt(0)
	v_add_co_u32 v147, vcc_lo, v2, v0
	scratch_load_b32 v0, off, off offset:76 ; 4-byte Folded Reload
	s_waitcnt vmcnt(0)
	v_add_co_ci_u32_e32 v148, vcc_lo, v0, v1, vcc_lo
	v_cmp_gt_i32_e32 vcc_lo, 32, v122
	v_cndmask_b32_e32 v0, v231, v122, vcc_lo
	s_delay_alu instid0(VALU_DEP_1)
	v_lshlrev_b32_e32 v195, 2, v0
	scratch_load_b32 v0, off, off offset:40 ; 4-byte Folded Reload
	v_mov_b32_e32 v26, v24
	v_mov_b32_e32 v27, v24
	;; [unrolled: 1-line block ×22, first 2 shown]
	s_waitcnt vmcnt(0)
	v_add_co_u32 v196, vcc_lo, v0, s4
	scratch_load_b32 v0, off, off offset:44 ; 4-byte Folded Reload
	s_waitcnt vmcnt(0)
	v_add_co_ci_u32_e32 v228, vcc_lo, s5, v0, vcc_lo
	scratch_load_b32 v0, off, off offset:48 ; 4-byte Folded Reload
	s_waitcnt vmcnt(0)
	v_add_co_u32 v229, vcc_lo, v0, s4
	scratch_load_b32 v0, off, off offset:52 ; 4-byte Folded Reload
	s_waitcnt vmcnt(0)
	v_add_co_ci_u32_e32 v230, vcc_lo, s5, v0, vcc_lo
	scratch_load_b32 v0, off, off offset:80 ; 4-byte Folded Reload
	;; [unrolled: 6-line block ×8, first 2 shown]
	s_waitcnt vmcnt(0)
	v_add_co_u32 v192, vcc_lo, v0, s6
	v_add_co_ci_u32_e32 v224, vcc_lo, s67, v201, vcc_lo
	v_add_co_u32 v225, vcc_lo, v127, s6
	v_add_co_ci_u32_e32 v129, vcc_lo, s67, v124, vcc_lo
	;; [unrolled: 2-line block ×4, first 2 shown]
	s_and_saveexec_b32 s4, s0
	s_cbranch_execz .LBB14_249
.LBB14_248:                             ;   in Loop: Header=BB14_12 Depth=1
	global_load_b32 v0, v[147:148], off
	s_waitcnt vmcnt(0)
	ds_store_b32 v167, v0 offset:6656
.LBB14_249:                             ;   Parent Loop BB14_12 Depth=1
                                        ; =>  This Inner Loop Header: Depth=2
	s_or_b32 exec_lo, exec_lo, s4
	v_add_co_u32 v0, vcc_lo, v120, v239
	v_add_co_ci_u32_e32 v1, vcc_lo, 0, v135, vcc_lo
	v_mov_b32_e32 v217, v216
	v_mov_b32_e32 v218, v216
	;; [unrolled: 1-line block ×3, first 2 shown]
	global_load_b128 v[0:3], v[0:1], off
	v_mov_b32_e32 v220, v216
	v_mov_b32_e32 v221, v216
	;; [unrolled: 1-line block ×4, first 2 shown]
	v_cmp_eq_u32_e64 s4, 0, v252
	v_cmp_eq_u32_e64 s5, 0, v163
	;; [unrolled: 1-line block ×3, first 2 shown]
	v_add_nc_u32_e32 v205, 0x400, v253
	s_add_i32 s56, s56, -1
	s_delay_alu instid0(SALU_CYCLE_1)
	s_cmp_lg_u32 s56, 0
	s_waitcnt vmcnt(0)
	ds_store_b128 v168, v[0:3]
	v_add_co_u32 v0, vcc_lo, v152, v239
	v_add_co_ci_u32_e32 v1, vcc_lo, 0, v191, vcc_lo
	global_load_b128 v[0:3], v[0:1], off
	s_waitcnt vmcnt(0)
	ds_store_b128 v170, v[0:3]
	v_add_co_u32 v0, vcc_lo, v192, v202
	v_add_co_ci_u32_e32 v1, vcc_lo, 0, v224, vcc_lo
	global_load_b128 v[0:3], v[0:1], off
	s_waitcnt vmcnt(0)
	ds_store_b128 v171, v[0:3]
	v_add_co_u32 v0, vcc_lo, v225, v202
	v_add_co_ci_u32_e32 v1, vcc_lo, 0, v129, vcc_lo
	global_load_b128 v[0:3], v[0:1], off
	s_waitcnt vmcnt(0)
	ds_store_b128 v249, v[0:3]
	v_add_co_u32 v0, vcc_lo, v125, v202
	v_add_co_ci_u32_e32 v1, vcc_lo, 0, v150, vcc_lo
	global_load_b128 v[0:3], v[0:1], off
	s_waitcnt vmcnt(0)
	ds_store_b128 v250, v[0:3]
	v_add_co_u32 v0, vcc_lo, v119, v202
	v_add_co_ci_u32_e32 v1, vcc_lo, 0, v134, vcc_lo
	global_load_b128 v[0:3], v[0:1], off
	s_waitcnt vmcnt(0)
	ds_store_b128 v251, v[0:3]
	s_waitcnt lgkmcnt(0)
	s_barrier
	buffer_gl0_inv
	ds_load_b128 v[82:85], v175
	ds_load_b128 v[86:89], v175 offset:16
	ds_load_b128 v[240:243], v175 offset:32
	;; [unrolled: 1-line block ×3, first 2 shown]
	v_dual_mov_b32 v0, v216 :: v_dual_mov_b32 v1, v217
	v_dual_mov_b32 v2, v218 :: v_dual_mov_b32 v3, v219
	;; [unrolled: 1-line block ×4, first 2 shown]
	s_waitcnt lgkmcnt(2)
	s_delay_alu instid0(VALU_DEP_1)
	v_wmma_f32_16x16x16_f16 v[0:7], v[82:89], v[40:47], v[0:7]
	ds_load_b128 v[82:85], v175 offset:64
	ds_load_b128 v[86:89], v175 offset:80
	s_waitcnt lgkmcnt(2)
	v_wmma_f32_16x16x16_f16 v[0:7], v[240:247], v[32:39], v[0:7]
	s_waitcnt lgkmcnt(0)
	s_delay_alu instid0(VALU_DEP_1)
	v_wmma_f32_16x16x16_f16 v[0:7], v[82:89], v[48:55], v[0:7]
	ds_load_b128 v[82:85], v175 offset:96
	ds_load_b128 v[86:89], v175 offset:112
	s_waitcnt lgkmcnt(0)
	v_wmma_f32_16x16x16_f16 v[0:7], v[82:89], v[56:63], v[0:7]
	ds_load_b128 v[82:85], v175 offset:128
	ds_load_b128 v[86:89], v175 offset:144
	s_waitcnt lgkmcnt(0)
	;; [unrolled: 4-line block ×3, first 2 shown]
	s_barrier
	buffer_gl0_inv
	v_wmma_f32_16x16x16_f16 v[0:7], v[82:89], v[72:79], v[0:7]
	ds_load_u16 v82, v172 offset:6656
	ds_load_u16 v83, v172 offset:6660
	;; [unrolled: 1-line block ×8, first 2 shown]
	s_waitcnt lgkmcnt(7)
	v_cvt_f32_f16_e32 v82, v82
	s_delay_alu instid0(VALU_DEP_1) | instskip(SKIP_2) | instid1(VALU_DEP_1)
	v_add_f32_e32 v0, v0, v82
	s_waitcnt lgkmcnt(6)
	v_cvt_f32_f16_e32 v82, v83
	v_add_f32_e32 v1, v1, v82
	s_waitcnt lgkmcnt(5)
	v_cvt_f32_f16_e32 v82, v84
	s_delay_alu instid0(VALU_DEP_1) | instskip(SKIP_2) | instid1(VALU_DEP_1)
	v_dual_add_f32 v83, 0x40051340, v1 :: v_dual_add_f32 v2, v2, v82
	s_waitcnt lgkmcnt(4)
	v_cvt_f32_f16_e32 v82, v85
	v_add_f32_e32 v3, v3, v82
	s_waitcnt lgkmcnt(3)
	v_cvt_f32_f16_e32 v82, v86
	s_delay_alu instid0(VALU_DEP_2) | instskip(NEXT) | instid1(VALU_DEP_2)
	v_add_f32_e32 v84, 0x40051340, v3
	v_add_f32_e32 v4, v4, v82
	s_waitcnt lgkmcnt(2)
	v_cvt_f32_f16_e32 v82, v87
	s_delay_alu instid0(VALU_DEP_1) | instskip(SKIP_2) | instid1(VALU_DEP_1)
	v_add_f32_e32 v5, v5, v82
	s_waitcnt lgkmcnt(1)
	v_cvt_f32_f16_e32 v82, v88
	v_add_f32_e32 v6, v6, v82
	s_waitcnt lgkmcnt(0)
	v_cvt_f32_f16_e32 v82, v89
	s_delay_alu instid0(VALU_DEP_1) | instskip(NEXT) | instid1(VALU_DEP_1)
	v_dual_add_f32 v7, v7, v82 :: v_dual_add_f32 v82, 0x40051340, v0
	v_max3_f32 v82, v81, v82, v83
	v_add_f32_e32 v83, 0x40051340, v2
	s_delay_alu instid0(VALU_DEP_1) | instskip(SKIP_1) | instid1(VALU_DEP_1)
	v_max3_f32 v82, v82, v83, v84
	v_dual_add_f32 v83, 0x40051340, v4 :: v_dual_add_f32 v84, 0x40051340, v5
	v_max3_f32 v82, v82, v83, v84
	v_dual_add_f32 v83, 0x40051340, v6 :: v_dual_add_f32 v84, 0x40051340, v7
	s_delay_alu instid0(VALU_DEP_1) | instskip(SKIP_3) | instid1(VALU_DEP_1)
	v_max3_f32 v82, v82, v83, v84
	ds_bpermute_b32 v83, v195, v82
	s_waitcnt lgkmcnt(0)
	v_max_f32_e32 v83, v83, v83
	v_max_f32_e32 v136, v82, v83
	s_delay_alu instid0(VALU_DEP_1) | instskip(NEXT) | instid1(VALU_DEP_1)
	v_sub_f32_e32 v0, v0, v136
	v_mul_f32_e32 v82, 0x3fb8aa3b, v0
	v_cmp_ngt_f32_e32 vcc_lo, 0xc2ce8ed0, v0
	s_delay_alu instid0(VALU_DEP_2) | instskip(SKIP_1) | instid1(VALU_DEP_2)
	v_fma_f32 v83, 0x3fb8aa3b, v0, -v82
	v_rndne_f32_e32 v84, v82
	v_fmac_f32_e32 v83, 0x32a5705f, v0
	v_sub_f32_e32 v1, v1, v136
	s_delay_alu instid0(VALU_DEP_3) | instskip(SKIP_3) | instid1(VALU_DEP_4)
	v_sub_f32_e32 v82, v82, v84
	v_sub_f32_e32 v3, v3, v136
	;; [unrolled: 1-line block ×4, first 2 shown]
	v_dual_sub_f32 v7, v7, v136 :: v_dual_add_f32 v82, v82, v83
	v_cvt_i32_f32_e32 v83, v84
	v_sub_f32_e32 v2, v2, v136
	v_sub_f32_e32 v5, v5, v136
	;; [unrolled: 1-line block ×3, first 2 shown]
	v_exp_f32_e32 v82, v82
	s_waitcnt_depctr 0xfff
	v_ldexp_f32 v82, v82, v83
	s_delay_alu instid0(VALU_DEP_1) | instskip(SKIP_1) | instid1(VALU_DEP_2)
	v_cndmask_b32_e32 v82, 0, v82, vcc_lo
	v_cmp_nlt_f32_e32 vcc_lo, 0x42b17218, v0
	v_cndmask_b32_e32 v0, 0x7f800000, v82, vcc_lo
	v_mul_f32_e32 v82, 0x3fb8aa3b, v1
	s_delay_alu instid0(VALU_DEP_1) | instskip(SKIP_1) | instid1(VALU_DEP_1)
	v_fma_f32 v83, 0x3fb8aa3b, v1, -v82
	v_rndne_f32_e32 v84, v82
	v_dual_fmac_f32 v83, 0x32a5705f, v1 :: v_dual_sub_f32 v82, v82, v84
	s_delay_alu instid0(VALU_DEP_1) | instskip(SKIP_2) | instid1(VALU_DEP_3)
	v_add_f32_e32 v82, v82, v83
	v_cvt_i32_f32_e32 v83, v84
	v_cmp_ngt_f32_e32 vcc_lo, 0xc2ce8ed0, v1
	v_exp_f32_e32 v82, v82
	s_waitcnt_depctr 0xfff
	v_ldexp_f32 v82, v82, v83
	v_mul_f32_e32 v83, 0x3fb8aa3b, v2
	s_delay_alu instid0(VALU_DEP_2) | instskip(SKIP_1) | instid1(VALU_DEP_3)
	v_cndmask_b32_e32 v82, 0, v82, vcc_lo
	v_cmp_nlt_f32_e32 vcc_lo, 0x42b17218, v1
	v_fma_f32 v84, 0x3fb8aa3b, v2, -v83
	v_rndne_f32_e32 v85, v83
	s_delay_alu instid0(VALU_DEP_4) | instskip(NEXT) | instid1(VALU_DEP_2)
	v_cndmask_b32_e32 v1, 0x7f800000, v82, vcc_lo
	v_dual_fmac_f32 v84, 0x32a5705f, v2 :: v_dual_sub_f32 v83, v83, v85
	v_cmp_ngt_f32_e32 vcc_lo, 0xc2ce8ed0, v2
	s_delay_alu instid0(VALU_DEP_2) | instskip(SKIP_1) | instid1(VALU_DEP_2)
	v_add_f32_e32 v83, v83, v84
	v_cvt_i32_f32_e32 v84, v85
	v_exp_f32_e32 v83, v83
	s_waitcnt_depctr 0xfff
	v_ldexp_f32 v83, v83, v84
	s_delay_alu instid0(VALU_DEP_1) | instskip(SKIP_1) | instid1(VALU_DEP_2)
	v_cndmask_b32_e32 v83, 0, v83, vcc_lo
	v_cmp_nlt_f32_e32 vcc_lo, 0x42b17218, v2
	v_cndmask_b32_e32 v2, 0x7f800000, v83, vcc_lo
	v_mul_f32_e32 v83, 0x3fb8aa3b, v3
	v_cmp_ngt_f32_e32 vcc_lo, 0xc2ce8ed0, v3
	s_delay_alu instid0(VALU_DEP_2) | instskip(SKIP_1) | instid1(VALU_DEP_1)
	v_fma_f32 v84, 0x3fb8aa3b, v3, -v83
	v_rndne_f32_e32 v85, v83
	v_dual_fmac_f32 v84, 0x32a5705f, v3 :: v_dual_sub_f32 v83, v83, v85
	s_delay_alu instid0(VALU_DEP_1) | instskip(SKIP_1) | instid1(VALU_DEP_2)
	v_dual_add_f32 v82, v0, v1 :: v_dual_add_f32 v83, v83, v84
	v_cvt_i32_f32_e32 v84, v85
	v_exp_f32_e32 v83, v83
	s_waitcnt_depctr 0xfff
	v_ldexp_f32 v83, v83, v84
	s_delay_alu instid0(VALU_DEP_1) | instskip(SKIP_1) | instid1(VALU_DEP_2)
	v_cndmask_b32_e32 v83, 0, v83, vcc_lo
	v_cmp_nlt_f32_e32 vcc_lo, 0x42b17218, v3
	v_cndmask_b32_e32 v3, 0x7f800000, v83, vcc_lo
	v_mul_f32_e32 v83, 0x3fb8aa3b, v4
	v_cmp_ngt_f32_e32 vcc_lo, 0xc2ce8ed0, v4
	s_delay_alu instid0(VALU_DEP_2) | instskip(SKIP_1) | instid1(VALU_DEP_1)
	v_fma_f32 v84, 0x3fb8aa3b, v4, -v83
	v_rndne_f32_e32 v85, v83
	v_dual_fmac_f32 v84, 0x32a5705f, v4 :: v_dual_sub_f32 v83, v83, v85
	s_delay_alu instid0(VALU_DEP_1) | instskip(SKIP_1) | instid1(VALU_DEP_2)
	v_dual_add_f32 v82, v2, v82 :: v_dual_add_f32 v83, v83, v84
	v_cvt_i32_f32_e32 v84, v85
	v_exp_f32_e32 v83, v83
	s_waitcnt_depctr 0xfff
	v_ldexp_f32 v83, v83, v84
	s_delay_alu instid0(VALU_DEP_1) | instskip(SKIP_1) | instid1(VALU_DEP_2)
	v_dual_add_f32 v82, v3, v82 :: v_dual_cndmask_b32 v83, 0, v83
	v_cmp_nlt_f32_e32 vcc_lo, 0x42b17218, v4
	v_cndmask_b32_e32 v4, 0x7f800000, v83, vcc_lo
	v_cmp_ngt_f32_e32 vcc_lo, 0xc2ce8ed0, v5
	s_delay_alu instid0(VALU_DEP_2) | instskip(NEXT) | instid1(VALU_DEP_1)
	v_dual_add_f32 v82, v4, v82 :: v_dual_mul_f32 v83, 0x3fb8aa3b, v5
	v_fma_f32 v84, 0x3fb8aa3b, v5, -v83
	v_rndne_f32_e32 v85, v83
	s_delay_alu instid0(VALU_DEP_2) | instskip(NEXT) | instid1(VALU_DEP_2)
	v_fmac_f32_e32 v84, 0x32a5705f, v5
	v_sub_f32_e32 v83, v83, v85
	s_delay_alu instid0(VALU_DEP_1) | instskip(SKIP_1) | instid1(VALU_DEP_2)
	v_add_f32_e32 v83, v83, v84
	v_cvt_i32_f32_e32 v84, v85
	v_exp_f32_e32 v83, v83
	s_waitcnt_depctr 0xfff
	v_ldexp_f32 v83, v83, v84
	s_delay_alu instid0(VALU_DEP_1) | instskip(SKIP_1) | instid1(VALU_DEP_2)
	v_cndmask_b32_e32 v83, 0, v83, vcc_lo
	v_cmp_nlt_f32_e32 vcc_lo, 0x42b17218, v5
	v_cndmask_b32_e32 v5, 0x7f800000, v83, vcc_lo
	v_mul_f32_e32 v83, 0x3fb8aa3b, v6
	s_delay_alu instid0(VALU_DEP_2) | instskip(NEXT) | instid1(VALU_DEP_2)
	v_add_f32_e32 v82, v5, v82
	v_fma_f32 v84, 0x3fb8aa3b, v6, -v83
	v_rndne_f32_e32 v85, v83
	s_delay_alu instid0(VALU_DEP_1) | instskip(SKIP_1) | instid1(VALU_DEP_2)
	v_dual_sub_f32 v83, v83, v85 :: v_dual_fmac_f32 v84, 0x32a5705f, v6
	v_cmp_ngt_f32_e32 vcc_lo, 0xc2ce8ed0, v6
	v_add_f32_e32 v83, v83, v84
	v_cvt_i32_f32_e32 v84, v85
	s_delay_alu instid0(VALU_DEP_2) | instskip(SKIP_2) | instid1(VALU_DEP_1)
	v_exp_f32_e32 v83, v83
	s_waitcnt_depctr 0xfff
	v_ldexp_f32 v83, v83, v84
	v_cndmask_b32_e32 v83, 0, v83, vcc_lo
	v_cmp_nlt_f32_e32 vcc_lo, 0x42b17218, v6
	s_delay_alu instid0(VALU_DEP_2) | instskip(SKIP_2) | instid1(VALU_DEP_2)
	v_cndmask_b32_e32 v6, 0x7f800000, v83, vcc_lo
	v_mul_f32_e32 v83, 0x3fb8aa3b, v7
	v_cmp_ngt_f32_e32 vcc_lo, 0xc2ce8ed0, v7
	v_fma_f32 v84, 0x3fb8aa3b, v7, -v83
	v_rndne_f32_e32 v85, v83
	s_delay_alu instid0(VALU_DEP_1) | instskip(NEXT) | instid1(VALU_DEP_1)
	v_dual_fmac_f32 v84, 0x32a5705f, v7 :: v_dual_sub_f32 v83, v83, v85
	v_dual_add_f32 v82, v6, v82 :: v_dual_add_f32 v83, v83, v84
	v_cvt_i32_f32_e32 v84, v85
	s_delay_alu instid0(VALU_DEP_2) | instskip(SKIP_2) | instid1(VALU_DEP_1)
	v_exp_f32_e32 v83, v83
	s_waitcnt_depctr 0xfff
	v_ldexp_f32 v83, v83, v84
	v_cndmask_b32_e32 v83, 0, v83, vcc_lo
	v_cmp_nlt_f32_e32 vcc_lo, 0x42b17218, v7
	s_delay_alu instid0(VALU_DEP_2) | instskip(SKIP_1) | instid1(VALU_DEP_2)
	v_cndmask_b32_e32 v7, 0x7f800000, v83, vcc_lo
	v_cmp_ngt_f32_e32 vcc_lo, 0xc2ce8ed0, v81
	v_add_f32_e32 v204, v7, v82
	v_mul_f32_e32 v82, 0x3fb8aa3b, v81
	s_delay_alu instid0(VALU_DEP_1) | instskip(SKIP_1) | instid1(VALU_DEP_1)
	v_fma_f32 v83, 0x3fb8aa3b, v81, -v82
	v_rndne_f32_e32 v84, v82
	v_dual_fmac_f32 v83, 0x32a5705f, v81 :: v_dual_sub_f32 v82, v82, v84
	s_delay_alu instid0(VALU_DEP_1) | instskip(SKIP_1) | instid1(VALU_DEP_2)
	v_add_f32_e32 v82, v82, v83
	v_cvt_i32_f32_e32 v83, v84
	v_exp_f32_e32 v82, v82
	s_waitcnt_depctr 0xfff
	v_ldexp_f32 v82, v82, v83
	s_delay_alu instid0(VALU_DEP_1) | instskip(SKIP_1) | instid1(VALU_DEP_2)
	v_cndmask_b32_e32 v82, 0, v82, vcc_lo
	v_cmp_nlt_f32_e32 vcc_lo, 0x42b17218, v81
	v_cndmask_b32_e32 v82, 0x7f800000, v82, vcc_lo
	v_cmp_le_f32_e32 vcc_lo, 0xc1a00000, v81
	s_delay_alu instid0(VALU_DEP_2) | instskip(SKIP_1) | instid1(VALU_DEP_2)
	v_cndmask_b32_e32 v81, 0, v82, vcc_lo
	v_cmp_eq_u32_e32 vcc_lo, 1, v252
	v_fmac_f32_e32 v204, v80, v81
	v_cvt_f16_f32_e32 v80, v81
	s_delay_alu instid0(VALU_DEP_1)
	v_pk_mul_f16 v24, v80, v24 op_sel_hi:[0,1]
	v_pk_mul_f16 v25, v80, v25 op_sel_hi:[0,1]
	;; [unrolled: 1-line block ×24, first 2 shown]
	ds_bpermute_b32 v80, v195, v0
	s_waitcnt lgkmcnt(0)
	v_cndmask_b32_e32 v81, v0, v80, vcc_lo
	v_cndmask_b32_e64 v0, v0, v80, s4
	s_delay_alu instid0(VALU_DEP_2) | instskip(NEXT) | instid1(VALU_DEP_2)
	v_cvt_f16_f32_e32 v82, v81
	v_cvt_f16_f32_e32 v80, v0
	v_cndmask_b32_e64 v0, v0, v1, s5
	v_cndmask_b32_e64 v81, v81, v1, s6
	ds_bpermute_b32 v1, v195, v1
	v_pack_b32_f16 v80, v80, v82
	s_waitcnt lgkmcnt(0)
	v_cndmask_b32_e32 v82, v81, v1, vcc_lo
	v_cndmask_b32_e64 v0, v0, v1, s4
	s_delay_alu instid0(VALU_DEP_2) | instskip(NEXT) | instid1(VALU_DEP_2)
	v_cvt_f16_f32_e32 v81, v82
	v_cvt_f16_f32_e32 v1, v0
	v_cndmask_b32_e64 v0, v0, v2, s5
	s_delay_alu instid0(VALU_DEP_2)
	v_pack_b32_f16 v81, v1, v81
	v_cndmask_b32_e64 v1, v82, v2, s6
	ds_bpermute_b32 v2, v195, v2
	s_waitcnt lgkmcnt(0)
	v_cndmask_b32_e32 v1, v1, v2, vcc_lo
	v_cndmask_b32_e64 v0, v0, v2, s4
	s_delay_alu instid0(VALU_DEP_2) | instskip(NEXT) | instid1(VALU_DEP_2)
	v_cvt_f16_f32_e32 v82, v1
	v_cvt_f16_f32_e32 v2, v0
	v_cndmask_b32_e64 v0, v0, v3, s5
	v_cndmask_b32_e64 v1, v1, v3, s6
	s_delay_alu instid0(VALU_DEP_3) | instskip(SKIP_4) | instid1(VALU_DEP_2)
	v_pack_b32_f16 v82, v2, v82
	ds_bpermute_b32 v2, v195, v3
	s_waitcnt lgkmcnt(0)
	v_cndmask_b32_e32 v1, v1, v2, vcc_lo
	v_cndmask_b32_e64 v0, v0, v2, s4
	v_cvt_f16_f32_e32 v3, v1
	s_delay_alu instid0(VALU_DEP_2) | instskip(SKIP_2) | instid1(VALU_DEP_3)
	v_cvt_f16_f32_e32 v2, v0
	v_cndmask_b32_e64 v0, v0, v4, s5
	v_cndmask_b32_e64 v1, v1, v4, s6
	v_pack_b32_f16 v83, v2, v3
	ds_bpermute_b32 v2, v195, v4
	s_waitcnt lgkmcnt(0)
	v_cndmask_b32_e32 v1, v1, v2, vcc_lo
	v_cndmask_b32_e64 v0, v0, v2, s4
	s_delay_alu instid0(VALU_DEP_2) | instskip(NEXT) | instid1(VALU_DEP_2)
	v_cvt_f16_f32_e32 v3, v1
	v_cvt_f16_f32_e32 v2, v0
	v_cndmask_b32_e64 v0, v0, v5, s5
	v_cndmask_b32_e64 v1, v1, v5, s6
	s_delay_alu instid0(VALU_DEP_3) | instskip(SKIP_4) | instid1(VALU_DEP_2)
	v_pack_b32_f16 v84, v2, v3
	ds_bpermute_b32 v2, v195, v5
	s_waitcnt lgkmcnt(0)
	v_cndmask_b32_e32 v1, v1, v2, vcc_lo
	v_cndmask_b32_e64 v0, v0, v2, s4
	v_cvt_f16_f32_e32 v3, v1
	s_delay_alu instid0(VALU_DEP_2) | instskip(SKIP_2) | instid1(VALU_DEP_3)
	v_cvt_f16_f32_e32 v2, v0
	v_cndmask_b32_e64 v0, v0, v6, s5
	v_cndmask_b32_e64 v1, v1, v6, s6
	v_pack_b32_f16 v85, v2, v3
	ds_bpermute_b32 v2, v195, v6
	s_waitcnt lgkmcnt(0)
	v_cndmask_b32_e32 v1, v1, v2, vcc_lo
	v_cndmask_b32_e64 v0, v0, v2, s4
	s_delay_alu instid0(VALU_DEP_2) | instskip(NEXT) | instid1(VALU_DEP_2)
	v_cvt_f16_f32_e32 v3, v1
	v_cvt_f16_f32_e32 v2, v0
	v_cndmask_b32_e64 v0, v0, v7, s5
	v_cndmask_b32_e64 v1, v1, v7, s6
	s_delay_alu instid0(VALU_DEP_3)
	v_pack_b32_f16 v86, v2, v3
	ds_bpermute_b32 v2, v195, v7
	v_add_nc_u32_e32 v7, 0xa00, v253
	s_waitcnt lgkmcnt(0)
	v_cndmask_b32_e32 v1, v1, v2, vcc_lo
	v_cndmask_b32_e64 v0, v0, v2, s4
	s_delay_alu instid0(VALU_DEP_2) | instskip(NEXT) | instid1(VALU_DEP_2)
	v_cvt_f16_f32_e32 v1, v1
	v_cvt_f16_f32_e32 v0, v0
	s_delay_alu instid0(VALU_DEP_1)
	v_pack_b32_f16 v87, v0, v1
	v_add_co_u32 v0, vcc_lo, v196, v239
	v_add_co_ci_u32_e32 v1, vcc_lo, 0, v228, vcc_lo
	global_load_b128 v[0:3], v[0:1], off
	s_waitcnt vmcnt(0)
	ds_store_b128 v168, v[0:3]
	v_add_co_u32 v0, vcc_lo, v229, v239
	v_add_co_ci_u32_e32 v1, vcc_lo, 0, v230, vcc_lo
	global_load_b128 v[0:3], v[0:1], off
	s_waitcnt vmcnt(0)
	ds_store_b128 v170, v[0:3]
	v_add_co_u32 v0, vcc_lo, v209, v202
	v_add_co_ci_u32_e32 v1, vcc_lo, 0, v121, vcc_lo
	global_load_b128 v[0:3], v[0:1], off
	s_waitcnt vmcnt(0)
	ds_store_b128 v171, v[0:3]
	v_add_co_u32 v0, vcc_lo, v193, v202
	v_add_co_ci_u32_e32 v1, vcc_lo, 0, v194, vcc_lo
	global_load_b128 v[0:3], v[0:1], off
	s_waitcnt vmcnt(0)
	ds_store_b128 v249, v[0:3]
	v_add_co_u32 v0, vcc_lo, v226, v202
	v_add_co_ci_u32_e32 v1, vcc_lo, 0, v227, vcc_lo
	global_load_b128 v[0:3], v[0:1], off
	s_waitcnt vmcnt(0)
	ds_store_b128 v250, v[0:3]
	v_add_co_u32 v0, vcc_lo, v208, v202
	v_add_co_ci_u32_e32 v1, vcc_lo, 0, v203, vcc_lo
	v_add_co_u32 v147, vcc_lo, v147, 64
	v_add_co_ci_u32_e32 v148, vcc_lo, 0, v148, vcc_lo
	global_load_b128 v[0:3], v[0:1], off
	v_add_co_u32 v196, vcc_lo, v196, s60
	v_add_co_ci_u32_e32 v228, vcc_lo, s61, v228, vcc_lo
	v_add_co_u32 v229, vcc_lo, v229, s60
	v_add_co_ci_u32_e32 v230, vcc_lo, s61, v230, vcc_lo
	;; [unrolled: 2-line block ×12, first 2 shown]
	s_waitcnt vmcnt(0)
	ds_store_b128 v251, v[0:3]
	s_waitcnt lgkmcnt(0)
	s_barrier
	buffer_gl0_inv
	ds_load_2addr_b32 v[88:89], v253 offset1:16
	ds_load_2addr_b32 v[217:218], v253 offset0:32 offset1:52
	v_add_nc_u32_e32 v2, 0x200, v253
	s_waitcnt lgkmcnt(0)
	v_perm_b32 v0, v218, v88, 0x5040100
	v_perm_b32 v240, v218, v88, 0x7060302
	ds_load_2addr_b32 v[218:219], v253 offset0:104 offset1:120
	ds_load_2addr_b32 v[220:221], v253 offset0:136 offset1:156
	;; [unrolled: 1-line block ×3, first 2 shown]
	s_waitcnt lgkmcnt(1)
	v_perm_b32 v1, v221, v218, 0x5040100
	v_perm_b32 v241, v221, v218, 0x7060302
	ds_load_2addr_b32 v[221:222], v205 offset0:56 offset1:72
	ds_load_2addr_b32 v[156:157], v205 offset0:88 offset1:108
	s_waitcnt lgkmcnt(2)
	v_perm_b32 v2, v4, v3, 0x5040100
	v_perm_b32 v242, v4, v3, 0x7060302
	ds_load_2addr_b32 v[5:6], v205 offset0:160 offset1:212
	s_waitcnt lgkmcnt(1)
	v_perm_b32 v3, v157, v221, 0x5040100
	v_perm_b32 v243, v157, v221, 0x7060302
	v_add_nc_u32_e32 v157, 0x800, v253
	ds_load_2addr_b32 v[154:155], v157 offset0:8 offset1:24
	ds_load_2addr_b32 v[235:236], v157 offset0:40 offset1:60
	s_waitcnt lgkmcnt(2)
	v_perm_b32 v4, v6, v5, 0x5040100
	v_perm_b32 v244, v6, v5, 0x7060302
	ds_load_2addr_b32 v[246:247], v157 offset0:112 offset1:164
	ds_load_2addr_b32 v[206:207], v157 offset0:216 offset1:232
	s_waitcnt lgkmcnt(2)
	v_perm_b32 v5, v236, v154, 0x5040100
	v_perm_b32 v245, v236, v154, 0x7060302
	ds_load_2addr_b32 v[236:237], v7 offset0:120 offset1:140
	s_waitcnt lgkmcnt(2)
	v_perm_b32 v6, v247, v246, 0x5040100
	v_perm_b32 v246, v247, v246, 0x7060302
	s_waitcnt lgkmcnt(0)
	v_perm_b32 v7, v237, v206, 0x5040100
	v_perm_b32 v247, v237, v206, 0x7060302
	ds_load_2addr_b32 v[237:238], v253 offset0:68 offset1:84
	v_wmma_f16_16x16x16_f16 v[24:31], v[0:7], v[80:87], v[24:31]
	v_add_nc_u32_e32 v2, 0x300, v176
	s_delay_alu instid0(VALU_DEP_2)
	v_wmma_f16_16x16x16_f16 v[24:31], v[240:247], v[80:87], v[24:31] op_sel:[0,0,1]
	s_waitcnt lgkmcnt(0)
	v_perm_b32 v0, v237, v89, 0x5040100
	v_perm_b32 v240, v237, v89, 0x7060302
	ds_load_2addr_b32 v[88:89], v253 offset0:172 offset1:188
	s_waitcnt lgkmcnt(0)
	v_perm_b32 v1, v88, v219, 0x5040100
	v_perm_b32 v241, v88, v219, 0x7060302
	ds_load_2addr_b32 v[4:5], v2 offset0:16 offset1:224
	ds_load_2addr_b32 v[218:219], v205 offset0:20 offset1:36
	;; [unrolled: 1-line block ×4, first 2 shown]
	s_waitcnt lgkmcnt(2)
	v_perm_b32 v2, v218, v4, 0x5040100
	s_waitcnt lgkmcnt(1)
	v_perm_b32 v3, v199, v222, 0x5040100
	v_perm_b32 v243, v199, v222, 0x7060302
	ds_load_2addr_b32 v[221:222], v205 offset0:228 offset1:244
	v_perm_b32 v242, v218, v4, 0x7060302
	s_waitcnt lgkmcnt(1)
	v_perm_b32 v245, v233, v155, 0x7060302
	s_waitcnt lgkmcnt(0)
	v_perm_b32 v4, v221, v5, 0x5040100
	v_perm_b32 v244, v221, v5, 0x7060302
	;; [unrolled: 1-line block ×3, first 2 shown]
	ds_load_b32 v7, v176 offset:2496
	ds_load_2addr_b32 v[154:155], v157 offset0:180 offset1:196
	s_waitcnt lgkmcnt(0)
	v_perm_b32 v6, v154, v7, 0x5040100
	v_perm_b32 v246, v154, v7, 0x7060302
	v_add_nc_u32_e32 v7, 0xc00, v253
	ds_load_2addr_b32 v[205:206], v7 offset0:28 offset1:44
	s_waitcnt lgkmcnt(0)
	v_perm_b32 v7, v205, v207, 0x5040100
	v_perm_b32 v247, v205, v207, 0x7060302
	s_delay_alu instid0(VALU_DEP_2)
	v_wmma_f16_16x16x16_f16 v[16:23], v[0:7], v[80:87], v[16:23]
	v_add_nc_u32_e32 v2, 0x300, v177
	ds_load_b32 v7, v177 offset:2496
	v_perm_b32 v0, v238, v217, 0x5040100
	v_perm_b32 v1, v89, v220, 0x5040100
	v_wmma_f16_16x16x16_f16 v[16:23], v[240:247], v[80:87], v[16:23] op_sel:[0,0,1]
	ds_load_2addr_b32 v[4:5], v2 offset0:16 offset1:224
	v_perm_b32 v3, v200, v156, 0x5040100
	v_perm_b32 v240, v238, v217, 0x7060302
	;; [unrolled: 1-line block ×6, first 2 shown]
	s_waitcnt lgkmcnt(0)
	s_barrier
	buffer_gl0_inv
	v_perm_b32 v6, v155, v7, 0x5040100
	v_perm_b32 v246, v155, v7, 0x7060302
	;; [unrolled: 1-line block ×8, first 2 shown]
	s_delay_alu instid0(VALU_DEP_1) | instskip(NEXT) | instid1(VALU_DEP_1)
	v_wmma_f16_16x16x16_f16 v[8:15], v[0:7], v[80:87], v[8:15]
	v_wmma_f16_16x16x16_f16 v[8:15], v[240:247], v[80:87], v[8:15] op_sel:[0,0,1]
	s_cbranch_scc0 .LBB14_252
; %bb.250:                              ;   in Loop: Header=BB14_249 Depth=2
	v_mov_b32_e32 v80, v204
	v_mov_b32_e32 v81, v136
	s_and_saveexec_b32 s4, s0
	s_cbranch_execnz .LBB14_248
	s_branch .LBB14_249
.LBB14_251:                             ;   in Loop: Header=BB14_12 Depth=1
	v_dual_mov_b32 v204, 0 :: v_dual_mov_b32 v13, 0
	v_dual_mov_b32 v136, 0xfeffffff :: v_dual_mov_b32 v11, 0
	v_dual_mov_b32 v14, 0 :: v_dual_mov_b32 v9, 0
	v_dual_mov_b32 v12, 0 :: v_dual_mov_b32 v23, 0
	v_dual_mov_b32 v10, 0 :: v_dual_mov_b32 v21, 0
	v_dual_mov_b32 v8, 0 :: v_dual_mov_b32 v19, 0
	v_dual_mov_b32 v22, 0 :: v_dual_mov_b32 v17, 0
	v_dual_mov_b32 v20, 0 :: v_dual_mov_b32 v31, 0
	v_dual_mov_b32 v18, 0 :: v_dual_mov_b32 v29, 0
	v_dual_mov_b32 v16, 0 :: v_dual_mov_b32 v27, 0
	v_dual_mov_b32 v30, 0 :: v_dual_mov_b32 v25, 0
	v_mov_b32_e32 v28, 0
	v_mov_b32_e32 v26, 0
	v_mov_b32_e32 v24, 0
.LBB14_252:                             ;   in Loop: Header=BB14_12 Depth=1
	s_lshl_b32 s56, s7, 5
	s_and_saveexec_b32 s4, s0
	s_cbranch_execz .LBB14_254
; %bb.253:                              ;   in Loop: Header=BB14_12 Depth=1
	v_add_nc_u32_e32 v0, s89, v149
	s_lshl_b64 s[6:7], s[56:57], 1
	v_lshlrev_b32_e32 v4, 1, v164
	s_delay_alu instid0(VALU_DEP_2) | instskip(NEXT) | instid1(VALU_DEP_1)
	v_lshl_or_b32 v0, v0, 1, v163
	v_mul_hi_u32 v1, s12, v0
	s_delay_alu instid0(VALU_DEP_1) | instskip(NEXT) | instid1(VALU_DEP_1)
	v_add_nc_u32_e32 v1, v0, v1
	v_lshrrev_b32_e32 v1, s13, v1
	s_delay_alu instid0(VALU_DEP_1) | instskip(NEXT) | instid1(VALU_DEP_1)
	v_mul_lo_u32 v1, v1, s8
	v_sub_nc_u32_e32 v2, v0, v1
	s_delay_alu instid0(VALU_DEP_1) | instskip(SKIP_2) | instid1(VALU_DEP_3)
	v_mad_i64_i32 v[0:1], null, v2, s40, 0
	v_add_co_u32 v2, vcc_lo, v232, s6
	v_add_co_ci_u32_e32 v3, vcc_lo, s7, v128, vcc_lo
	v_lshlrev_b64 v[0:1], 1, v[0:1]
	s_delay_alu instid0(VALU_DEP_1) | instskip(NEXT) | instid1(VALU_DEP_2)
	v_add_co_u32 v0, vcc_lo, v2, v0
	v_add_co_ci_u32_e32 v1, vcc_lo, v3, v1, vcc_lo
	s_delay_alu instid0(VALU_DEP_2) | instskip(NEXT) | instid1(VALU_DEP_2)
	v_add_co_u32 v0, vcc_lo, v0, v4
	v_add_co_ci_u32_e32 v1, vcc_lo, 0, v1, vcc_lo
	global_load_b32 v0, v[0:1], off
	s_waitcnt vmcnt(0)
	ds_store_b32 v167, v0 offset:6656
.LBB14_254:                             ;   in Loop: Header=BB14_12 Depth=1
	s_or_b32 exec_lo, exec_lo, s4
	s_mul_i32 s5, s56, s35
	s_mul_hi_u32 s6, s56, s34
	s_mul_i32 s4, s56, s34
	s_add_i32 s5, s6, s5
	v_dual_mov_b32 v217, v216 :: v_dual_lshlrev_b32 v80, 2, v166
	s_lshl_b64 s[4:5], s[4:5], 2
	v_dual_mov_b32 v218, v216 :: v_dual_lshlrev_b32 v81, 2, v169
	s_add_u32 s4, s90, s4
	s_addc_u32 s5, s91, s5
	v_add_co_u32 v0, vcc_lo, s4, v97
	v_add_co_ci_u32_e32 v2, vcc_lo, s5, v98, vcc_lo
	v_mov_b32_e32 v219, v216
	s_delay_alu instid0(VALU_DEP_3) | instskip(NEXT) | instid1(VALU_DEP_3)
	v_add_co_u32 v1, vcc_lo, v0, v80
	v_add_co_ci_u32_e32 v2, vcc_lo, 0, v2, vcc_lo
	v_add_co_u32 v0, vcc_lo, s4, v109
	v_add_co_ci_u32_e32 v3, vcc_lo, s5, v110, vcc_lo
	v_mov_b32_e32 v220, v216
	s_delay_alu instid0(VALU_DEP_3) | instskip(NEXT) | instid1(VALU_DEP_3)
	v_add_co_u32 v4, vcc_lo, v0, v80
	v_add_co_ci_u32_e32 v5, vcc_lo, 0, v3, vcc_lo
	s_clause 0x1
	global_load_b128 v[0:3], v[1:2], off offset:128
	global_load_b128 v[4:7], v[4:5], off offset:128
	v_mov_b32_e32 v221, v216
	v_mov_b32_e32 v222, v216
	;; [unrolled: 1-line block ×3, first 2 shown]
	v_dual_mov_b32 v82, v216 :: v_dual_mov_b32 v83, v217
	v_dual_mov_b32 v84, v218 :: v_dual_mov_b32 v85, v219
	;; [unrolled: 1-line block ×3, first 2 shown]
	s_delay_alu instid0(VALU_DEP_4)
	v_dual_mov_b32 v88, v222 :: v_dual_mov_b32 v89, v223
	s_mul_hi_u32 s6, s56, s10
	s_waitcnt vmcnt(1)
	ds_store_b128 v168, v[0:3]
	s_waitcnt vmcnt(0)
	ds_store_b128 v170, v[4:7]
	v_add_co_u32 v0, vcc_lo, s4, v111
	v_add_co_ci_u32_e32 v1, vcc_lo, s5, v112, vcc_lo
	s_delay_alu instid0(VALU_DEP_2) | instskip(NEXT) | instid1(VALU_DEP_2)
	v_add_co_u32 v0, vcc_lo, v0, v81
	v_add_co_ci_u32_e32 v1, vcc_lo, 0, v1, vcc_lo
	v_add_co_u32 v2, vcc_lo, s4, v113
	v_add_co_ci_u32_e32 v3, vcc_lo, s5, v114, vcc_lo
	s_delay_alu instid0(VALU_DEP_2) | instskip(NEXT) | instid1(VALU_DEP_2)
	v_add_co_u32 v4, vcc_lo, v2, v81
	v_add_co_ci_u32_e32 v5, vcc_lo, 0, v3, vcc_lo
	s_clause 0x1
	global_load_b128 v[0:3], v[0:1], off
	global_load_b128 v[4:7], v[4:5], off
	s_waitcnt vmcnt(1)
	ds_store_b128 v171, v[0:3]
	s_waitcnt vmcnt(0)
	ds_store_b128 v249, v[4:7]
	v_add_co_u32 v0, vcc_lo, s4, v115
	v_add_co_ci_u32_e32 v1, vcc_lo, s5, v116, vcc_lo
	s_delay_alu instid0(VALU_DEP_2) | instskip(NEXT) | instid1(VALU_DEP_2)
	v_add_co_u32 v0, vcc_lo, v0, v81
	v_add_co_ci_u32_e32 v1, vcc_lo, 0, v1, vcc_lo
	v_add_co_u32 v2, vcc_lo, s4, v117
	v_add_co_ci_u32_e32 v3, vcc_lo, s5, v118, vcc_lo
	s_mul_i32 s5, s56, s11
	s_delay_alu instid0(VALU_DEP_2) | instskip(NEXT) | instid1(VALU_DEP_2)
	v_add_co_u32 v4, vcc_lo, v2, v81
	v_add_co_ci_u32_e32 v5, vcc_lo, 0, v3, vcc_lo
	s_clause 0x1
	global_load_b128 v[0:3], v[0:1], off
	global_load_b128 v[4:7], v[4:5], off
	v_cmp_gt_i32_e32 vcc_lo, 32, v122
	s_mul_i32 s4, s56, s10
	s_add_i32 s5, s6, s5
	v_cmp_eq_u32_e64 s6, 1, v163
	s_lshl_b64 s[4:5], s[4:5], 2
	s_waitcnt vmcnt(1)
	ds_store_b128 v250, v[0:3]
	s_waitcnt vmcnt(0)
	ds_store_b128 v251, v[4:7]
	s_waitcnt lgkmcnt(0)
	s_barrier
	buffer_gl0_inv
	ds_load_b128 v[0:3], v175
	ds_load_b128 v[4:7], v175 offset:16
	s_add_u32 s4, s87, s4
	s_addc_u32 s5, s88, s5
	s_cmp_lg_u64 s[64:65], 0
	s_waitcnt lgkmcnt(0)
	v_wmma_f32_16x16x16_f16 v[82:89], v[0:7], v[40:47], v[82:89]
	ds_load_b128 v[0:3], v175 offset:32
	ds_load_b128 v[4:7], v175 offset:48
	s_waitcnt lgkmcnt(0)
	v_wmma_f32_16x16x16_f16 v[82:89], v[0:7], v[32:39], v[82:89]
	ds_load_b128 v[0:3], v175 offset:64
	ds_load_b128 v[4:7], v175 offset:80
	;; [unrolled: 4-line block ×4, first 2 shown]
	v_add_nc_u32_e32 v56, 0xa00, v253
	s_waitcnt lgkmcnt(0)
	v_wmma_f32_16x16x16_f16 v[82:89], v[0:7], v[64:71], v[82:89]
	ds_load_b128 v[0:3], v175 offset:160
	ds_load_b128 v[4:7], v175 offset:176
	s_waitcnt lgkmcnt(0)
	s_barrier
	buffer_gl0_inv
	v_wmma_f32_16x16x16_f16 v[82:89], v[0:7], v[72:79], v[82:89]
	ds_load_u16 v0, v172 offset:6656
	ds_load_u16 v1, v172 offset:6660
	;; [unrolled: 1-line block ×8, first 2 shown]
	s_waitcnt lgkmcnt(7)
	v_cvt_f32_f16_e32 v0, v0
	s_waitcnt lgkmcnt(6)
	v_cvt_f32_f16_e32 v1, v1
	;; [unrolled: 2-line block ×5, first 2 shown]
	v_add_f32_e32 v0, v82, v0
	s_waitcnt lgkmcnt(1)
	v_cvt_f32_f16_e32 v6, v6
	v_add_f32_e32 v45, v83, v1
	v_cvt_f32_f16_e32 v5, v5
	v_dual_add_f32 v40, v84, v2 :: v_dual_add_f32 v37, v86, v4
	v_add_f32_e32 v39, v85, v3
	s_delay_alu instid0(VALU_DEP_4)
	v_dual_add_f32 v35, v88, v6 :: v_dual_add_f32 v2, 0x40051340, v45
	v_add_f32_e32 v1, 0x40051340, v0
	s_waitcnt lgkmcnt(0)
	v_cvt_f32_f16_e32 v7, v7
	v_dual_add_f32 v36, v87, v5 :: v_dual_add_f32 v3, 0x40051340, v39
	v_add_nc_u32_e32 v85, 0x800, v253
	v_max3_f32 v1, v136, v1, v2
	v_add_f32_e32 v2, 0x40051340, v40
	v_add_f32_e32 v34, v89, v7
	s_delay_alu instid0(VALU_DEP_2) | instskip(SKIP_1) | instid1(VALU_DEP_1)
	v_max3_f32 v1, v1, v2, v3
	v_dual_add_f32 v2, 0x40051340, v37 :: v_dual_add_f32 v3, 0x40051340, v36
	v_max3_f32 v1, v1, v2, v3
	s_delay_alu instid0(VALU_DEP_4) | instskip(NEXT) | instid1(VALU_DEP_1)
	v_dual_add_f32 v2, 0x40051340, v35 :: v_dual_add_f32 v3, 0x40051340, v34
	v_max3_f32 v1, v1, v2, v3
	v_cndmask_b32_e32 v2, v231, v122, vcc_lo
	s_delay_alu instid0(VALU_DEP_1) | instskip(SKIP_3) | instid1(VALU_DEP_1)
	v_lshlrev_b32_e32 v32, 2, v2
	ds_bpermute_b32 v2, v32, v1
	s_waitcnt lgkmcnt(0)
	v_max_f32_e32 v2, v2, v2
	v_max_f32_e32 v33, v1, v2
	s_delay_alu instid0(VALU_DEP_1) | instskip(NEXT) | instid1(VALU_DEP_1)
	v_sub_f32_e32 v1, v136, v33
	v_mul_f32_e32 v2, 0x3fb8aa3b, v1
	v_cmp_ngt_f32_e32 vcc_lo, 0xc2ce8ed0, v1
	v_sub_f32_e32 v0, v0, v33
	s_delay_alu instid0(VALU_DEP_3) | instskip(SKIP_1) | instid1(VALU_DEP_1)
	v_fma_f32 v3, 0x3fb8aa3b, v1, -v2
	v_rndne_f32_e32 v4, v2
	v_dual_fmac_f32 v3, 0x32a5705f, v1 :: v_dual_sub_f32 v2, v2, v4
	s_delay_alu instid0(VALU_DEP_1) | instskip(SKIP_1) | instid1(VALU_DEP_2)
	v_add_f32_e32 v2, v2, v3
	v_cvt_i32_f32_e32 v3, v4
	v_exp_f32_e32 v2, v2
	s_waitcnt_depctr 0xfff
	v_ldexp_f32 v2, v2, v3
	s_delay_alu instid0(VALU_DEP_1) | instskip(SKIP_1) | instid1(VALU_DEP_2)
	v_cndmask_b32_e32 v2, 0, v2, vcc_lo
	v_cmp_nlt_f32_e32 vcc_lo, 0x42b17218, v1
	v_cndmask_b32_e32 v2, 0x7f800000, v2, vcc_lo
	v_cmp_le_f32_e32 vcc_lo, 0xc1a00000, v1
	s_delay_alu instid0(VALU_DEP_2) | instskip(NEXT) | instid1(VALU_DEP_1)
	v_cndmask_b32_e32 v38, 0, v2, vcc_lo
	v_cvt_f16_f32_e32 v41, v38
	s_delay_alu instid0(VALU_DEP_1) | instskip(SKIP_3) | instid1(VALU_DEP_3)
	v_pk_mul_f16 v2, v41, v9 op_sel_hi:[0,1]
	v_add_co_u32 v9, vcc_lo, s4, v93
	v_pk_mul_f16 v3, v41, v10 op_sel_hi:[0,1]
	v_add_co_ci_u32_e32 v10, vcc_lo, s5, v94, vcc_lo
	v_add_co_u32 v9, vcc_lo, v9, v80
	v_pk_mul_f16 v4, v41, v11 op_sel_hi:[0,1]
	s_delay_alu instid0(VALU_DEP_3) | instskip(SKIP_4) | instid1(VALU_DEP_4)
	v_add_co_ci_u32_e32 v10, vcc_lo, 0, v10, vcc_lo
	v_add_co_u32 v11, vcc_lo, s4, v95
	v_pk_mul_f16 v5, v41, v12 op_sel_hi:[0,1]
	v_add_co_ci_u32_e32 v12, vcc_lo, s5, v96, vcc_lo
	v_pk_mul_f16 v6, v41, v13 op_sel_hi:[0,1]
	v_add_co_u32 v13, vcc_lo, v11, v80
	v_pk_mul_f16 v7, v41, v14 op_sel_hi:[0,1]
	s_delay_alu instid0(VALU_DEP_4)
	v_add_co_ci_u32_e32 v14, vcc_lo, 0, v12, vcc_lo
	v_pk_mul_f16 v24, v41, v24 op_sel_hi:[0,1]
	v_pk_mul_f16 v25, v41, v25 op_sel_hi:[0,1]
	;; [unrolled: 1-line block ×18, first 2 shown]
	s_clause 0x1
	global_load_b128 v[9:12], v[9:10], off offset:128
	global_load_b128 v[41:44], v[13:14], off offset:128
	s_waitcnt vmcnt(1)
	ds_store_b128 v168, v[9:12]
	s_waitcnt vmcnt(0)
	ds_store_b128 v170, v[41:44]
	v_add_co_u32 v9, vcc_lo, s4, v99
	v_add_co_ci_u32_e32 v10, vcc_lo, s5, v100, vcc_lo
	s_delay_alu instid0(VALU_DEP_2) | instskip(NEXT) | instid1(VALU_DEP_2)
	v_add_co_u32 v9, vcc_lo, v9, v81
	v_add_co_ci_u32_e32 v10, vcc_lo, 0, v10, vcc_lo
	v_add_co_u32 v11, vcc_lo, s4, v101
	v_add_co_ci_u32_e32 v12, vcc_lo, s5, v102, vcc_lo
	s_delay_alu instid0(VALU_DEP_2) | instskip(NEXT) | instid1(VALU_DEP_2)
	v_add_co_u32 v13, vcc_lo, v11, v81
	v_add_co_ci_u32_e32 v14, vcc_lo, 0, v12, vcc_lo
	s_clause 0x1
	global_load_b128 v[9:12], v[9:10], off
	global_load_b128 v[41:44], v[13:14], off
	s_waitcnt vmcnt(1)
	ds_store_b128 v171, v[9:12]
	s_waitcnt vmcnt(0)
	ds_store_b128 v249, v[41:44]
	v_add_co_u32 v9, vcc_lo, s4, v105
	v_add_co_ci_u32_e32 v10, vcc_lo, s5, v106, vcc_lo
	s_delay_alu instid0(VALU_DEP_2) | instskip(NEXT) | instid1(VALU_DEP_2)
	v_add_co_u32 v9, vcc_lo, v9, v81
	v_add_co_ci_u32_e32 v10, vcc_lo, 0, v10, vcc_lo
	v_add_co_u32 v11, vcc_lo, s4, v107
	v_add_co_ci_u32_e32 v12, vcc_lo, s5, v108, vcc_lo
	v_cmp_eq_u32_e64 s5, 0, v163
	s_delay_alu instid0(VALU_DEP_3) | instskip(NEXT) | instid1(VALU_DEP_3)
	v_add_co_u32 v13, vcc_lo, v11, v81
	v_add_co_ci_u32_e32 v14, vcc_lo, 0, v12, vcc_lo
	s_clause 0x1
	global_load_b128 v[9:12], v[9:10], off
	global_load_b128 v[41:44], v[13:14], off
	s_waitcnt vmcnt(1)
	ds_store_b128 v250, v[9:12]
	s_waitcnt vmcnt(0)
	ds_store_b128 v251, v[41:44]
	v_sub_f32_e32 v9, v45, v33
	v_add_nc_u32_e32 v81, 0x400, v253
	s_waitcnt lgkmcnt(0)
	s_barrier
	buffer_gl0_inv
	v_mul_f32_e32 v10, 0x3fb8aa3b, v9
	v_cmp_ngt_f32_e32 vcc_lo, 0xc2ce8ed0, v9
	s_delay_alu instid0(VALU_DEP_2) | instskip(SKIP_1) | instid1(VALU_DEP_1)
	v_fma_f32 v11, 0x3fb8aa3b, v9, -v10
	v_rndne_f32_e32 v12, v10
	v_dual_fmac_f32 v11, 0x32a5705f, v9 :: v_dual_sub_f32 v10, v10, v12
	v_cvt_i32_f32_e32 v12, v12
	s_delay_alu instid0(VALU_DEP_2) | instskip(NEXT) | instid1(VALU_DEP_1)
	v_add_f32_e32 v10, v10, v11
	v_exp_f32_e32 v10, v10
	s_waitcnt_depctr 0xfff
	v_ldexp_f32 v10, v10, v12
	s_delay_alu instid0(VALU_DEP_1) | instskip(SKIP_1) | instid1(VALU_DEP_2)
	v_cndmask_b32_e32 v10, 0, v10, vcc_lo
	v_cmp_nlt_f32_e32 vcc_lo, 0x42b17218, v9
	v_cndmask_b32_e32 v15, 0x7f800000, v10, vcc_lo
	v_mul_f32_e32 v11, 0x3fb8aa3b, v0
	v_cmp_ngt_f32_e64 s4, 0xc2ce8ed0, v0
	v_cmp_eq_u32_e32 vcc_lo, 1, v252
	s_delay_alu instid0(VALU_DEP_3) | instskip(SKIP_1) | instid1(VALU_DEP_2)
	v_fma_f32 v13, 0x3fb8aa3b, v0, -v11
	v_rndne_f32_e32 v14, v11
	v_fmac_f32_e32 v13, 0x32a5705f, v0
	s_delay_alu instid0(VALU_DEP_2) | instskip(SKIP_1) | instid1(VALU_DEP_2)
	v_sub_f32_e32 v11, v11, v14
	v_cvt_i32_f32_e32 v12, v14
	v_add_f32_e32 v11, v11, v13
	s_delay_alu instid0(VALU_DEP_1) | instskip(SKIP_2) | instid1(VALU_DEP_1)
	v_exp_f32_e32 v11, v11
	s_waitcnt_depctr 0xfff
	v_ldexp_f32 v11, v11, v12
	v_cndmask_b32_e64 v9, 0, v11, s4
	v_cmp_nlt_f32_e64 s4, 0x42b17218, v0
	ds_bpermute_b32 v11, v32, v15
	v_cndmask_b32_e64 v0, 0x7f800000, v9, s4
	v_cmp_eq_u32_e64 s4, 0, v252
	ds_bpermute_b32 v9, v32, v0
	s_waitcnt lgkmcnt(0)
	v_cndmask_b32_e64 v10, v0, v9, s4
	v_cndmask_b32_e32 v9, v0, v9, vcc_lo
	v_add_f32_e32 v0, v0, v15
	s_delay_alu instid0(VALU_DEP_3) | instskip(NEXT) | instid1(VALU_DEP_3)
	v_cndmask_b32_e64 v12, v10, v15, s5
	v_cndmask_b32_e64 v13, v9, v15, s6
	v_cvt_f16_f32_e32 v10, v10
	v_cvt_f16_f32_e32 v9, v9
	s_delay_alu instid0(VALU_DEP_4) | instskip(NEXT) | instid1(VALU_DEP_4)
	v_cndmask_b32_e64 v12, v12, v11, s4
	v_cndmask_b32_e32 v11, v13, v11, vcc_lo
	s_delay_alu instid0(VALU_DEP_3) | instskip(SKIP_1) | instid1(VALU_DEP_4)
	v_pack_b32_f16 v41, v10, v9
	v_sub_f32_e32 v9, v40, v33
	v_cvt_f16_f32_e32 v13, v12
	s_delay_alu instid0(VALU_DEP_4) | instskip(NEXT) | instid1(VALU_DEP_3)
	v_cvt_f16_f32_e32 v14, v11
	v_mul_f32_e32 v10, 0x3fb8aa3b, v9
	v_cmp_ngt_f32_e64 s7, 0xc2ce8ed0, v9
	s_delay_alu instid0(VALU_DEP_3) | instskip(NEXT) | instid1(VALU_DEP_3)
	v_pack_b32_f16 v42, v13, v14
	v_fma_f32 v13, 0x3fb8aa3b, v9, -v10
	v_rndne_f32_e32 v14, v10
	s_delay_alu instid0(VALU_DEP_1) | instskip(NEXT) | instid1(VALU_DEP_1)
	v_dual_fmac_f32 v13, 0x32a5705f, v9 :: v_dual_sub_f32 v10, v10, v14
	v_add_f32_e32 v10, v10, v13
	v_cvt_i32_f32_e32 v13, v14
	s_delay_alu instid0(VALU_DEP_2) | instskip(SKIP_2) | instid1(VALU_DEP_1)
	v_exp_f32_e32 v10, v10
	s_waitcnt_depctr 0xfff
	v_ldexp_f32 v10, v10, v13
	v_cndmask_b32_e64 v10, 0, v10, s7
	v_cmp_nlt_f32_e64 s7, 0x42b17218, v9
	s_delay_alu instid0(VALU_DEP_1) | instskip(NEXT) | instid1(VALU_DEP_1)
	v_cndmask_b32_e64 v89, 0x7f800000, v10, s7
	v_cndmask_b32_e64 v10, v11, v89, s6
	ds_bpermute_b32 v11, v32, v89
	v_cndmask_b32_e64 v9, v12, v89, s5
	v_add_f32_e32 v0, v89, v0
	s_waitcnt lgkmcnt(0)
	s_delay_alu instid0(VALU_DEP_2) | instskip(SKIP_1) | instid1(VALU_DEP_2)
	v_cndmask_b32_e64 v9, v9, v11, s4
	v_cndmask_b32_e32 v10, v10, v11, vcc_lo
	v_cvt_f16_f32_e32 v11, v9
	s_delay_alu instid0(VALU_DEP_2) | instskip(NEXT) | instid1(VALU_DEP_1)
	v_cvt_f16_f32_e32 v12, v10
	v_pack_b32_f16 v43, v11, v12
	v_sub_f32_e32 v11, v39, v33
	s_delay_alu instid0(VALU_DEP_1) | instskip(SKIP_1) | instid1(VALU_DEP_2)
	v_mul_f32_e32 v12, 0x3fb8aa3b, v11
	v_cmp_ngt_f32_e64 s7, 0xc2ce8ed0, v11
	v_fma_f32 v13, 0x3fb8aa3b, v11, -v12
	v_rndne_f32_e32 v14, v12
	s_delay_alu instid0(VALU_DEP_1) | instskip(NEXT) | instid1(VALU_DEP_1)
	v_dual_fmac_f32 v13, 0x32a5705f, v11 :: v_dual_sub_f32 v12, v12, v14
	v_add_f32_e32 v12, v12, v13
	v_cvt_i32_f32_e32 v13, v14
	s_delay_alu instid0(VALU_DEP_2) | instskip(SKIP_2) | instid1(VALU_DEP_1)
	v_exp_f32_e32 v12, v12
	s_waitcnt_depctr 0xfff
	v_ldexp_f32 v12, v12, v13
	v_cndmask_b32_e64 v12, 0, v12, s7
	v_cmp_nlt_f32_e64 s7, 0x42b17218, v11
	s_delay_alu instid0(VALU_DEP_1)
	v_cndmask_b32_e64 v121, 0x7f800000, v12, s7
	ds_bpermute_b32 v11, v32, v121
	v_cndmask_b32_e64 v9, v9, v121, s5
	v_cndmask_b32_e64 v10, v10, v121, s6
	v_add_f32_e32 v0, v121, v0
	s_waitcnt lgkmcnt(0)
	s_delay_alu instid0(VALU_DEP_3) | instskip(NEXT) | instid1(VALU_DEP_3)
	v_cndmask_b32_e64 v9, v9, v11, s4
	v_cndmask_b32_e32 v10, v10, v11, vcc_lo
	s_delay_alu instid0(VALU_DEP_2) | instskip(NEXT) | instid1(VALU_DEP_2)
	v_cvt_f16_f32_e32 v11, v9
	v_cvt_f16_f32_e32 v12, v10
	s_delay_alu instid0(VALU_DEP_1) | instskip(SKIP_1) | instid1(VALU_DEP_1)
	v_pack_b32_f16 v44, v11, v12
	v_sub_f32_e32 v11, v37, v33
	v_mul_f32_e32 v12, 0x3fb8aa3b, v11
	v_cmp_ngt_f32_e64 s7, 0xc2ce8ed0, v11
	s_delay_alu instid0(VALU_DEP_2) | instskip(SKIP_1) | instid1(VALU_DEP_1)
	v_fma_f32 v13, 0x3fb8aa3b, v11, -v12
	v_rndne_f32_e32 v14, v12
	v_dual_fmac_f32 v13, 0x32a5705f, v11 :: v_dual_sub_f32 v12, v12, v14
	s_delay_alu instid0(VALU_DEP_1) | instskip(SKIP_1) | instid1(VALU_DEP_2)
	v_add_f32_e32 v12, v12, v13
	v_cvt_i32_f32_e32 v13, v14
	v_exp_f32_e32 v12, v12
	s_waitcnt_depctr 0xfff
	v_ldexp_f32 v12, v12, v13
	s_delay_alu instid0(VALU_DEP_1) | instskip(SKIP_1) | instid1(VALU_DEP_1)
	v_cndmask_b32_e64 v12, 0, v12, s7
	v_cmp_nlt_f32_e64 s7, 0x42b17218, v11
	v_cndmask_b32_e64 v122, 0x7f800000, v12, s7
	ds_bpermute_b32 v11, v32, v122
	v_cndmask_b32_e64 v9, v9, v122, s5
	v_cndmask_b32_e64 v10, v10, v122, s6
	v_add_f32_e32 v0, v122, v0
	s_waitcnt lgkmcnt(0)
	s_delay_alu instid0(VALU_DEP_3) | instskip(NEXT) | instid1(VALU_DEP_3)
	v_cndmask_b32_e64 v9, v9, v11, s4
	v_cndmask_b32_e32 v10, v10, v11, vcc_lo
	s_delay_alu instid0(VALU_DEP_2) | instskip(NEXT) | instid1(VALU_DEP_2)
	v_cvt_f16_f32_e32 v11, v9
	v_cvt_f16_f32_e32 v12, v10
	s_delay_alu instid0(VALU_DEP_1) | instskip(SKIP_2) | instid1(VALU_DEP_2)
	v_pack_b32_f16 v45, v11, v12
	v_sub_f32_e32 v11, v36, v33
	v_add_nc_u32_e32 v36, 0x200, v253
	v_mul_f32_e32 v12, 0x3fb8aa3b, v11
	v_cmp_ngt_f32_e64 s7, 0xc2ce8ed0, v11
	s_delay_alu instid0(VALU_DEP_2) | instskip(SKIP_1) | instid1(VALU_DEP_1)
	v_fma_f32 v13, 0x3fb8aa3b, v11, -v12
	v_rndne_f32_e32 v14, v12
	v_dual_fmac_f32 v13, 0x32a5705f, v11 :: v_dual_sub_f32 v12, v12, v14
	s_delay_alu instid0(VALU_DEP_1) | instskip(SKIP_1) | instid1(VALU_DEP_2)
	v_add_f32_e32 v12, v12, v13
	v_cvt_i32_f32_e32 v13, v14
	v_exp_f32_e32 v12, v12
	s_waitcnt_depctr 0xfff
	v_ldexp_f32 v12, v12, v13
	s_delay_alu instid0(VALU_DEP_1) | instskip(SKIP_1) | instid1(VALU_DEP_1)
	v_cndmask_b32_e64 v12, 0, v12, s7
	v_cmp_nlt_f32_e64 s7, 0x42b17218, v11
	v_cndmask_b32_e64 v125, 0x7f800000, v12, s7
	ds_bpermute_b32 v11, v32, v125
	v_cndmask_b32_e64 v9, v9, v125, s5
	v_cndmask_b32_e64 v10, v10, v125, s6
	v_add_f32_e32 v0, v125, v0
	s_waitcnt lgkmcnt(0)
	s_delay_alu instid0(VALU_DEP_3) | instskip(NEXT) | instid1(VALU_DEP_3)
	v_cndmask_b32_e64 v9, v9, v11, s4
	v_cndmask_b32_e32 v10, v10, v11, vcc_lo
	s_delay_alu instid0(VALU_DEP_2) | instskip(NEXT) | instid1(VALU_DEP_2)
	v_cvt_f16_f32_e32 v11, v9
	v_cvt_f16_f32_e32 v12, v10
	s_delay_alu instid0(VALU_DEP_1) | instskip(SKIP_1) | instid1(VALU_DEP_1)
	v_pack_b32_f16 v46, v11, v12
	v_sub_f32_e32 v11, v35, v33
	v_mul_f32_e32 v12, 0x3fb8aa3b, v11
	v_cmp_ngt_f32_e64 s7, 0xc2ce8ed0, v11
	s_delay_alu instid0(VALU_DEP_2) | instskip(SKIP_1) | instid1(VALU_DEP_1)
	v_fma_f32 v13, 0x3fb8aa3b, v11, -v12
	v_rndne_f32_e32 v14, v12
	v_dual_fmac_f32 v13, 0x32a5705f, v11 :: v_dual_sub_f32 v12, v12, v14
	s_delay_alu instid0(VALU_DEP_1) | instskip(SKIP_1) | instid1(VALU_DEP_2)
	v_add_f32_e32 v12, v12, v13
	v_cvt_i32_f32_e32 v13, v14
	v_exp_f32_e32 v12, v12
	s_waitcnt_depctr 0xfff
	v_ldexp_f32 v12, v12, v13
	s_delay_alu instid0(VALU_DEP_1) | instskip(SKIP_1) | instid1(VALU_DEP_1)
	v_cndmask_b32_e64 v12, 0, v12, s7
	v_cmp_nlt_f32_e64 s7, 0x42b17218, v11
	v_cndmask_b32_e64 v128, 0x7f800000, v12, s7
	ds_bpermute_b32 v11, v32, v128
	v_cndmask_b32_e64 v9, v9, v128, s5
	v_cndmask_b32_e64 v10, v10, v128, s6
	v_add_f32_e32 v0, v128, v0
	s_waitcnt lgkmcnt(0)
	s_delay_alu instid0(VALU_DEP_3) | instskip(NEXT) | instid1(VALU_DEP_3)
	v_cndmask_b32_e64 v9, v9, v11, s4
	v_cndmask_b32_e32 v10, v10, v11, vcc_lo
	s_delay_alu instid0(VALU_DEP_2) | instskip(NEXT) | instid1(VALU_DEP_2)
	v_cvt_f16_f32_e32 v11, v9
	v_cvt_f16_f32_e32 v12, v10
	s_delay_alu instid0(VALU_DEP_1) | instskip(SKIP_1) | instid1(VALU_DEP_1)
	v_pack_b32_f16 v47, v11, v12
	v_sub_f32_e32 v11, v34, v33
	v_mul_f32_e32 v12, 0x3fb8aa3b, v11
	v_cmp_ngt_f32_e64 s7, 0xc2ce8ed0, v11
	s_delay_alu instid0(VALU_DEP_2) | instskip(SKIP_1) | instid1(VALU_DEP_1)
	v_fma_f32 v13, 0x3fb8aa3b, v11, -v12
	v_rndne_f32_e32 v14, v12
	v_dual_fmac_f32 v13, 0x32a5705f, v11 :: v_dual_sub_f32 v12, v12, v14
	s_delay_alu instid0(VALU_DEP_1) | instskip(SKIP_1) | instid1(VALU_DEP_2)
	v_add_f32_e32 v12, v12, v13
	v_cvt_i32_f32_e32 v13, v14
	v_exp_f32_e32 v12, v12
	s_waitcnt_depctr 0xfff
	v_ldexp_f32 v12, v12, v13
	s_delay_alu instid0(VALU_DEP_1) | instskip(SKIP_1) | instid1(VALU_DEP_1)
	v_cndmask_b32_e64 v12, 0, v12, s7
	v_cmp_nlt_f32_e64 s7, 0x42b17218, v11
	v_cndmask_b32_e64 v129, 0x7f800000, v12, s7
	ds_bpermute_b32 v11, v32, v129
	v_cndmask_b32_e64 v9, v9, v129, s5
	v_cndmask_b32_e64 v10, v10, v129, s6
	v_add_f32_e32 v0, v129, v0
	s_delay_alu instid0(VALU_DEP_1) | instskip(SKIP_4) | instid1(SALU_CYCLE_1)
	v_fmac_f32_e32 v0, v204, v38
	s_waitcnt lgkmcnt(0)
	v_cndmask_b32_e64 v9, v9, v11, s4
	v_cndmask_b32_e32 v10, v10, v11, vcc_lo
	s_cselect_b32 s4, -1, 0
	s_and_b32 s5, s1, s4
	s_delay_alu instid0(VALU_DEP_2) | instskip(NEXT) | instid1(VALU_DEP_2)
	v_cvt_f16_f32_e32 v9, v9
	v_cvt_f16_f32_e32 v10, v10
	s_delay_alu instid0(VALU_DEP_1)
	v_pack_b32_f16 v48, v9, v10
	ds_load_2addr_b32 v[9:10], v253 offset1:16
	ds_load_2addr_b32 v[11:12], v253 offset0:32 offset1:52
	ds_load_2addr_b32 v[13:14], v253 offset0:104 offset1:120
	;; [unrolled: 1-line block ×14, first 2 shown]
	s_waitcnt lgkmcnt(13)
	v_perm_b32 v49, v12, v9, 0x5040100
	s_waitcnt lgkmcnt(11)
	v_perm_b32 v50, v35, v13, 0x5040100
	;; [unrolled: 2-line block ×8, first 2 shown]
	s_delay_alu instid0(VALU_DEP_1)
	v_wmma_f16_16x16x16_f16 v[24:31], v[49:56], v[41:48], v[24:31]
	v_add_nc_u32_e32 v51, 0x300, v176
	v_add_nc_u32_e32 v56, 0xc00, v253
	ds_load_2addr_b32 v[75:76], v51 offset0:16 offset1:224
	ds_load_2addr_b32 v[77:78], v81 offset0:20 offset1:36
	;; [unrolled: 1-line block ×6, first 2 shown]
	ds_load_b32 v134, v176 offset:2496
	ds_load_b32 v135, v177 offset:2496
	ds_load_2addr_b32 v[87:88], v56 offset0:28 offset1:44
	s_waitcnt lgkmcnt(10)
	v_perm_b32 v49, v71, v10, 0x5040100
	s_waitcnt lgkmcnt(9)
	v_perm_b32 v50, v73, v14, 0x5040100
	;; [unrolled: 2-line block ×8, first 2 shown]
	s_delay_alu instid0(VALU_DEP_1)
	v_wmma_f16_16x16x16_f16 v[16:23], v[49:56], v[41:48], v[16:23]
	v_add_nc_u32_e32 v51, 0x300, v177
	v_perm_b32 v49, v72, v11, 0x5040100
	v_perm_b32 v50, v74, v34, 0x5040100
	;; [unrolled: 1-line block ×4, first 2 shown]
	ds_load_2addr_b32 v[119:120], v51 offset0:16 offset1:224
	v_perm_b32 v55, v86, v135, 0x5040100
	v_perm_b32 v56, v88, v67, 0x5040100
	s_waitcnt lgkmcnt(0)
	s_barrier
	buffer_gl0_inv
	v_perm_b32 v51, v78, v119, 0x5040100
	v_perm_b32 v53, v82, v120, 0x5040100
	s_delay_alu instid0(VALU_DEP_1)
	v_wmma_f16_16x16x16_f16 v[1:8], v[49:56], v[41:48], v[1:8]
	v_perm_b32 v49, v12, v9, 0x7060302
	ds_bpermute_b32 v9, v32, v0
	v_perm_b32 v51, v37, v36, 0x7060302
	v_perm_b32 v53, v60, v59, 0x7060302
	;; [unrolled: 1-line block ×7, first 2 shown]
	s_delay_alu instid0(VALU_DEP_1)
	v_wmma_f16_16x16x16_f16 v[24:31], v[49:56], v[41:48], v[24:31] op_sel:[0,0,1]
	v_perm_b32 v49, v71, v10, 0x7060302
	v_perm_b32 v50, v73, v14, 0x7060302
	;; [unrolled: 1-line block ×7, first 2 shown]
	s_waitcnt lgkmcnt(0)
	v_add_f32_e32 v9, v0, v9
	v_perm_b32 v55, v85, v134, 0x7060302
	s_delay_alu instid0(VALU_DEP_1)
	v_wmma_f16_16x16x16_f16 v[16:23], v[49:56], v[41:48], v[16:23] op_sel:[0,0,1]
	v_perm_b32 v49, v72, v11, 0x7060302
	v_perm_b32 v50, v74, v34, 0x7060302
	;; [unrolled: 1-line block ×8, first 2 shown]
	s_delay_alu instid0(VALU_DEP_1)
	v_wmma_f16_16x16x16_f16 v[1:8], v[49:56], v[41:48], v[1:8] op_sel:[0,0,1]
	s_and_saveexec_b32 s4, s5
	s_cbranch_execz .LBB14_256
; %bb.255:                              ;   in Loop: Header=BB14_12 Depth=1
	v_lshlrev_b32_e32 v0, 2, v254
	global_load_b32 v0, v0, s[64:65]
	s_waitcnt vmcnt(0)
	v_dual_max_f32 v10, v33, v33 :: v_dual_max_f32 v11, v0, v0
	s_delay_alu instid0(VALU_DEP_1) | instskip(NEXT) | instid1(VALU_DEP_1)
	v_max_f32_e32 v10, v10, v11
	v_sub_f32_e32 v0, v0, v10
	s_delay_alu instid0(VALU_DEP_1) | instskip(SKIP_1) | instid1(VALU_DEP_2)
	v_mul_f32_e32 v15, 0x3fb8aa3b, v0
	v_sub_f32_e32 v11, v33, v10
	v_rndne_f32_e32 v34, v15
	s_delay_alu instid0(VALU_DEP_2) | instskip(SKIP_1) | instid1(VALU_DEP_2)
	v_mul_f32_e32 v12, 0x3fb8aa3b, v11
	v_fma_f32 v33, 0x3fb8aa3b, v0, -v15
	v_fma_f32 v13, 0x3fb8aa3b, v11, -v12
	v_rndne_f32_e32 v14, v12
	s_delay_alu instid0(VALU_DEP_3) | instskip(NEXT) | instid1(VALU_DEP_2)
	v_fmac_f32_e32 v33, 0x32a5705f, v0
	v_dual_fmac_f32 v13, 0x32a5705f, v11 :: v_dual_sub_f32 v12, v12, v14
	v_cvt_i32_f32_e32 v14, v14
	s_delay_alu instid0(VALU_DEP_2) | instskip(SKIP_1) | instid1(VALU_DEP_2)
	v_dual_add_f32 v12, v12, v13 :: v_dual_sub_f32 v13, v15, v34
	v_cmp_ngt_f32_e32 vcc_lo, 0xc2ce8ed0, v11
	v_exp_f32_e32 v12, v12
	s_delay_alu instid0(VALU_DEP_2) | instskip(SKIP_1) | instid1(VALU_DEP_2)
	v_add_f32_e32 v13, v13, v33
	v_mov_b32_e32 v33, v10
	v_exp_f32_e32 v13, v13
	s_waitcnt_depctr 0xfff
	v_ldexp_f32 v12, v12, v14
	v_cvt_i32_f32_e32 v14, v34
	s_delay_alu instid0(VALU_DEP_1) | instskip(NEXT) | instid1(VALU_DEP_3)
	v_ldexp_f32 v13, v13, v14
	v_cndmask_b32_e32 v12, 0, v12, vcc_lo
	v_cmp_nlt_f32_e32 vcc_lo, 0x42b17218, v11
	s_delay_alu instid0(VALU_DEP_2) | instskip(SKIP_3) | instid1(VALU_DEP_4)
	v_cndmask_b32_e32 v12, 0x7f800000, v12, vcc_lo
	v_cmp_ngt_f32_e32 vcc_lo, 0xc2ce8ed0, v0
	v_cndmask_b32_e32 v13, 0, v13, vcc_lo
	v_cmp_le_f32_e32 vcc_lo, 0xc1a00000, v11
	v_cndmask_b32_e32 v11, 0, v12, vcc_lo
	v_cmp_nlt_f32_e32 vcc_lo, 0x42b17218, v0
	s_delay_alu instid0(VALU_DEP_2) | instskip(SKIP_1) | instid1(VALU_DEP_2)
	v_cvt_f16_f32_e32 v12, v11
	v_cndmask_b32_e32 v0, 0x7f800000, v13, vcc_lo
	v_pk_mul_f16 v24, v12, v24 op_sel_hi:[0,1]
	s_delay_alu instid0(VALU_DEP_2)
	v_fmac_f32_e32 v0, v9, v11
	v_pk_mul_f16 v25, v12, v25 op_sel_hi:[0,1]
	v_pk_mul_f16 v26, v12, v26 op_sel_hi:[0,1]
	;; [unrolled: 1-line block ×23, first 2 shown]
	v_mov_b32_e32 v9, v0
.LBB14_256:                             ;   in Loop: Header=BB14_12 Depth=1
	s_or_b32 exec_lo, exec_lo, s4
	s_and_saveexec_b32 s4, s3
	s_cbranch_execz .LBB14_258
; %bb.257:                              ;   in Loop: Header=BB14_12 Depth=1
	v_add_nc_u32_e32 v0, 0, v178
	ds_store_2addr_b32 v0, v33, v9 offset0:48 offset1:49
.LBB14_258:                             ;   in Loop: Header=BB14_12 Depth=1
	s_or_b32 exec_lo, exec_lo, s4
	s_waitcnt lgkmcnt(0)
	s_barrier
	buffer_gl0_inv
	s_and_saveexec_b32 s4, s2
	s_delay_alu instid0(SALU_CYCLE_1)
	s_xor_b32 s4, exec_lo, s4
	s_cbranch_execz .LBB14_260
; %bb.259:                              ;   in Loop: Header=BB14_12 Depth=1
	s_barrier
	buffer_gl0_inv
                                        ; implicit-def: $vgpr32
.LBB14_260:                             ;   in Loop: Header=BB14_12 Depth=1
	s_and_not1_saveexec_b32 s4, s4
	s_cbranch_execz .LBB14_262
; %bb.261:                              ;   in Loop: Header=BB14_12 Depth=1
	v_add_nc_u32_e32 v0, 0, v178
	ds_load_b64 v[9:10], v0 offset:192
	s_waitcnt lgkmcnt(0)
	s_barrier
	buffer_gl0_inv
	ds_bpermute_b32 v11, v32, v9
	s_waitcnt lgkmcnt(0)
	v_dual_max_f32 v12, v9, v9 :: v_dual_max_f32 v11, v11, v11
	s_delay_alu instid0(VALU_DEP_1) | instskip(NEXT) | instid1(VALU_DEP_1)
	v_max_f32_e32 v11, v12, v11
	v_sub_f32_e32 v9, v9, v11
	s_delay_alu instid0(VALU_DEP_1) | instskip(SKIP_1) | instid1(VALU_DEP_2)
	v_mul_f32_e32 v11, 0x3fb8aa3b, v9
	v_cmp_ngt_f32_e32 vcc_lo, 0xc2ce8ed0, v9
	v_fma_f32 v12, 0x3fb8aa3b, v9, -v11
	v_rndne_f32_e32 v13, v11
	s_delay_alu instid0(VALU_DEP_2) | instskip(NEXT) | instid1(VALU_DEP_2)
	v_fmac_f32_e32 v12, 0x32a5705f, v9
	v_sub_f32_e32 v11, v11, v13
	s_delay_alu instid0(VALU_DEP_1) | instskip(SKIP_1) | instid1(VALU_DEP_2)
	v_add_f32_e32 v11, v11, v12
	v_cvt_i32_f32_e32 v12, v13
	v_exp_f32_e32 v11, v11
	s_waitcnt_depctr 0xfff
	v_ldexp_f32 v11, v11, v12
	s_delay_alu instid0(VALU_DEP_1) | instskip(SKIP_1) | instid1(VALU_DEP_2)
	v_cndmask_b32_e32 v11, 0, v11, vcc_lo
	v_cmp_nlt_f32_e32 vcc_lo, 0x42b17218, v9
	v_cndmask_b32_e32 v11, 0x7f800000, v11, vcc_lo
	s_delay_alu instid0(VALU_DEP_1)
	v_mul_f32_e32 v9, v10, v11
	ds_bpermute_b32 v12, v32, v9
	s_waitcnt lgkmcnt(0)
	v_fmac_f32_e32 v12, v10, v11
	ds_store_b64 v0, v[11:12] offset:192
.LBB14_262:                             ;   in Loop: Header=BB14_12 Depth=1
	s_or_b32 exec_lo, exec_lo, s4
	ds_store_2addr_b32 v179, v24, v25 offset1:2
	ds_store_2addr_b32 v179, v26, v27 offset0:4 offset1:6
	ds_store_2addr_b32 v179, v28, v29 offset0:8 offset1:10
	;; [unrolled: 1-line block ×11, first 2 shown]
	s_waitcnt lgkmcnt(0)
	s_barrier
	buffer_gl0_inv
	s_and_saveexec_b32 s6, s1
	s_cbranch_execz .LBB14_10
; %bb.263:                              ;   in Loop: Header=BB14_12 Depth=1
	v_dual_mov_b32 v2, 0x47 :: v_dual_add_nc_u32 v1, s66, v131
	v_or_b32_e32 v0, s86, v146
	s_delay_alu instid0(VALU_DEP_2) | instskip(NEXT) | instid1(VALU_DEP_2)
	v_cmp_gt_i32_e32 vcc_lo, s8, v1
	v_cmp_gt_i32_e64 s4, s33, v0
	s_delay_alu instid0(VALU_DEP_1) | instskip(NEXT) | instid1(SALU_CYCLE_1)
	s_and_b32 s5, vcc_lo, s4
	s_and_saveexec_b32 s7, s5
	s_cbranch_execz .LBB14_265
; %bb.264:                              ;   in Loop: Header=BB14_12 Depth=1
	s_clause 0x1
	scratch_load_b32 v0, off, off offset:16
	scratch_load_b32 v2, off, off offset:20
	s_waitcnt vmcnt(1)
	v_add_nc_u32_e32 v0, 0, v0
	s_waitcnt vmcnt(0)
	ds_load_2addr_stride64_b32 v[2:3], v2 offset1:13
	ds_load_2addr_b32 v[4:5], v0 offset0:48 offset1:49
	ds_load_b32 v0, v0 offset:3520
	s_waitcnt lgkmcnt(1)
	v_fma_mix_f32 v6, v4, v2, 0 op_sel_hi:[0,1,0]
	v_fma_mix_f32 v2, v4, v2, 0 op_sel:[0,1,0] op_sel_hi:[0,1,0]
	s_waitcnt lgkmcnt(0)
	s_delay_alu instid0(VALU_DEP_2) | instskip(NEXT) | instid1(VALU_DEP_2)
	v_fma_mix_f32 v4, v0, v3, v6 op_sel_hi:[0,1,0]
	v_fma_mix_f32 v6, v0, v3, v2 op_sel:[0,1,0] op_sel_hi:[0,1,0]
	s_delay_alu instid0(VALU_DEP_2) | instskip(NEXT) | instid1(VALU_DEP_2)
	v_div_scale_f32 v7, null, v5, v5, v4
	v_div_scale_f32 v8, null, v5, v5, v6
	v_div_scale_f32 v11, vcc_lo, v4, v5, v4
	s_delay_alu instid0(VALU_DEP_3) | instskip(NEXT) | instid1(VALU_DEP_2)
	v_rcp_f32_e32 v9, v7
	v_rcp_f32_e32 v10, v8
	v_div_scale_f32 v12, s5, v6, v5, v6
	s_waitcnt_depctr 0xfff
	v_fma_f32 v0, -v7, v9, 1.0
	v_fma_f32 v2, -v8, v10, 1.0
	s_delay_alu instid0(VALU_DEP_1) | instskip(SKIP_1) | instid1(VALU_DEP_2)
	v_dual_fmac_f32 v9, v0, v9 :: v_dual_fmac_f32 v10, v2, v10
	v_mad_u64_u32 v[2:3], null, v1, s9, v[146:147]
	v_mul_f32_e32 v3, v11, v9
	s_delay_alu instid0(VALU_DEP_3) | instskip(NEXT) | instid1(VALU_DEP_3)
	v_mul_f32_e32 v13, v12, v10
	v_mad_u64_u32 v[0:1], null, v2, 48, v[104:105]
	s_delay_alu instid0(VALU_DEP_3) | instskip(NEXT) | instid1(VALU_DEP_1)
	v_fma_f32 v14, -v7, v3, v11
	v_fmac_f32_e32 v3, v14, v9
	s_delay_alu instid0(VALU_DEP_3) | instskip(NEXT) | instid1(VALU_DEP_2)
	v_ashrrev_i32_e32 v1, 31, v0
	v_fma_f32 v2, -v7, v3, v11
	s_delay_alu instid0(VALU_DEP_2) | instskip(NEXT) | instid1(VALU_DEP_2)
	v_lshlrev_b64 v[0:1], 3, v[0:1]
	v_div_fmas_f32 v2, v2, v9, v3
	s_mov_b32 vcc_lo, s5
	s_delay_alu instid0(VALU_DEP_1) | instskip(SKIP_2) | instid1(VALU_DEP_1)
	v_div_fixup_f32 v3, v2, v5, v4
	v_mov_b32_e32 v2, 0
	v_fma_f32 v15, -v8, v13, v12
	v_fmac_f32_e32 v13, v15, v10
	s_delay_alu instid0(VALU_DEP_1) | instskip(NEXT) | instid1(VALU_DEP_1)
	v_fma_f32 v7, -v8, v13, v12
	v_div_fmas_f32 v7, v7, v10, v13
	v_add_co_u32 v0, vcc_lo, s41, v0
	v_add_co_ci_u32_e32 v1, vcc_lo, s59, v1, vcc_lo
	s_delay_alu instid0(VALU_DEP_3)
	v_div_fixup_f32 v4, v7, v5, v6
	global_store_b64 v[0:1], v[3:4], off
.LBB14_265:                             ;   in Loop: Header=BB14_12 Depth=1
	s_or_b32 exec_lo, exec_lo, s7
	s_mov_b32 s5, -1
	s_mov_b32 s7, exec_lo
	v_cmpx_gt_i32_e32 0x47, v2
; %bb.266:                              ;   in Loop: Header=BB14_12 Depth=1
	v_cmp_eq_u32_e32 vcc_lo, 0, v2
	s_or_not1_b32 s5, vcc_lo, exec_lo
; %bb.267:                              ;   in Loop: Header=BB14_12 Depth=1
	s_or_b32 exec_lo, exec_lo, s7
	s_and_saveexec_b32 s7, s5
	s_cbranch_execz .LBB14_340
; %bb.268:                              ;   in Loop: Header=BB14_12 Depth=1
	s_clause 0x1
	scratch_load_b32 v0, off, off offset:32
	scratch_load_b64 v[2:3], off, off
	s_waitcnt vmcnt(1)
	v_add_nc_u32_e32 v1, s66, v0
	s_waitcnt vmcnt(0)
	v_or_b32_e32 v0, s86, v2
	v_mov_b32_e32 v2, 0x47
	s_delay_alu instid0(VALU_DEP_3) | instskip(NEXT) | instid1(VALU_DEP_3)
	v_cmp_gt_i32_e32 vcc_lo, s8, v1
	v_cmp_gt_i32_e64 s5, s33, v0
	s_delay_alu instid0(VALU_DEP_1) | instskip(NEXT) | instid1(SALU_CYCLE_1)
	s_and_b32 s5, vcc_lo, s5
	s_and_saveexec_b32 s56, s5
	s_cbranch_execz .LBB14_270
; %bb.269:                              ;   in Loop: Header=BB14_12 Depth=1
	s_clause 0x1
	scratch_load_b32 v0, off, off offset:140
	scratch_load_b32 v2, off, off offset:144
	s_waitcnt vmcnt(1)
	v_add_nc_u32_e32 v0, 0, v0
	s_waitcnt vmcnt(0)
	ds_load_2addr_stride64_b32 v[2:3], v2 offset1:13
	ds_load_2addr_b32 v[4:5], v0 offset0:48 offset1:49
	ds_load_b32 v0, v0 offset:3520
	scratch_load_b64 v[13:14], off, off     ; 8-byte Folded Reload
	s_waitcnt lgkmcnt(1)
	v_fma_mix_f32 v6, v4, v2, 0 op_sel_hi:[0,1,0]
	v_fma_mix_f32 v2, v4, v2, 0 op_sel:[0,1,0] op_sel_hi:[0,1,0]
	s_waitcnt lgkmcnt(0)
	s_delay_alu instid0(VALU_DEP_2) | instskip(NEXT) | instid1(VALU_DEP_2)
	v_fma_mix_f32 v4, v0, v3, v6 op_sel_hi:[0,1,0]
	v_fma_mix_f32 v6, v0, v3, v2 op_sel:[0,1,0] op_sel_hi:[0,1,0]
	s_delay_alu instid0(VALU_DEP_2) | instskip(NEXT) | instid1(VALU_DEP_2)
	v_div_scale_f32 v7, null, v5, v5, v4
	v_div_scale_f32 v8, null, v5, v5, v6
	v_div_scale_f32 v11, vcc_lo, v4, v5, v4
	s_delay_alu instid0(VALU_DEP_3) | instskip(NEXT) | instid1(VALU_DEP_2)
	v_rcp_f32_e32 v9, v7
	v_rcp_f32_e32 v10, v8
	v_div_scale_f32 v12, s5, v6, v5, v6
	s_waitcnt_depctr 0xfff
	v_fma_f32 v0, -v7, v9, 1.0
	v_fma_f32 v2, -v8, v10, 1.0
	s_delay_alu instid0(VALU_DEP_1) | instskip(SKIP_2) | instid1(VALU_DEP_2)
	v_dual_fmac_f32 v9, v0, v9 :: v_dual_fmac_f32 v10, v2, v10
	s_waitcnt vmcnt(0)
	v_mad_u64_u32 v[2:3], null, v1, s9, v[13:14]
	v_mul_f32_e32 v3, v11, v9
	s_delay_alu instid0(VALU_DEP_3) | instskip(NEXT) | instid1(VALU_DEP_2)
	v_mul_f32_e32 v13, v12, v10
	v_fma_f32 v14, -v7, v3, v11
	s_delay_alu instid0(VALU_DEP_4) | instskip(NEXT) | instid1(VALU_DEP_2)
	v_mad_u64_u32 v[0:1], null, v2, 48, v[104:105]
	v_fmac_f32_e32 v3, v14, v9
	s_delay_alu instid0(VALU_DEP_2) | instskip(NEXT) | instid1(VALU_DEP_2)
	v_ashrrev_i32_e32 v1, 31, v0
	v_fma_f32 v2, -v7, v3, v11
	s_delay_alu instid0(VALU_DEP_2) | instskip(NEXT) | instid1(VALU_DEP_2)
	v_lshlrev_b64 v[0:1], 3, v[0:1]
	v_div_fmas_f32 v2, v2, v9, v3
	s_mov_b32 vcc_lo, s5
	s_delay_alu instid0(VALU_DEP_1) | instskip(SKIP_2) | instid1(VALU_DEP_1)
	v_div_fixup_f32 v3, v2, v5, v4
	v_mov_b32_e32 v2, 0
	v_fma_f32 v15, -v8, v13, v12
	v_fmac_f32_e32 v13, v15, v10
	s_delay_alu instid0(VALU_DEP_1) | instskip(NEXT) | instid1(VALU_DEP_1)
	v_fma_f32 v7, -v8, v13, v12
	v_div_fmas_f32 v7, v7, v10, v13
	v_add_co_u32 v0, vcc_lo, s41, v0
	v_add_co_ci_u32_e32 v1, vcc_lo, s59, v1, vcc_lo
	s_delay_alu instid0(VALU_DEP_3)
	v_div_fixup_f32 v4, v7, v5, v6
	global_store_b64 v[0:1], v[3:4], off
.LBB14_270:                             ;   in Loop: Header=BB14_12 Depth=1
	s_or_b32 exec_lo, exec_lo, s56
	s_mov_b32 s5, -1
	s_mov_b32 s56, exec_lo
	v_cmpx_gt_i32_e32 0x47, v2
; %bb.271:                              ;   in Loop: Header=BB14_12 Depth=1
	v_cmp_eq_u32_e32 vcc_lo, 0, v2
	s_or_not1_b32 s5, vcc_lo, exec_lo
; %bb.272:                              ;   in Loop: Header=BB14_12 Depth=1
	s_or_b32 exec_lo, exec_lo, s56
	s_delay_alu instid0(SALU_CYCLE_1)
	s_and_b32 exec_lo, exec_lo, s5
	s_cbranch_execz .LBB14_340
; %bb.273:                              ;   in Loop: Header=BB14_12 Depth=1
	s_clause 0x1
	scratch_load_b32 v0, off, off offset:156
	scratch_load_b64 v[2:3], off, off offset:116
	s_waitcnt vmcnt(1)
	v_add_nc_u32_e32 v1, s66, v0
	s_waitcnt vmcnt(0)
	v_or_b32_e32 v0, s86, v2
	v_mov_b32_e32 v2, 0x47
	s_delay_alu instid0(VALU_DEP_3) | instskip(NEXT) | instid1(VALU_DEP_3)
	v_cmp_gt_i32_e32 vcc_lo, s8, v1
	v_cmp_gt_i32_e64 s5, s33, v0
	s_delay_alu instid0(VALU_DEP_1) | instskip(NEXT) | instid1(SALU_CYCLE_1)
	s_and_b32 s5, vcc_lo, s5
	s_and_saveexec_b32 s56, s5
	s_cbranch_execz .LBB14_275
; %bb.274:                              ;   in Loop: Header=BB14_12 Depth=1
	s_clause 0x1
	scratch_load_b32 v0, off, off offset:180
	scratch_load_b32 v2, off, off offset:184
	s_waitcnt vmcnt(1)
	v_add_nc_u32_e32 v0, 0, v0
	s_waitcnt vmcnt(0)
	ds_load_2addr_stride64_b32 v[2:3], v2 offset1:13
	ds_load_2addr_b32 v[4:5], v0 offset0:48 offset1:49
	ds_load_b32 v0, v0 offset:3520
	scratch_load_b64 v[13:14], off, off offset:116 ; 8-byte Folded Reload
	s_waitcnt lgkmcnt(1)
	v_fma_mix_f32 v6, v4, v2, 0 op_sel_hi:[0,1,0]
	v_fma_mix_f32 v2, v4, v2, 0 op_sel:[0,1,0] op_sel_hi:[0,1,0]
	s_waitcnt lgkmcnt(0)
	s_delay_alu instid0(VALU_DEP_2) | instskip(NEXT) | instid1(VALU_DEP_2)
	v_fma_mix_f32 v4, v0, v3, v6 op_sel_hi:[0,1,0]
	v_fma_mix_f32 v6, v0, v3, v2 op_sel:[0,1,0] op_sel_hi:[0,1,0]
	s_delay_alu instid0(VALU_DEP_2) | instskip(NEXT) | instid1(VALU_DEP_2)
	v_div_scale_f32 v7, null, v5, v5, v4
	v_div_scale_f32 v8, null, v5, v5, v6
	v_div_scale_f32 v11, vcc_lo, v4, v5, v4
	s_delay_alu instid0(VALU_DEP_3) | instskip(NEXT) | instid1(VALU_DEP_2)
	v_rcp_f32_e32 v9, v7
	v_rcp_f32_e32 v10, v8
	v_div_scale_f32 v12, s5, v6, v5, v6
	s_waitcnt_depctr 0xfff
	v_fma_f32 v0, -v7, v9, 1.0
	v_fma_f32 v2, -v8, v10, 1.0
	s_delay_alu instid0(VALU_DEP_1) | instskip(SKIP_2) | instid1(VALU_DEP_2)
	v_dual_fmac_f32 v9, v0, v9 :: v_dual_fmac_f32 v10, v2, v10
	s_waitcnt vmcnt(0)
	v_mad_u64_u32 v[2:3], null, v1, s9, v[13:14]
	v_mul_f32_e32 v3, v11, v9
	s_delay_alu instid0(VALU_DEP_3) | instskip(NEXT) | instid1(VALU_DEP_2)
	v_mul_f32_e32 v13, v12, v10
	v_fma_f32 v14, -v7, v3, v11
	s_delay_alu instid0(VALU_DEP_4) | instskip(NEXT) | instid1(VALU_DEP_2)
	v_mad_u64_u32 v[0:1], null, v2, 48, v[104:105]
	v_fmac_f32_e32 v3, v14, v9
	s_delay_alu instid0(VALU_DEP_2) | instskip(NEXT) | instid1(VALU_DEP_2)
	v_ashrrev_i32_e32 v1, 31, v0
	v_fma_f32 v2, -v7, v3, v11
	s_delay_alu instid0(VALU_DEP_2) | instskip(NEXT) | instid1(VALU_DEP_2)
	v_lshlrev_b64 v[0:1], 3, v[0:1]
	v_div_fmas_f32 v2, v2, v9, v3
	s_mov_b32 vcc_lo, s5
	s_delay_alu instid0(VALU_DEP_1) | instskip(SKIP_2) | instid1(VALU_DEP_1)
	v_div_fixup_f32 v3, v2, v5, v4
	v_mov_b32_e32 v2, 0
	v_fma_f32 v15, -v8, v13, v12
	v_fmac_f32_e32 v13, v15, v10
	s_delay_alu instid0(VALU_DEP_1) | instskip(NEXT) | instid1(VALU_DEP_1)
	v_fma_f32 v7, -v8, v13, v12
	v_div_fmas_f32 v7, v7, v10, v13
	v_add_co_u32 v0, vcc_lo, s41, v0
	v_add_co_ci_u32_e32 v1, vcc_lo, s59, v1, vcc_lo
	s_delay_alu instid0(VALU_DEP_3)
	v_div_fixup_f32 v4, v7, v5, v6
	global_store_b64 v[0:1], v[3:4], off
.LBB14_275:                             ;   in Loop: Header=BB14_12 Depth=1
	s_or_b32 exec_lo, exec_lo, s56
	s_mov_b32 s5, -1
	s_mov_b32 s56, exec_lo
	v_cmpx_gt_i32_e32 0x47, v2
; %bb.276:                              ;   in Loop: Header=BB14_12 Depth=1
	v_cmp_eq_u32_e32 vcc_lo, 0, v2
	s_or_not1_b32 s5, vcc_lo, exec_lo
; %bb.277:                              ;   in Loop: Header=BB14_12 Depth=1
	s_or_b32 exec_lo, exec_lo, s56
	s_delay_alu instid0(SALU_CYCLE_1)
	s_and_b32 exec_lo, exec_lo, s5
	s_cbranch_execz .LBB14_340
; %bb.278:                              ;   in Loop: Header=BB14_12 Depth=1
	s_clause 0x1
	scratch_load_b32 v0, off, off offset:196
	scratch_load_b64 v[2:3], off, off offset:164
	s_waitcnt vmcnt(1)
	v_add_nc_u32_e32 v1, s66, v0
	s_waitcnt vmcnt(0)
	v_or_b32_e32 v0, s86, v2
	v_mov_b32_e32 v2, 0x47
	s_delay_alu instid0(VALU_DEP_3) | instskip(NEXT) | instid1(VALU_DEP_3)
	v_cmp_gt_i32_e32 vcc_lo, s8, v1
	v_cmp_gt_i32_e64 s5, s33, v0
	s_delay_alu instid0(VALU_DEP_1) | instskip(NEXT) | instid1(SALU_CYCLE_1)
	s_and_b32 s5, vcc_lo, s5
	s_and_saveexec_b32 s56, s5
	s_cbranch_execz .LBB14_280
; %bb.279:                              ;   in Loop: Header=BB14_12 Depth=1
	s_clause 0x1
	scratch_load_b32 v0, off, off offset:212
	scratch_load_b32 v2, off, off offset:216
	s_waitcnt vmcnt(1)
	v_add_nc_u32_e32 v0, 0, v0
	s_waitcnt vmcnt(0)
	ds_load_2addr_stride64_b32 v[2:3], v2 offset1:13
	ds_load_2addr_b32 v[4:5], v0 offset0:48 offset1:49
	ds_load_b32 v0, v0 offset:3520
	scratch_load_b64 v[13:14], off, off offset:164 ; 8-byte Folded Reload
	s_waitcnt lgkmcnt(1)
	v_fma_mix_f32 v6, v4, v2, 0 op_sel_hi:[0,1,0]
	v_fma_mix_f32 v2, v4, v2, 0 op_sel:[0,1,0] op_sel_hi:[0,1,0]
	s_waitcnt lgkmcnt(0)
	s_delay_alu instid0(VALU_DEP_2) | instskip(NEXT) | instid1(VALU_DEP_2)
	v_fma_mix_f32 v4, v0, v3, v6 op_sel_hi:[0,1,0]
	v_fma_mix_f32 v6, v0, v3, v2 op_sel:[0,1,0] op_sel_hi:[0,1,0]
	s_delay_alu instid0(VALU_DEP_2) | instskip(NEXT) | instid1(VALU_DEP_2)
	v_div_scale_f32 v7, null, v5, v5, v4
	v_div_scale_f32 v8, null, v5, v5, v6
	v_div_scale_f32 v11, vcc_lo, v4, v5, v4
	s_delay_alu instid0(VALU_DEP_3) | instskip(NEXT) | instid1(VALU_DEP_2)
	v_rcp_f32_e32 v9, v7
	v_rcp_f32_e32 v10, v8
	v_div_scale_f32 v12, s5, v6, v5, v6
	s_waitcnt_depctr 0xfff
	v_fma_f32 v0, -v7, v9, 1.0
	v_fma_f32 v2, -v8, v10, 1.0
	s_delay_alu instid0(VALU_DEP_1) | instskip(SKIP_2) | instid1(VALU_DEP_2)
	v_dual_fmac_f32 v9, v0, v9 :: v_dual_fmac_f32 v10, v2, v10
	s_waitcnt vmcnt(0)
	v_mad_u64_u32 v[2:3], null, v1, s9, v[13:14]
	v_mul_f32_e32 v3, v11, v9
	s_delay_alu instid0(VALU_DEP_3) | instskip(NEXT) | instid1(VALU_DEP_2)
	v_mul_f32_e32 v13, v12, v10
	v_fma_f32 v14, -v7, v3, v11
	s_delay_alu instid0(VALU_DEP_4) | instskip(NEXT) | instid1(VALU_DEP_2)
	v_mad_u64_u32 v[0:1], null, v2, 48, v[104:105]
	v_fmac_f32_e32 v3, v14, v9
	s_delay_alu instid0(VALU_DEP_2) | instskip(NEXT) | instid1(VALU_DEP_2)
	v_ashrrev_i32_e32 v1, 31, v0
	v_fma_f32 v2, -v7, v3, v11
	s_delay_alu instid0(VALU_DEP_2) | instskip(NEXT) | instid1(VALU_DEP_2)
	v_lshlrev_b64 v[0:1], 3, v[0:1]
	v_div_fmas_f32 v2, v2, v9, v3
	s_mov_b32 vcc_lo, s5
	s_delay_alu instid0(VALU_DEP_1) | instskip(SKIP_2) | instid1(VALU_DEP_1)
	v_div_fixup_f32 v3, v2, v5, v4
	v_mov_b32_e32 v2, 0
	v_fma_f32 v15, -v8, v13, v12
	v_fmac_f32_e32 v13, v15, v10
	s_delay_alu instid0(VALU_DEP_1) | instskip(NEXT) | instid1(VALU_DEP_1)
	v_fma_f32 v7, -v8, v13, v12
	v_div_fmas_f32 v7, v7, v10, v13
	v_add_co_u32 v0, vcc_lo, s41, v0
	v_add_co_ci_u32_e32 v1, vcc_lo, s59, v1, vcc_lo
	s_delay_alu instid0(VALU_DEP_3)
	v_div_fixup_f32 v4, v7, v5, v6
	global_store_b64 v[0:1], v[3:4], off
.LBB14_280:                             ;   in Loop: Header=BB14_12 Depth=1
	s_or_b32 exec_lo, exec_lo, s56
	s_mov_b32 s5, -1
	s_mov_b32 s56, exec_lo
	v_cmpx_gt_i32_e32 0x47, v2
; %bb.281:                              ;   in Loop: Header=BB14_12 Depth=1
	v_cmp_eq_u32_e32 vcc_lo, 0, v2
	s_or_not1_b32 s5, vcc_lo, exec_lo
; %bb.282:                              ;   in Loop: Header=BB14_12 Depth=1
	s_or_b32 exec_lo, exec_lo, s56
	s_delay_alu instid0(SALU_CYCLE_1)
	s_and_b32 exec_lo, exec_lo, s5
	s_cbranch_execz .LBB14_340
; %bb.283:                              ;   in Loop: Header=BB14_12 Depth=1
	s_clause 0x1
	scratch_load_b32 v0, off, off offset:232
	scratch_load_b64 v[2:3], off, off offset:204
	s_waitcnt vmcnt(1)
	v_add_nc_u32_e32 v1, s66, v0
	s_waitcnt vmcnt(0)
	v_or_b32_e32 v0, s86, v2
	v_mov_b32_e32 v2, 0x47
	s_delay_alu instid0(VALU_DEP_3) | instskip(NEXT) | instid1(VALU_DEP_3)
	v_cmp_gt_i32_e32 vcc_lo, s8, v1
	v_cmp_gt_i32_e64 s5, s33, v0
	s_delay_alu instid0(VALU_DEP_1) | instskip(NEXT) | instid1(SALU_CYCLE_1)
	s_and_b32 s5, vcc_lo, s5
	s_and_saveexec_b32 s56, s5
	s_cbranch_execz .LBB14_285
; %bb.284:                              ;   in Loop: Header=BB14_12 Depth=1
	s_clause 0x1
	scratch_load_b32 v0, off, off offset:252
	scratch_load_b32 v2, off, off offset:256
	s_waitcnt vmcnt(1)
	v_add_nc_u32_e32 v0, 0, v0
	s_waitcnt vmcnt(0)
	ds_load_2addr_stride64_b32 v[2:3], v2 offset1:13
	ds_load_2addr_b32 v[4:5], v0 offset0:48 offset1:49
	ds_load_b32 v0, v0 offset:3520
	scratch_load_b64 v[13:14], off, off offset:204 ; 8-byte Folded Reload
	s_waitcnt lgkmcnt(1)
	v_fma_mix_f32 v6, v4, v2, 0 op_sel_hi:[0,1,0]
	v_fma_mix_f32 v2, v4, v2, 0 op_sel:[0,1,0] op_sel_hi:[0,1,0]
	s_waitcnt lgkmcnt(0)
	s_delay_alu instid0(VALU_DEP_2) | instskip(NEXT) | instid1(VALU_DEP_2)
	v_fma_mix_f32 v4, v0, v3, v6 op_sel_hi:[0,1,0]
	v_fma_mix_f32 v6, v0, v3, v2 op_sel:[0,1,0] op_sel_hi:[0,1,0]
	s_delay_alu instid0(VALU_DEP_2) | instskip(NEXT) | instid1(VALU_DEP_2)
	v_div_scale_f32 v7, null, v5, v5, v4
	v_div_scale_f32 v8, null, v5, v5, v6
	v_div_scale_f32 v11, vcc_lo, v4, v5, v4
	s_delay_alu instid0(VALU_DEP_3) | instskip(NEXT) | instid1(VALU_DEP_2)
	v_rcp_f32_e32 v9, v7
	v_rcp_f32_e32 v10, v8
	v_div_scale_f32 v12, s5, v6, v5, v6
	s_waitcnt_depctr 0xfff
	v_fma_f32 v0, -v7, v9, 1.0
	v_fma_f32 v2, -v8, v10, 1.0
	s_delay_alu instid0(VALU_DEP_1) | instskip(SKIP_2) | instid1(VALU_DEP_2)
	v_dual_fmac_f32 v9, v0, v9 :: v_dual_fmac_f32 v10, v2, v10
	s_waitcnt vmcnt(0)
	v_mad_u64_u32 v[2:3], null, v1, s9, v[13:14]
	v_mul_f32_e32 v3, v11, v9
	s_delay_alu instid0(VALU_DEP_3) | instskip(NEXT) | instid1(VALU_DEP_2)
	v_mul_f32_e32 v13, v12, v10
	v_fma_f32 v14, -v7, v3, v11
	s_delay_alu instid0(VALU_DEP_4) | instskip(NEXT) | instid1(VALU_DEP_2)
	v_mad_u64_u32 v[0:1], null, v2, 48, v[104:105]
	v_fmac_f32_e32 v3, v14, v9
	s_delay_alu instid0(VALU_DEP_2) | instskip(NEXT) | instid1(VALU_DEP_2)
	v_ashrrev_i32_e32 v1, 31, v0
	v_fma_f32 v2, -v7, v3, v11
	s_delay_alu instid0(VALU_DEP_2) | instskip(NEXT) | instid1(VALU_DEP_2)
	v_lshlrev_b64 v[0:1], 3, v[0:1]
	v_div_fmas_f32 v2, v2, v9, v3
	s_mov_b32 vcc_lo, s5
	s_delay_alu instid0(VALU_DEP_1) | instskip(SKIP_2) | instid1(VALU_DEP_1)
	v_div_fixup_f32 v3, v2, v5, v4
	v_mov_b32_e32 v2, 0
	v_fma_f32 v15, -v8, v13, v12
	v_fmac_f32_e32 v13, v15, v10
	s_delay_alu instid0(VALU_DEP_1) | instskip(NEXT) | instid1(VALU_DEP_1)
	v_fma_f32 v7, -v8, v13, v12
	v_div_fmas_f32 v7, v7, v10, v13
	v_add_co_u32 v0, vcc_lo, s41, v0
	v_add_co_ci_u32_e32 v1, vcc_lo, s59, v1, vcc_lo
	s_delay_alu instid0(VALU_DEP_3)
	v_div_fixup_f32 v4, v7, v5, v6
	global_store_b64 v[0:1], v[3:4], off
.LBB14_285:                             ;   in Loop: Header=BB14_12 Depth=1
	s_or_b32 exec_lo, exec_lo, s56
	s_mov_b32 s5, -1
	s_mov_b32 s56, exec_lo
	v_cmpx_gt_i32_e32 0x47, v2
; %bb.286:                              ;   in Loop: Header=BB14_12 Depth=1
	v_cmp_eq_u32_e32 vcc_lo, 0, v2
	s_or_not1_b32 s5, vcc_lo, exec_lo
; %bb.287:                              ;   in Loop: Header=BB14_12 Depth=1
	s_or_b32 exec_lo, exec_lo, s56
	s_delay_alu instid0(SALU_CYCLE_1)
	s_and_b32 exec_lo, exec_lo, s5
	s_cbranch_execz .LBB14_340
; %bb.288:                              ;   in Loop: Header=BB14_12 Depth=1
	s_clause 0x1
	scratch_load_b32 v0, off, off offset:268
	scratch_load_b64 v[2:3], off, off offset:236
	s_waitcnt vmcnt(1)
	v_add_nc_u32_e32 v1, s66, v0
	s_waitcnt vmcnt(0)
	v_or_b32_e32 v0, s86, v2
	v_mov_b32_e32 v2, 0x47
	s_delay_alu instid0(VALU_DEP_3) | instskip(NEXT) | instid1(VALU_DEP_3)
	v_cmp_gt_i32_e32 vcc_lo, s8, v1
	v_cmp_gt_i32_e64 s5, s33, v0
	s_delay_alu instid0(VALU_DEP_1) | instskip(NEXT) | instid1(SALU_CYCLE_1)
	s_and_b32 s5, vcc_lo, s5
	s_and_saveexec_b32 s56, s5
	s_cbranch_execz .LBB14_290
; %bb.289:                              ;   in Loop: Header=BB14_12 Depth=1
	s_clause 0x1
	scratch_load_b32 v0, off, off offset:292
	scratch_load_b32 v2, off, off offset:296
	s_waitcnt vmcnt(1)
	v_add_nc_u32_e32 v0, 0, v0
	s_waitcnt vmcnt(0)
	ds_load_2addr_stride64_b32 v[2:3], v2 offset1:13
	ds_load_2addr_b32 v[4:5], v0 offset0:48 offset1:49
	ds_load_b32 v0, v0 offset:3520
	scratch_load_b64 v[13:14], off, off offset:236 ; 8-byte Folded Reload
	s_waitcnt lgkmcnt(1)
	v_fma_mix_f32 v6, v4, v2, 0 op_sel_hi:[0,1,0]
	v_fma_mix_f32 v2, v4, v2, 0 op_sel:[0,1,0] op_sel_hi:[0,1,0]
	s_waitcnt lgkmcnt(0)
	s_delay_alu instid0(VALU_DEP_2) | instskip(NEXT) | instid1(VALU_DEP_2)
	v_fma_mix_f32 v4, v0, v3, v6 op_sel_hi:[0,1,0]
	v_fma_mix_f32 v6, v0, v3, v2 op_sel:[0,1,0] op_sel_hi:[0,1,0]
	s_delay_alu instid0(VALU_DEP_2) | instskip(NEXT) | instid1(VALU_DEP_2)
	v_div_scale_f32 v7, null, v5, v5, v4
	v_div_scale_f32 v8, null, v5, v5, v6
	v_div_scale_f32 v11, vcc_lo, v4, v5, v4
	s_delay_alu instid0(VALU_DEP_3) | instskip(NEXT) | instid1(VALU_DEP_2)
	v_rcp_f32_e32 v9, v7
	v_rcp_f32_e32 v10, v8
	v_div_scale_f32 v12, s5, v6, v5, v6
	s_waitcnt_depctr 0xfff
	v_fma_f32 v0, -v7, v9, 1.0
	v_fma_f32 v2, -v8, v10, 1.0
	s_delay_alu instid0(VALU_DEP_1) | instskip(SKIP_2) | instid1(VALU_DEP_2)
	v_dual_fmac_f32 v9, v0, v9 :: v_dual_fmac_f32 v10, v2, v10
	s_waitcnt vmcnt(0)
	v_mad_u64_u32 v[2:3], null, v1, s9, v[13:14]
	v_mul_f32_e32 v3, v11, v9
	s_delay_alu instid0(VALU_DEP_3) | instskip(NEXT) | instid1(VALU_DEP_2)
	v_mul_f32_e32 v13, v12, v10
	v_fma_f32 v14, -v7, v3, v11
	s_delay_alu instid0(VALU_DEP_4) | instskip(NEXT) | instid1(VALU_DEP_2)
	v_mad_u64_u32 v[0:1], null, v2, 48, v[104:105]
	v_fmac_f32_e32 v3, v14, v9
	s_delay_alu instid0(VALU_DEP_2) | instskip(NEXT) | instid1(VALU_DEP_2)
	v_ashrrev_i32_e32 v1, 31, v0
	v_fma_f32 v2, -v7, v3, v11
	s_delay_alu instid0(VALU_DEP_2) | instskip(NEXT) | instid1(VALU_DEP_2)
	v_lshlrev_b64 v[0:1], 3, v[0:1]
	v_div_fmas_f32 v2, v2, v9, v3
	s_mov_b32 vcc_lo, s5
	s_delay_alu instid0(VALU_DEP_1) | instskip(SKIP_2) | instid1(VALU_DEP_1)
	v_div_fixup_f32 v3, v2, v5, v4
	v_mov_b32_e32 v2, 0
	v_fma_f32 v15, -v8, v13, v12
	v_fmac_f32_e32 v13, v15, v10
	s_delay_alu instid0(VALU_DEP_1) | instskip(NEXT) | instid1(VALU_DEP_1)
	v_fma_f32 v7, -v8, v13, v12
	v_div_fmas_f32 v7, v7, v10, v13
	v_add_co_u32 v0, vcc_lo, s41, v0
	v_add_co_ci_u32_e32 v1, vcc_lo, s59, v1, vcc_lo
	s_delay_alu instid0(VALU_DEP_3)
	v_div_fixup_f32 v4, v7, v5, v6
	global_store_b64 v[0:1], v[3:4], off
.LBB14_290:                             ;   in Loop: Header=BB14_12 Depth=1
	s_or_b32 exec_lo, exec_lo, s56
	s_mov_b32 s5, -1
	s_mov_b32 s56, exec_lo
	v_cmpx_gt_i32_e32 0x47, v2
; %bb.291:                              ;   in Loop: Header=BB14_12 Depth=1
	v_cmp_eq_u32_e32 vcc_lo, 0, v2
	s_or_not1_b32 s5, vcc_lo, exec_lo
; %bb.292:                              ;   in Loop: Header=BB14_12 Depth=1
	s_or_b32 exec_lo, exec_lo, s56
	s_delay_alu instid0(SALU_CYCLE_1)
	s_and_b32 exec_lo, exec_lo, s5
	s_cbranch_execz .LBB14_340
; %bb.293:                              ;   in Loop: Header=BB14_12 Depth=1
	s_clause 0x1
	scratch_load_b32 v0, off, off offset:308
	scratch_load_b64 v[2:3], off, off offset:276
	s_waitcnt vmcnt(1)
	v_add_nc_u32_e32 v1, s66, v0
	s_waitcnt vmcnt(0)
	v_or_b32_e32 v0, s86, v2
	v_mov_b32_e32 v2, 0x47
	s_delay_alu instid0(VALU_DEP_3) | instskip(NEXT) | instid1(VALU_DEP_3)
	v_cmp_gt_i32_e32 vcc_lo, s8, v1
	v_cmp_gt_i32_e64 s5, s33, v0
	s_delay_alu instid0(VALU_DEP_1) | instskip(NEXT) | instid1(SALU_CYCLE_1)
	s_and_b32 s5, vcc_lo, s5
	s_and_saveexec_b32 s56, s5
	s_cbranch_execz .LBB14_295
; %bb.294:                              ;   in Loop: Header=BB14_12 Depth=1
	s_clause 0x1
	scratch_load_b32 v0, off, off offset:332
	scratch_load_b32 v2, off, off offset:336
	s_waitcnt vmcnt(1)
	v_add_nc_u32_e32 v0, 0, v0
	s_waitcnt vmcnt(0)
	ds_load_2addr_stride64_b32 v[2:3], v2 offset1:13
	ds_load_2addr_b32 v[4:5], v0 offset0:48 offset1:49
	ds_load_b32 v0, v0 offset:3520
	scratch_load_b64 v[13:14], off, off offset:276 ; 8-byte Folded Reload
	s_waitcnt lgkmcnt(1)
	v_fma_mix_f32 v6, v4, v2, 0 op_sel_hi:[0,1,0]
	v_fma_mix_f32 v2, v4, v2, 0 op_sel:[0,1,0] op_sel_hi:[0,1,0]
	s_waitcnt lgkmcnt(0)
	s_delay_alu instid0(VALU_DEP_2) | instskip(NEXT) | instid1(VALU_DEP_2)
	v_fma_mix_f32 v4, v0, v3, v6 op_sel_hi:[0,1,0]
	v_fma_mix_f32 v6, v0, v3, v2 op_sel:[0,1,0] op_sel_hi:[0,1,0]
	s_delay_alu instid0(VALU_DEP_2) | instskip(NEXT) | instid1(VALU_DEP_2)
	v_div_scale_f32 v7, null, v5, v5, v4
	v_div_scale_f32 v8, null, v5, v5, v6
	v_div_scale_f32 v11, vcc_lo, v4, v5, v4
	s_delay_alu instid0(VALU_DEP_3) | instskip(NEXT) | instid1(VALU_DEP_2)
	v_rcp_f32_e32 v9, v7
	v_rcp_f32_e32 v10, v8
	v_div_scale_f32 v12, s5, v6, v5, v6
	s_waitcnt_depctr 0xfff
	v_fma_f32 v0, -v7, v9, 1.0
	v_fma_f32 v2, -v8, v10, 1.0
	s_delay_alu instid0(VALU_DEP_1) | instskip(SKIP_2) | instid1(VALU_DEP_2)
	v_dual_fmac_f32 v9, v0, v9 :: v_dual_fmac_f32 v10, v2, v10
	s_waitcnt vmcnt(0)
	v_mad_u64_u32 v[2:3], null, v1, s9, v[13:14]
	v_mul_f32_e32 v3, v11, v9
	s_delay_alu instid0(VALU_DEP_3) | instskip(NEXT) | instid1(VALU_DEP_2)
	v_mul_f32_e32 v13, v12, v10
	v_fma_f32 v14, -v7, v3, v11
	s_delay_alu instid0(VALU_DEP_4) | instskip(NEXT) | instid1(VALU_DEP_2)
	v_mad_u64_u32 v[0:1], null, v2, 48, v[104:105]
	v_fmac_f32_e32 v3, v14, v9
	s_delay_alu instid0(VALU_DEP_2) | instskip(NEXT) | instid1(VALU_DEP_2)
	v_ashrrev_i32_e32 v1, 31, v0
	v_fma_f32 v2, -v7, v3, v11
	s_delay_alu instid0(VALU_DEP_2) | instskip(NEXT) | instid1(VALU_DEP_2)
	v_lshlrev_b64 v[0:1], 3, v[0:1]
	v_div_fmas_f32 v2, v2, v9, v3
	s_mov_b32 vcc_lo, s5
	s_delay_alu instid0(VALU_DEP_1) | instskip(SKIP_2) | instid1(VALU_DEP_1)
	v_div_fixup_f32 v3, v2, v5, v4
	v_mov_b32_e32 v2, 0
	v_fma_f32 v15, -v8, v13, v12
	v_fmac_f32_e32 v13, v15, v10
	s_delay_alu instid0(VALU_DEP_1) | instskip(NEXT) | instid1(VALU_DEP_1)
	v_fma_f32 v7, -v8, v13, v12
	v_div_fmas_f32 v7, v7, v10, v13
	v_add_co_u32 v0, vcc_lo, s41, v0
	v_add_co_ci_u32_e32 v1, vcc_lo, s59, v1, vcc_lo
	s_delay_alu instid0(VALU_DEP_3)
	v_div_fixup_f32 v4, v7, v5, v6
	global_store_b64 v[0:1], v[3:4], off
.LBB14_295:                             ;   in Loop: Header=BB14_12 Depth=1
	s_or_b32 exec_lo, exec_lo, s56
	s_mov_b32 s5, -1
	s_mov_b32 s56, exec_lo
	v_cmpx_gt_i32_e32 0x47, v2
; %bb.296:                              ;   in Loop: Header=BB14_12 Depth=1
	v_cmp_eq_u32_e32 vcc_lo, 0, v2
	s_or_not1_b32 s5, vcc_lo, exec_lo
; %bb.297:                              ;   in Loop: Header=BB14_12 Depth=1
	s_or_b32 exec_lo, exec_lo, s56
	s_delay_alu instid0(SALU_CYCLE_1)
	s_and_b32 exec_lo, exec_lo, s5
	s_cbranch_execz .LBB14_340
; %bb.298:                              ;   in Loop: Header=BB14_12 Depth=1
	s_clause 0x1
	scratch_load_b32 v0, off, off offset:348
	scratch_load_b64 v[2:3], off, off offset:316
	s_waitcnt vmcnt(1)
	v_add_nc_u32_e32 v1, s66, v0
	s_waitcnt vmcnt(0)
	v_or_b32_e32 v0, s86, v2
	v_mov_b32_e32 v2, 0x47
	s_delay_alu instid0(VALU_DEP_3) | instskip(NEXT) | instid1(VALU_DEP_3)
	v_cmp_gt_i32_e32 vcc_lo, s8, v1
	v_cmp_gt_i32_e64 s5, s33, v0
	s_delay_alu instid0(VALU_DEP_1) | instskip(NEXT) | instid1(SALU_CYCLE_1)
	s_and_b32 s5, vcc_lo, s5
	s_and_saveexec_b32 s56, s5
	s_cbranch_execz .LBB14_300
; %bb.299:                              ;   in Loop: Header=BB14_12 Depth=1
	s_clause 0x1
	scratch_load_b32 v0, off, off offset:356
	scratch_load_b32 v2, off, off offset:360
	s_waitcnt vmcnt(1)
	v_add_nc_u32_e32 v0, 0, v0
	s_waitcnt vmcnt(0)
	ds_load_2addr_stride64_b32 v[2:3], v2 offset1:13
	ds_load_2addr_b32 v[4:5], v0 offset0:48 offset1:49
	ds_load_b32 v0, v0 offset:3520
	scratch_load_b64 v[13:14], off, off offset:316 ; 8-byte Folded Reload
	s_waitcnt lgkmcnt(1)
	v_fma_mix_f32 v6, v4, v2, 0 op_sel_hi:[0,1,0]
	v_fma_mix_f32 v2, v4, v2, 0 op_sel:[0,1,0] op_sel_hi:[0,1,0]
	s_waitcnt lgkmcnt(0)
	s_delay_alu instid0(VALU_DEP_2) | instskip(NEXT) | instid1(VALU_DEP_2)
	v_fma_mix_f32 v4, v0, v3, v6 op_sel_hi:[0,1,0]
	v_fma_mix_f32 v6, v0, v3, v2 op_sel:[0,1,0] op_sel_hi:[0,1,0]
	s_delay_alu instid0(VALU_DEP_2) | instskip(NEXT) | instid1(VALU_DEP_2)
	v_div_scale_f32 v7, null, v5, v5, v4
	v_div_scale_f32 v8, null, v5, v5, v6
	v_div_scale_f32 v11, vcc_lo, v4, v5, v4
	s_delay_alu instid0(VALU_DEP_3) | instskip(NEXT) | instid1(VALU_DEP_2)
	v_rcp_f32_e32 v9, v7
	v_rcp_f32_e32 v10, v8
	v_div_scale_f32 v12, s5, v6, v5, v6
	s_waitcnt_depctr 0xfff
	v_fma_f32 v0, -v7, v9, 1.0
	v_fma_f32 v2, -v8, v10, 1.0
	s_delay_alu instid0(VALU_DEP_1) | instskip(SKIP_2) | instid1(VALU_DEP_2)
	v_dual_fmac_f32 v9, v0, v9 :: v_dual_fmac_f32 v10, v2, v10
	s_waitcnt vmcnt(0)
	v_mad_u64_u32 v[2:3], null, v1, s9, v[13:14]
	v_mul_f32_e32 v3, v11, v9
	s_delay_alu instid0(VALU_DEP_3) | instskip(NEXT) | instid1(VALU_DEP_2)
	v_mul_f32_e32 v13, v12, v10
	v_fma_f32 v14, -v7, v3, v11
	s_delay_alu instid0(VALU_DEP_4) | instskip(NEXT) | instid1(VALU_DEP_2)
	v_mad_u64_u32 v[0:1], null, v2, 48, v[104:105]
	v_fmac_f32_e32 v3, v14, v9
	s_delay_alu instid0(VALU_DEP_2) | instskip(NEXT) | instid1(VALU_DEP_2)
	v_ashrrev_i32_e32 v1, 31, v0
	v_fma_f32 v2, -v7, v3, v11
	s_delay_alu instid0(VALU_DEP_2) | instskip(NEXT) | instid1(VALU_DEP_2)
	v_lshlrev_b64 v[0:1], 3, v[0:1]
	v_div_fmas_f32 v2, v2, v9, v3
	s_mov_b32 vcc_lo, s5
	s_delay_alu instid0(VALU_DEP_1) | instskip(SKIP_2) | instid1(VALU_DEP_1)
	v_div_fixup_f32 v3, v2, v5, v4
	v_mov_b32_e32 v2, 0
	v_fma_f32 v15, -v8, v13, v12
	v_fmac_f32_e32 v13, v15, v10
	s_delay_alu instid0(VALU_DEP_1) | instskip(NEXT) | instid1(VALU_DEP_1)
	v_fma_f32 v7, -v8, v13, v12
	v_div_fmas_f32 v7, v7, v10, v13
	v_add_co_u32 v0, vcc_lo, s41, v0
	v_add_co_ci_u32_e32 v1, vcc_lo, s59, v1, vcc_lo
	s_delay_alu instid0(VALU_DEP_3)
	v_div_fixup_f32 v4, v7, v5, v6
	global_store_b64 v[0:1], v[3:4], off
.LBB14_300:                             ;   in Loop: Header=BB14_12 Depth=1
	s_or_b32 exec_lo, exec_lo, s56
	s_mov_b32 s5, -1
	s_mov_b32 s56, exec_lo
	v_cmpx_gt_i32_e32 0x47, v2
; %bb.301:                              ;   in Loop: Header=BB14_12 Depth=1
	v_cmp_eq_u32_e32 vcc_lo, 0, v2
	s_or_not1_b32 s5, vcc_lo, exec_lo
; %bb.302:                              ;   in Loop: Header=BB14_12 Depth=1
	s_or_b32 exec_lo, exec_lo, s56
	s_delay_alu instid0(SALU_CYCLE_1)
	s_and_b32 exec_lo, exec_lo, s5
	s_cbranch_execz .LBB14_340
; %bb.303:                              ;   in Loop: Header=BB14_12 Depth=1
	scratch_load_b32 v0, off, off offset:364 ; 4-byte Folded Reload
	s_waitcnt vmcnt(0)
	v_dual_mov_b32 v2, 0x47 :: v_dual_add_nc_u32 v1, s66, v0
	s_delay_alu instid0(VALU_DEP_1) | instskip(SKIP_1) | instid1(SALU_CYCLE_1)
	v_cmp_gt_i32_e32 vcc_lo, s8, v1
	s_and_b32 s4, vcc_lo, s4
	s_and_saveexec_b32 s5, s4
	s_cbranch_execz .LBB14_305
; %bb.304:                              ;   in Loop: Header=BB14_12 Depth=1
	s_clause 0x1
	scratch_load_b32 v0, off, off offset:384
	scratch_load_b32 v2, off, off offset:388
	s_waitcnt vmcnt(1)
	v_add_nc_u32_e32 v0, 0, v0
	s_waitcnt vmcnt(0)
	ds_load_2addr_stride64_b32 v[2:3], v2 offset1:13
	ds_load_2addr_b32 v[4:5], v0 offset0:48 offset1:49
	ds_load_b32 v0, v0 offset:3520
	s_waitcnt lgkmcnt(1)
	v_fma_mix_f32 v6, v4, v2, 0 op_sel_hi:[0,1,0]
	v_fma_mix_f32 v2, v4, v2, 0 op_sel:[0,1,0] op_sel_hi:[0,1,0]
	s_waitcnt lgkmcnt(0)
	s_delay_alu instid0(VALU_DEP_2) | instskip(NEXT) | instid1(VALU_DEP_2)
	v_fma_mix_f32 v4, v0, v3, v6 op_sel_hi:[0,1,0]
	v_fma_mix_f32 v6, v0, v3, v2 op_sel:[0,1,0] op_sel_hi:[0,1,0]
	s_delay_alu instid0(VALU_DEP_2) | instskip(NEXT) | instid1(VALU_DEP_2)
	v_div_scale_f32 v7, null, v5, v5, v4
	v_div_scale_f32 v8, null, v5, v5, v6
	v_div_scale_f32 v11, vcc_lo, v4, v5, v4
	s_delay_alu instid0(VALU_DEP_3) | instskip(NEXT) | instid1(VALU_DEP_2)
	v_rcp_f32_e32 v9, v7
	v_rcp_f32_e32 v10, v8
	v_div_scale_f32 v12, s4, v6, v5, v6
	s_waitcnt_depctr 0xfff
	v_fma_f32 v0, -v7, v9, 1.0
	v_fma_f32 v2, -v8, v10, 1.0
	s_delay_alu instid0(VALU_DEP_1) | instskip(SKIP_1) | instid1(VALU_DEP_2)
	v_dual_fmac_f32 v9, v0, v9 :: v_dual_fmac_f32 v10, v2, v10
	v_mad_u64_u32 v[2:3], null, v1, s9, v[146:147]
	v_mul_f32_e32 v3, v11, v9
	s_delay_alu instid0(VALU_DEP_3) | instskip(NEXT) | instid1(VALU_DEP_3)
	v_mul_f32_e32 v13, v12, v10
	v_mad_u64_u32 v[0:1], null, v2, 48, v[104:105]
	s_delay_alu instid0(VALU_DEP_3) | instskip(NEXT) | instid1(VALU_DEP_1)
	v_fma_f32 v14, -v7, v3, v11
	v_fmac_f32_e32 v3, v14, v9
	s_delay_alu instid0(VALU_DEP_3) | instskip(NEXT) | instid1(VALU_DEP_2)
	v_ashrrev_i32_e32 v1, 31, v0
	v_fma_f32 v2, -v7, v3, v11
	s_delay_alu instid0(VALU_DEP_2) | instskip(NEXT) | instid1(VALU_DEP_2)
	v_lshlrev_b64 v[0:1], 3, v[0:1]
	v_div_fmas_f32 v2, v2, v9, v3
	s_mov_b32 vcc_lo, s4
	s_delay_alu instid0(VALU_DEP_1) | instskip(SKIP_2) | instid1(VALU_DEP_1)
	v_div_fixup_f32 v3, v2, v5, v4
	v_mov_b32_e32 v2, 0
	v_fma_f32 v15, -v8, v13, v12
	v_fmac_f32_e32 v13, v15, v10
	s_delay_alu instid0(VALU_DEP_1) | instskip(NEXT) | instid1(VALU_DEP_1)
	v_fma_f32 v7, -v8, v13, v12
	v_div_fmas_f32 v7, v7, v10, v13
	v_add_co_u32 v0, vcc_lo, s41, v0
	v_add_co_ci_u32_e32 v1, vcc_lo, s59, v1, vcc_lo
	s_delay_alu instid0(VALU_DEP_3)
	v_div_fixup_f32 v4, v7, v5, v6
	global_store_b64 v[0:1], v[3:4], off
.LBB14_305:                             ;   in Loop: Header=BB14_12 Depth=1
	s_or_b32 exec_lo, exec_lo, s5
	s_mov_b32 s4, -1
	s_mov_b32 s5, exec_lo
	v_cmpx_gt_i32_e32 0x47, v2
; %bb.306:                              ;   in Loop: Header=BB14_12 Depth=1
	v_cmp_eq_u32_e32 vcc_lo, 0, v2
	s_or_not1_b32 s4, vcc_lo, exec_lo
; %bb.307:                              ;   in Loop: Header=BB14_12 Depth=1
	s_or_b32 exec_lo, exec_lo, s5
	s_delay_alu instid0(SALU_CYCLE_1)
	s_and_b32 exec_lo, exec_lo, s4
	s_cbranch_execz .LBB14_340
; %bb.308:                              ;   in Loop: Header=BB14_12 Depth=1
	s_clause 0x1
	scratch_load_b32 v0, off, off offset:392
	scratch_load_b64 v[2:3], off, off offset:376
	s_waitcnt vmcnt(1)
	v_add_nc_u32_e32 v1, s66, v0
	s_waitcnt vmcnt(0)
	v_or_b32_e32 v0, s86, v2
	v_mov_b32_e32 v2, 0x47
	s_delay_alu instid0(VALU_DEP_3) | instskip(NEXT) | instid1(VALU_DEP_3)
	v_cmp_gt_i32_e32 vcc_lo, s8, v1
	v_cmp_gt_i32_e64 s4, s33, v0
	s_delay_alu instid0(VALU_DEP_1) | instskip(NEXT) | instid1(SALU_CYCLE_1)
	s_and_b32 s4, vcc_lo, s4
	s_and_saveexec_b32 s5, s4
	s_cbranch_execz .LBB14_310
; %bb.309:                              ;   in Loop: Header=BB14_12 Depth=1
	s_clause 0x1
	scratch_load_b32 v0, off, off offset:404
	scratch_load_b32 v2, off, off offset:408
	s_waitcnt vmcnt(1)
	v_add_nc_u32_e32 v0, 0, v0
	s_waitcnt vmcnt(0)
	ds_load_2addr_stride64_b32 v[2:3], v2 offset1:13
	ds_load_2addr_b32 v[4:5], v0 offset0:48 offset1:49
	ds_load_b32 v0, v0 offset:3520
	scratch_load_b64 v[13:14], off, off offset:376 ; 8-byte Folded Reload
	s_waitcnt lgkmcnt(1)
	v_fma_mix_f32 v6, v4, v2, 0 op_sel_hi:[0,1,0]
	v_fma_mix_f32 v2, v4, v2, 0 op_sel:[0,1,0] op_sel_hi:[0,1,0]
	s_waitcnt lgkmcnt(0)
	s_delay_alu instid0(VALU_DEP_2) | instskip(NEXT) | instid1(VALU_DEP_2)
	v_fma_mix_f32 v4, v0, v3, v6 op_sel_hi:[0,1,0]
	v_fma_mix_f32 v6, v0, v3, v2 op_sel:[0,1,0] op_sel_hi:[0,1,0]
	s_delay_alu instid0(VALU_DEP_2) | instskip(NEXT) | instid1(VALU_DEP_2)
	v_div_scale_f32 v7, null, v5, v5, v4
	v_div_scale_f32 v8, null, v5, v5, v6
	v_div_scale_f32 v11, vcc_lo, v4, v5, v4
	s_delay_alu instid0(VALU_DEP_3) | instskip(NEXT) | instid1(VALU_DEP_2)
	v_rcp_f32_e32 v9, v7
	v_rcp_f32_e32 v10, v8
	v_div_scale_f32 v12, s4, v6, v5, v6
	s_waitcnt_depctr 0xfff
	v_fma_f32 v0, -v7, v9, 1.0
	v_fma_f32 v2, -v8, v10, 1.0
	s_delay_alu instid0(VALU_DEP_1) | instskip(SKIP_2) | instid1(VALU_DEP_2)
	v_dual_fmac_f32 v9, v0, v9 :: v_dual_fmac_f32 v10, v2, v10
	s_waitcnt vmcnt(0)
	v_mad_u64_u32 v[2:3], null, v1, s9, v[13:14]
	v_mul_f32_e32 v3, v11, v9
	s_delay_alu instid0(VALU_DEP_3) | instskip(NEXT) | instid1(VALU_DEP_2)
	v_mul_f32_e32 v13, v12, v10
	v_fma_f32 v14, -v7, v3, v11
	s_delay_alu instid0(VALU_DEP_4) | instskip(NEXT) | instid1(VALU_DEP_2)
	v_mad_u64_u32 v[0:1], null, v2, 48, v[104:105]
	v_fmac_f32_e32 v3, v14, v9
	s_delay_alu instid0(VALU_DEP_2) | instskip(NEXT) | instid1(VALU_DEP_2)
	v_ashrrev_i32_e32 v1, 31, v0
	v_fma_f32 v2, -v7, v3, v11
	s_delay_alu instid0(VALU_DEP_2) | instskip(NEXT) | instid1(VALU_DEP_2)
	v_lshlrev_b64 v[0:1], 3, v[0:1]
	v_div_fmas_f32 v2, v2, v9, v3
	s_mov_b32 vcc_lo, s4
	s_delay_alu instid0(VALU_DEP_1) | instskip(SKIP_2) | instid1(VALU_DEP_1)
	v_div_fixup_f32 v3, v2, v5, v4
	v_mov_b32_e32 v2, 0
	v_fma_f32 v15, -v8, v13, v12
	v_fmac_f32_e32 v13, v15, v10
	s_delay_alu instid0(VALU_DEP_1) | instskip(NEXT) | instid1(VALU_DEP_1)
	v_fma_f32 v7, -v8, v13, v12
	v_div_fmas_f32 v7, v7, v10, v13
	v_add_co_u32 v0, vcc_lo, s41, v0
	v_add_co_ci_u32_e32 v1, vcc_lo, s59, v1, vcc_lo
	s_delay_alu instid0(VALU_DEP_3)
	v_div_fixup_f32 v4, v7, v5, v6
	global_store_b64 v[0:1], v[3:4], off
.LBB14_310:                             ;   in Loop: Header=BB14_12 Depth=1
	s_or_b32 exec_lo, exec_lo, s5
	s_mov_b32 s4, -1
	s_mov_b32 s5, exec_lo
	v_cmpx_gt_i32_e32 0x47, v2
; %bb.311:                              ;   in Loop: Header=BB14_12 Depth=1
	v_cmp_eq_u32_e32 vcc_lo, 0, v2
	s_or_not1_b32 s4, vcc_lo, exec_lo
; %bb.312:                              ;   in Loop: Header=BB14_12 Depth=1
	s_or_b32 exec_lo, exec_lo, s5
	s_delay_alu instid0(SALU_CYCLE_1)
	s_and_b32 exec_lo, exec_lo, s4
	s_cbranch_execz .LBB14_340
; %bb.313:                              ;   in Loop: Header=BB14_12 Depth=1
	s_clause 0x1
	scratch_load_b32 v0, off, off offset:412
	scratch_load_b64 v[2:3], off, off offset:396
	s_waitcnt vmcnt(1)
	v_add_nc_u32_e32 v1, s66, v0
	s_waitcnt vmcnt(0)
	v_or_b32_e32 v0, s86, v2
	v_mov_b32_e32 v2, 0x47
	s_delay_alu instid0(VALU_DEP_3) | instskip(NEXT) | instid1(VALU_DEP_3)
	v_cmp_gt_i32_e32 vcc_lo, s8, v1
	v_cmp_gt_i32_e64 s4, s33, v0
	s_delay_alu instid0(VALU_DEP_1) | instskip(NEXT) | instid1(SALU_CYCLE_1)
	s_and_b32 s4, vcc_lo, s4
	s_and_saveexec_b32 s5, s4
	s_cbranch_execz .LBB14_315
; %bb.314:                              ;   in Loop: Header=BB14_12 Depth=1
	s_clause 0x1
	scratch_load_b32 v0, off, off offset:424
	scratch_load_b32 v2, off, off offset:428
	s_waitcnt vmcnt(1)
	v_add_nc_u32_e32 v0, 0, v0
	s_waitcnt vmcnt(0)
	ds_load_2addr_stride64_b32 v[2:3], v2 offset1:13
	ds_load_2addr_b32 v[4:5], v0 offset0:48 offset1:49
	ds_load_b32 v0, v0 offset:3520
	scratch_load_b64 v[13:14], off, off offset:396 ; 8-byte Folded Reload
	s_waitcnt lgkmcnt(1)
	v_fma_mix_f32 v6, v4, v2, 0 op_sel_hi:[0,1,0]
	v_fma_mix_f32 v2, v4, v2, 0 op_sel:[0,1,0] op_sel_hi:[0,1,0]
	s_waitcnt lgkmcnt(0)
	s_delay_alu instid0(VALU_DEP_2) | instskip(NEXT) | instid1(VALU_DEP_2)
	v_fma_mix_f32 v4, v0, v3, v6 op_sel_hi:[0,1,0]
	v_fma_mix_f32 v6, v0, v3, v2 op_sel:[0,1,0] op_sel_hi:[0,1,0]
	s_delay_alu instid0(VALU_DEP_2) | instskip(NEXT) | instid1(VALU_DEP_2)
	v_div_scale_f32 v7, null, v5, v5, v4
	v_div_scale_f32 v8, null, v5, v5, v6
	v_div_scale_f32 v11, vcc_lo, v4, v5, v4
	s_delay_alu instid0(VALU_DEP_3) | instskip(NEXT) | instid1(VALU_DEP_2)
	v_rcp_f32_e32 v9, v7
	v_rcp_f32_e32 v10, v8
	v_div_scale_f32 v12, s4, v6, v5, v6
	s_waitcnt_depctr 0xfff
	v_fma_f32 v0, -v7, v9, 1.0
	v_fma_f32 v2, -v8, v10, 1.0
	s_delay_alu instid0(VALU_DEP_1) | instskip(SKIP_2) | instid1(VALU_DEP_2)
	v_dual_fmac_f32 v9, v0, v9 :: v_dual_fmac_f32 v10, v2, v10
	s_waitcnt vmcnt(0)
	v_mad_u64_u32 v[2:3], null, v1, s9, v[13:14]
	v_mul_f32_e32 v3, v11, v9
	s_delay_alu instid0(VALU_DEP_3) | instskip(NEXT) | instid1(VALU_DEP_2)
	v_mul_f32_e32 v13, v12, v10
	v_fma_f32 v14, -v7, v3, v11
	s_delay_alu instid0(VALU_DEP_4) | instskip(NEXT) | instid1(VALU_DEP_2)
	v_mad_u64_u32 v[0:1], null, v2, 48, v[104:105]
	v_fmac_f32_e32 v3, v14, v9
	s_delay_alu instid0(VALU_DEP_2) | instskip(NEXT) | instid1(VALU_DEP_2)
	v_ashrrev_i32_e32 v1, 31, v0
	v_fma_f32 v2, -v7, v3, v11
	s_delay_alu instid0(VALU_DEP_2) | instskip(NEXT) | instid1(VALU_DEP_2)
	v_lshlrev_b64 v[0:1], 3, v[0:1]
	v_div_fmas_f32 v2, v2, v9, v3
	s_mov_b32 vcc_lo, s4
	s_delay_alu instid0(VALU_DEP_1) | instskip(SKIP_2) | instid1(VALU_DEP_1)
	v_div_fixup_f32 v3, v2, v5, v4
	v_mov_b32_e32 v2, 0
	v_fma_f32 v15, -v8, v13, v12
	v_fmac_f32_e32 v13, v15, v10
	s_delay_alu instid0(VALU_DEP_1) | instskip(NEXT) | instid1(VALU_DEP_1)
	v_fma_f32 v7, -v8, v13, v12
	v_div_fmas_f32 v7, v7, v10, v13
	v_add_co_u32 v0, vcc_lo, s41, v0
	v_add_co_ci_u32_e32 v1, vcc_lo, s59, v1, vcc_lo
	s_delay_alu instid0(VALU_DEP_3)
	v_div_fixup_f32 v4, v7, v5, v6
	global_store_b64 v[0:1], v[3:4], off
.LBB14_315:                             ;   in Loop: Header=BB14_12 Depth=1
	s_or_b32 exec_lo, exec_lo, s5
	s_mov_b32 s4, -1
	s_mov_b32 s5, exec_lo
	v_cmpx_gt_i32_e32 0x47, v2
; %bb.316:                              ;   in Loop: Header=BB14_12 Depth=1
	v_cmp_eq_u32_e32 vcc_lo, 0, v2
	s_or_not1_b32 s4, vcc_lo, exec_lo
; %bb.317:                              ;   in Loop: Header=BB14_12 Depth=1
	s_or_b32 exec_lo, exec_lo, s5
	s_delay_alu instid0(SALU_CYCLE_1)
	s_and_b32 exec_lo, exec_lo, s4
	s_cbranch_execz .LBB14_340
; %bb.318:                              ;   in Loop: Header=BB14_12 Depth=1
	s_clause 0x1
	scratch_load_b32 v0, off, off offset:432
	scratch_load_b64 v[2:3], off, off offset:416
	s_waitcnt vmcnt(1)
	v_add_nc_u32_e32 v1, s66, v0
	s_waitcnt vmcnt(0)
	v_or_b32_e32 v0, s86, v2
	v_mov_b32_e32 v2, 0x47
	s_delay_alu instid0(VALU_DEP_3) | instskip(NEXT) | instid1(VALU_DEP_3)
	v_cmp_gt_i32_e32 vcc_lo, s8, v1
	v_cmp_gt_i32_e64 s4, s33, v0
	s_delay_alu instid0(VALU_DEP_1) | instskip(NEXT) | instid1(SALU_CYCLE_1)
	s_and_b32 s4, vcc_lo, s4
	s_and_saveexec_b32 s5, s4
	s_cbranch_execz .LBB14_320
; %bb.319:                              ;   in Loop: Header=BB14_12 Depth=1
	s_clause 0x1
	scratch_load_b32 v0, off, off offset:444
	scratch_load_b32 v2, off, off offset:448
	s_waitcnt vmcnt(1)
	v_add_nc_u32_e32 v0, 0, v0
	s_waitcnt vmcnt(0)
	ds_load_2addr_stride64_b32 v[2:3], v2 offset1:13
	ds_load_2addr_b32 v[4:5], v0 offset0:48 offset1:49
	ds_load_b32 v0, v0 offset:3520
	scratch_load_b64 v[13:14], off, off offset:416 ; 8-byte Folded Reload
	s_waitcnt lgkmcnt(1)
	v_fma_mix_f32 v6, v4, v2, 0 op_sel_hi:[0,1,0]
	v_fma_mix_f32 v2, v4, v2, 0 op_sel:[0,1,0] op_sel_hi:[0,1,0]
	s_waitcnt lgkmcnt(0)
	s_delay_alu instid0(VALU_DEP_2) | instskip(NEXT) | instid1(VALU_DEP_2)
	v_fma_mix_f32 v4, v0, v3, v6 op_sel_hi:[0,1,0]
	v_fma_mix_f32 v6, v0, v3, v2 op_sel:[0,1,0] op_sel_hi:[0,1,0]
	s_delay_alu instid0(VALU_DEP_2) | instskip(NEXT) | instid1(VALU_DEP_2)
	v_div_scale_f32 v7, null, v5, v5, v4
	v_div_scale_f32 v8, null, v5, v5, v6
	v_div_scale_f32 v11, vcc_lo, v4, v5, v4
	s_delay_alu instid0(VALU_DEP_3) | instskip(NEXT) | instid1(VALU_DEP_2)
	v_rcp_f32_e32 v9, v7
	v_rcp_f32_e32 v10, v8
	v_div_scale_f32 v12, s4, v6, v5, v6
	s_waitcnt_depctr 0xfff
	v_fma_f32 v0, -v7, v9, 1.0
	v_fma_f32 v2, -v8, v10, 1.0
	s_delay_alu instid0(VALU_DEP_1) | instskip(SKIP_2) | instid1(VALU_DEP_2)
	v_dual_fmac_f32 v9, v0, v9 :: v_dual_fmac_f32 v10, v2, v10
	s_waitcnt vmcnt(0)
	v_mad_u64_u32 v[2:3], null, v1, s9, v[13:14]
	v_mul_f32_e32 v3, v11, v9
	s_delay_alu instid0(VALU_DEP_3) | instskip(NEXT) | instid1(VALU_DEP_2)
	v_mul_f32_e32 v13, v12, v10
	v_fma_f32 v14, -v7, v3, v11
	s_delay_alu instid0(VALU_DEP_4) | instskip(NEXT) | instid1(VALU_DEP_2)
	v_mad_u64_u32 v[0:1], null, v2, 48, v[104:105]
	v_fmac_f32_e32 v3, v14, v9
	s_delay_alu instid0(VALU_DEP_2) | instskip(NEXT) | instid1(VALU_DEP_2)
	v_ashrrev_i32_e32 v1, 31, v0
	v_fma_f32 v2, -v7, v3, v11
	s_delay_alu instid0(VALU_DEP_2) | instskip(NEXT) | instid1(VALU_DEP_2)
	v_lshlrev_b64 v[0:1], 3, v[0:1]
	v_div_fmas_f32 v2, v2, v9, v3
	s_mov_b32 vcc_lo, s4
	s_delay_alu instid0(VALU_DEP_1) | instskip(SKIP_2) | instid1(VALU_DEP_1)
	v_div_fixup_f32 v3, v2, v5, v4
	v_mov_b32_e32 v2, 0
	v_fma_f32 v15, -v8, v13, v12
	v_fmac_f32_e32 v13, v15, v10
	s_delay_alu instid0(VALU_DEP_1) | instskip(NEXT) | instid1(VALU_DEP_1)
	v_fma_f32 v7, -v8, v13, v12
	v_div_fmas_f32 v7, v7, v10, v13
	v_add_co_u32 v0, vcc_lo, s41, v0
	v_add_co_ci_u32_e32 v1, vcc_lo, s59, v1, vcc_lo
	s_delay_alu instid0(VALU_DEP_3)
	v_div_fixup_f32 v4, v7, v5, v6
	global_store_b64 v[0:1], v[3:4], off
.LBB14_320:                             ;   in Loop: Header=BB14_12 Depth=1
	s_or_b32 exec_lo, exec_lo, s5
	s_mov_b32 s4, -1
	s_mov_b32 s5, exec_lo
	v_cmpx_gt_i32_e32 0x47, v2
; %bb.321:                              ;   in Loop: Header=BB14_12 Depth=1
	v_cmp_eq_u32_e32 vcc_lo, 0, v2
	s_or_not1_b32 s4, vcc_lo, exec_lo
; %bb.322:                              ;   in Loop: Header=BB14_12 Depth=1
	s_or_b32 exec_lo, exec_lo, s5
	s_delay_alu instid0(SALU_CYCLE_1)
	s_and_b32 exec_lo, exec_lo, s4
	s_cbranch_execz .LBB14_340
; %bb.323:                              ;   in Loop: Header=BB14_12 Depth=1
	s_clause 0x1
	scratch_load_b32 v0, off, off offset:452
	scratch_load_b64 v[2:3], off, off offset:436
	s_waitcnt vmcnt(1)
	v_add_nc_u32_e32 v1, s66, v0
	s_waitcnt vmcnt(0)
	v_or_b32_e32 v0, s86, v2
	v_mov_b32_e32 v2, 0x47
	s_delay_alu instid0(VALU_DEP_3) | instskip(NEXT) | instid1(VALU_DEP_3)
	v_cmp_gt_i32_e32 vcc_lo, s8, v1
	v_cmp_gt_i32_e64 s4, s33, v0
	s_delay_alu instid0(VALU_DEP_1) | instskip(NEXT) | instid1(SALU_CYCLE_1)
	s_and_b32 s4, vcc_lo, s4
	s_and_saveexec_b32 s5, s4
	s_cbranch_execz .LBB14_325
; %bb.324:                              ;   in Loop: Header=BB14_12 Depth=1
	s_clause 0x1
	scratch_load_b32 v0, off, off offset:464
	scratch_load_b32 v2, off, off offset:468
	s_waitcnt vmcnt(1)
	v_add_nc_u32_e32 v0, 0, v0
	s_waitcnt vmcnt(0)
	ds_load_2addr_stride64_b32 v[2:3], v2 offset1:13
	ds_load_2addr_b32 v[4:5], v0 offset0:48 offset1:49
	ds_load_b32 v0, v0 offset:3520
	scratch_load_b64 v[13:14], off, off offset:436 ; 8-byte Folded Reload
	s_waitcnt lgkmcnt(1)
	v_fma_mix_f32 v6, v4, v2, 0 op_sel_hi:[0,1,0]
	v_fma_mix_f32 v2, v4, v2, 0 op_sel:[0,1,0] op_sel_hi:[0,1,0]
	s_waitcnt lgkmcnt(0)
	s_delay_alu instid0(VALU_DEP_2) | instskip(NEXT) | instid1(VALU_DEP_2)
	v_fma_mix_f32 v4, v0, v3, v6 op_sel_hi:[0,1,0]
	v_fma_mix_f32 v6, v0, v3, v2 op_sel:[0,1,0] op_sel_hi:[0,1,0]
	s_delay_alu instid0(VALU_DEP_2) | instskip(NEXT) | instid1(VALU_DEP_2)
	v_div_scale_f32 v7, null, v5, v5, v4
	v_div_scale_f32 v8, null, v5, v5, v6
	v_div_scale_f32 v11, vcc_lo, v4, v5, v4
	s_delay_alu instid0(VALU_DEP_3) | instskip(NEXT) | instid1(VALU_DEP_2)
	v_rcp_f32_e32 v9, v7
	v_rcp_f32_e32 v10, v8
	v_div_scale_f32 v12, s4, v6, v5, v6
	s_waitcnt_depctr 0xfff
	v_fma_f32 v0, -v7, v9, 1.0
	v_fma_f32 v2, -v8, v10, 1.0
	s_delay_alu instid0(VALU_DEP_1) | instskip(SKIP_2) | instid1(VALU_DEP_2)
	v_dual_fmac_f32 v9, v0, v9 :: v_dual_fmac_f32 v10, v2, v10
	s_waitcnt vmcnt(0)
	v_mad_u64_u32 v[2:3], null, v1, s9, v[13:14]
	v_mul_f32_e32 v3, v11, v9
	s_delay_alu instid0(VALU_DEP_3) | instskip(NEXT) | instid1(VALU_DEP_2)
	v_mul_f32_e32 v13, v12, v10
	v_fma_f32 v14, -v7, v3, v11
	s_delay_alu instid0(VALU_DEP_4) | instskip(NEXT) | instid1(VALU_DEP_2)
	v_mad_u64_u32 v[0:1], null, v2, 48, v[104:105]
	v_fmac_f32_e32 v3, v14, v9
	s_delay_alu instid0(VALU_DEP_2) | instskip(NEXT) | instid1(VALU_DEP_2)
	v_ashrrev_i32_e32 v1, 31, v0
	v_fma_f32 v2, -v7, v3, v11
	s_delay_alu instid0(VALU_DEP_2) | instskip(NEXT) | instid1(VALU_DEP_2)
	v_lshlrev_b64 v[0:1], 3, v[0:1]
	v_div_fmas_f32 v2, v2, v9, v3
	s_mov_b32 vcc_lo, s4
	s_delay_alu instid0(VALU_DEP_1) | instskip(SKIP_2) | instid1(VALU_DEP_1)
	v_div_fixup_f32 v3, v2, v5, v4
	v_mov_b32_e32 v2, 0
	v_fma_f32 v15, -v8, v13, v12
	v_fmac_f32_e32 v13, v15, v10
	s_delay_alu instid0(VALU_DEP_1) | instskip(NEXT) | instid1(VALU_DEP_1)
	v_fma_f32 v7, -v8, v13, v12
	v_div_fmas_f32 v7, v7, v10, v13
	v_add_co_u32 v0, vcc_lo, s41, v0
	v_add_co_ci_u32_e32 v1, vcc_lo, s59, v1, vcc_lo
	s_delay_alu instid0(VALU_DEP_3)
	v_div_fixup_f32 v4, v7, v5, v6
	global_store_b64 v[0:1], v[3:4], off
.LBB14_325:                             ;   in Loop: Header=BB14_12 Depth=1
	s_or_b32 exec_lo, exec_lo, s5
	s_mov_b32 s4, -1
	s_mov_b32 s5, exec_lo
	v_cmpx_gt_i32_e32 0x47, v2
; %bb.326:                              ;   in Loop: Header=BB14_12 Depth=1
	v_cmp_eq_u32_e32 vcc_lo, 0, v2
	s_or_not1_b32 s4, vcc_lo, exec_lo
; %bb.327:                              ;   in Loop: Header=BB14_12 Depth=1
	s_or_b32 exec_lo, exec_lo, s5
	s_delay_alu instid0(SALU_CYCLE_1)
	s_and_b32 exec_lo, exec_lo, s4
	s_cbranch_execz .LBB14_340
; %bb.328:                              ;   in Loop: Header=BB14_12 Depth=1
	s_clause 0x1
	scratch_load_b32 v0, off, off offset:472
	scratch_load_b64 v[2:3], off, off offset:456
	s_waitcnt vmcnt(1)
	v_add_nc_u32_e32 v1, s66, v0
	s_waitcnt vmcnt(0)
	v_or_b32_e32 v0, s86, v2
	v_mov_b32_e32 v2, 0x47
	s_delay_alu instid0(VALU_DEP_3) | instskip(NEXT) | instid1(VALU_DEP_3)
	v_cmp_gt_i32_e32 vcc_lo, s8, v1
	v_cmp_gt_i32_e64 s4, s33, v0
	s_delay_alu instid0(VALU_DEP_1) | instskip(NEXT) | instid1(SALU_CYCLE_1)
	s_and_b32 s4, vcc_lo, s4
	s_and_saveexec_b32 s5, s4
	s_cbranch_execz .LBB14_330
; %bb.329:                              ;   in Loop: Header=BB14_12 Depth=1
	s_clause 0x1
	scratch_load_b32 v0, off, off offset:484
	scratch_load_b32 v2, off, off offset:488
	s_waitcnt vmcnt(1)
	v_add_nc_u32_e32 v0, 0, v0
	s_waitcnt vmcnt(0)
	ds_load_2addr_stride64_b32 v[2:3], v2 offset1:13
	ds_load_2addr_b32 v[4:5], v0 offset0:48 offset1:49
	ds_load_b32 v0, v0 offset:3520
	scratch_load_b64 v[13:14], off, off offset:456 ; 8-byte Folded Reload
	s_waitcnt lgkmcnt(1)
	v_fma_mix_f32 v6, v4, v2, 0 op_sel_hi:[0,1,0]
	v_fma_mix_f32 v2, v4, v2, 0 op_sel:[0,1,0] op_sel_hi:[0,1,0]
	s_waitcnt lgkmcnt(0)
	s_delay_alu instid0(VALU_DEP_2) | instskip(NEXT) | instid1(VALU_DEP_2)
	v_fma_mix_f32 v4, v0, v3, v6 op_sel_hi:[0,1,0]
	v_fma_mix_f32 v6, v0, v3, v2 op_sel:[0,1,0] op_sel_hi:[0,1,0]
	s_delay_alu instid0(VALU_DEP_2) | instskip(NEXT) | instid1(VALU_DEP_2)
	v_div_scale_f32 v7, null, v5, v5, v4
	v_div_scale_f32 v8, null, v5, v5, v6
	v_div_scale_f32 v11, vcc_lo, v4, v5, v4
	s_delay_alu instid0(VALU_DEP_3) | instskip(NEXT) | instid1(VALU_DEP_2)
	v_rcp_f32_e32 v9, v7
	v_rcp_f32_e32 v10, v8
	v_div_scale_f32 v12, s4, v6, v5, v6
	s_waitcnt_depctr 0xfff
	v_fma_f32 v0, -v7, v9, 1.0
	v_fma_f32 v2, -v8, v10, 1.0
	s_delay_alu instid0(VALU_DEP_1) | instskip(SKIP_2) | instid1(VALU_DEP_2)
	v_dual_fmac_f32 v9, v0, v9 :: v_dual_fmac_f32 v10, v2, v10
	s_waitcnt vmcnt(0)
	v_mad_u64_u32 v[2:3], null, v1, s9, v[13:14]
	v_mul_f32_e32 v3, v11, v9
	s_delay_alu instid0(VALU_DEP_3) | instskip(NEXT) | instid1(VALU_DEP_2)
	v_mul_f32_e32 v13, v12, v10
	v_fma_f32 v14, -v7, v3, v11
	s_delay_alu instid0(VALU_DEP_4) | instskip(NEXT) | instid1(VALU_DEP_2)
	v_mad_u64_u32 v[0:1], null, v2, 48, v[104:105]
	v_fmac_f32_e32 v3, v14, v9
	s_delay_alu instid0(VALU_DEP_2) | instskip(NEXT) | instid1(VALU_DEP_2)
	v_ashrrev_i32_e32 v1, 31, v0
	v_fma_f32 v2, -v7, v3, v11
	s_delay_alu instid0(VALU_DEP_2) | instskip(NEXT) | instid1(VALU_DEP_2)
	v_lshlrev_b64 v[0:1], 3, v[0:1]
	v_div_fmas_f32 v2, v2, v9, v3
	s_mov_b32 vcc_lo, s4
	s_delay_alu instid0(VALU_DEP_1) | instskip(SKIP_2) | instid1(VALU_DEP_1)
	v_div_fixup_f32 v3, v2, v5, v4
	v_mov_b32_e32 v2, 0
	v_fma_f32 v15, -v8, v13, v12
	v_fmac_f32_e32 v13, v15, v10
	s_delay_alu instid0(VALU_DEP_1) | instskip(NEXT) | instid1(VALU_DEP_1)
	v_fma_f32 v7, -v8, v13, v12
	v_div_fmas_f32 v7, v7, v10, v13
	v_add_co_u32 v0, vcc_lo, s41, v0
	v_add_co_ci_u32_e32 v1, vcc_lo, s59, v1, vcc_lo
	s_delay_alu instid0(VALU_DEP_3)
	v_div_fixup_f32 v4, v7, v5, v6
	global_store_b64 v[0:1], v[3:4], off
.LBB14_330:                             ;   in Loop: Header=BB14_12 Depth=1
	s_or_b32 exec_lo, exec_lo, s5
	s_mov_b32 s4, -1
	s_mov_b32 s5, exec_lo
	v_cmpx_gt_i32_e32 0x47, v2
; %bb.331:                              ;   in Loop: Header=BB14_12 Depth=1
	v_cmp_eq_u32_e32 vcc_lo, 0, v2
	s_or_not1_b32 s4, vcc_lo, exec_lo
; %bb.332:                              ;   in Loop: Header=BB14_12 Depth=1
	s_or_b32 exec_lo, exec_lo, s5
	s_delay_alu instid0(SALU_CYCLE_1)
	s_and_b32 exec_lo, exec_lo, s4
	s_cbranch_execz .LBB14_340
; %bb.333:                              ;   in Loop: Header=BB14_12 Depth=1
	s_clause 0x1
	scratch_load_b32 v0, off, off offset:492
	scratch_load_b64 v[2:3], off, off offset:476
	s_waitcnt vmcnt(1)
	v_add_nc_u32_e32 v1, s66, v0
	s_waitcnt vmcnt(0)
	v_or_b32_e32 v0, s86, v2
	v_mov_b32_e32 v2, 0x47
	s_delay_alu instid0(VALU_DEP_3) | instskip(NEXT) | instid1(VALU_DEP_3)
	v_cmp_gt_i32_e32 vcc_lo, s8, v1
	v_cmp_gt_i32_e64 s4, s33, v0
	s_delay_alu instid0(VALU_DEP_1) | instskip(NEXT) | instid1(SALU_CYCLE_1)
	s_and_b32 s4, vcc_lo, s4
	s_and_saveexec_b32 s5, s4
	s_cbranch_execz .LBB14_335
; %bb.334:                              ;   in Loop: Header=BB14_12 Depth=1
	s_clause 0x1
	scratch_load_b32 v0, off, off offset:504
	scratch_load_b32 v2, off, off offset:508
	s_waitcnt vmcnt(1)
	v_add_nc_u32_e32 v0, 0, v0
	s_waitcnt vmcnt(0)
	ds_load_2addr_stride64_b32 v[2:3], v2 offset1:13
	ds_load_2addr_b32 v[4:5], v0 offset0:48 offset1:49
	ds_load_b32 v0, v0 offset:3520
	scratch_load_b64 v[13:14], off, off offset:476 ; 8-byte Folded Reload
	s_waitcnt lgkmcnt(1)
	v_fma_mix_f32 v6, v4, v2, 0 op_sel_hi:[0,1,0]
	v_fma_mix_f32 v2, v4, v2, 0 op_sel:[0,1,0] op_sel_hi:[0,1,0]
	s_waitcnt lgkmcnt(0)
	s_delay_alu instid0(VALU_DEP_2) | instskip(NEXT) | instid1(VALU_DEP_2)
	v_fma_mix_f32 v4, v0, v3, v6 op_sel_hi:[0,1,0]
	v_fma_mix_f32 v6, v0, v3, v2 op_sel:[0,1,0] op_sel_hi:[0,1,0]
	s_delay_alu instid0(VALU_DEP_2) | instskip(NEXT) | instid1(VALU_DEP_2)
	v_div_scale_f32 v7, null, v5, v5, v4
	v_div_scale_f32 v8, null, v5, v5, v6
	v_div_scale_f32 v11, vcc_lo, v4, v5, v4
	s_delay_alu instid0(VALU_DEP_3) | instskip(NEXT) | instid1(VALU_DEP_2)
	v_rcp_f32_e32 v9, v7
	v_rcp_f32_e32 v10, v8
	v_div_scale_f32 v12, s4, v6, v5, v6
	s_waitcnt_depctr 0xfff
	v_fma_f32 v0, -v7, v9, 1.0
	v_fma_f32 v2, -v8, v10, 1.0
	s_delay_alu instid0(VALU_DEP_1) | instskip(SKIP_2) | instid1(VALU_DEP_2)
	v_dual_fmac_f32 v9, v0, v9 :: v_dual_fmac_f32 v10, v2, v10
	s_waitcnt vmcnt(0)
	v_mad_u64_u32 v[2:3], null, v1, s9, v[13:14]
	v_mul_f32_e32 v3, v11, v9
	s_delay_alu instid0(VALU_DEP_3) | instskip(NEXT) | instid1(VALU_DEP_2)
	v_mul_f32_e32 v13, v12, v10
	v_fma_f32 v14, -v7, v3, v11
	s_delay_alu instid0(VALU_DEP_4) | instskip(NEXT) | instid1(VALU_DEP_2)
	v_mad_u64_u32 v[0:1], null, v2, 48, v[104:105]
	v_fmac_f32_e32 v3, v14, v9
	s_delay_alu instid0(VALU_DEP_2) | instskip(NEXT) | instid1(VALU_DEP_2)
	v_ashrrev_i32_e32 v1, 31, v0
	v_fma_f32 v2, -v7, v3, v11
	s_delay_alu instid0(VALU_DEP_2) | instskip(NEXT) | instid1(VALU_DEP_2)
	v_lshlrev_b64 v[0:1], 3, v[0:1]
	v_div_fmas_f32 v2, v2, v9, v3
	s_mov_b32 vcc_lo, s4
	s_delay_alu instid0(VALU_DEP_1) | instskip(SKIP_2) | instid1(VALU_DEP_1)
	v_div_fixup_f32 v3, v2, v5, v4
	v_mov_b32_e32 v2, 0
	v_fma_f32 v15, -v8, v13, v12
	v_fmac_f32_e32 v13, v15, v10
	s_delay_alu instid0(VALU_DEP_1) | instskip(NEXT) | instid1(VALU_DEP_1)
	v_fma_f32 v7, -v8, v13, v12
	v_div_fmas_f32 v7, v7, v10, v13
	v_add_co_u32 v0, vcc_lo, s41, v0
	v_add_co_ci_u32_e32 v1, vcc_lo, s59, v1, vcc_lo
	s_delay_alu instid0(VALU_DEP_3)
	v_div_fixup_f32 v4, v7, v5, v6
	global_store_b64 v[0:1], v[3:4], off
.LBB14_335:                             ;   in Loop: Header=BB14_12 Depth=1
	s_or_b32 exec_lo, exec_lo, s5
	s_mov_b32 s4, -1
	s_mov_b32 s5, exec_lo
	v_cmpx_gt_i32_e32 0x47, v2
; %bb.336:                              ;   in Loop: Header=BB14_12 Depth=1
	v_cmp_eq_u32_e32 vcc_lo, 0, v2
	s_or_not1_b32 s4, vcc_lo, exec_lo
; %bb.337:                              ;   in Loop: Header=BB14_12 Depth=1
	s_or_b32 exec_lo, exec_lo, s5
	s_delay_alu instid0(SALU_CYCLE_1)
	s_and_b32 exec_lo, exec_lo, s4
	s_cbranch_execz .LBB14_340
; %bb.338:                              ;   in Loop: Header=BB14_12 Depth=1
	s_clause 0x1
	scratch_load_b32 v0, off, off offset:512
	scratch_load_b64 v[2:3], off, off offset:496
	s_waitcnt vmcnt(1)
	v_add_nc_u32_e32 v1, s66, v0
	s_waitcnt vmcnt(0)
	v_or_b32_e32 v0, s86, v2
	s_delay_alu instid0(VALU_DEP_2) | instskip(NEXT) | instid1(VALU_DEP_2)
	v_cmp_gt_i32_e32 vcc_lo, s8, v1
	v_cmp_gt_i32_e64 s4, s33, v0
	s_delay_alu instid0(VALU_DEP_1) | instskip(NEXT) | instid1(SALU_CYCLE_1)
	s_and_b32 s4, vcc_lo, s4
	s_and_b32 exec_lo, exec_lo, s4
	s_cbranch_execz .LBB14_340
; %bb.339:                              ;   in Loop: Header=BB14_12 Depth=1
	s_clause 0x1
	scratch_load_b32 v0, off, off offset:516
	scratch_load_b32 v2, off, off offset:520
	s_waitcnt vmcnt(1)
	v_add_nc_u32_e32 v0, 0, v0
	s_waitcnt vmcnt(0)
	ds_load_2addr_stride64_b32 v[2:3], v2 offset1:13
	ds_load_2addr_b32 v[4:5], v0 offset0:48 offset1:49
	ds_load_b32 v0, v0 offset:3520
	scratch_load_b64 v[13:14], off, off offset:496 ; 8-byte Folded Reload
	s_waitcnt lgkmcnt(1)
	v_fma_mix_f32 v6, v4, v2, 0 op_sel_hi:[0,1,0]
	v_fma_mix_f32 v2, v4, v2, 0 op_sel:[0,1,0] op_sel_hi:[0,1,0]
	s_waitcnt lgkmcnt(0)
	s_delay_alu instid0(VALU_DEP_2) | instskip(NEXT) | instid1(VALU_DEP_2)
	v_fma_mix_f32 v4, v0, v3, v6 op_sel_hi:[0,1,0]
	v_fma_mix_f32 v6, v0, v3, v2 op_sel:[0,1,0] op_sel_hi:[0,1,0]
	s_delay_alu instid0(VALU_DEP_2) | instskip(NEXT) | instid1(VALU_DEP_2)
	v_div_scale_f32 v7, null, v5, v5, v4
	v_div_scale_f32 v8, null, v5, v5, v6
	v_div_scale_f32 v11, vcc_lo, v4, v5, v4
	s_delay_alu instid0(VALU_DEP_3) | instskip(NEXT) | instid1(VALU_DEP_2)
	v_rcp_f32_e32 v9, v7
	v_rcp_f32_e32 v10, v8
	v_div_scale_f32 v12, s4, v6, v5, v6
	s_waitcnt_depctr 0xfff
	v_fma_f32 v0, -v7, v9, 1.0
	v_fma_f32 v2, -v8, v10, 1.0
	s_delay_alu instid0(VALU_DEP_1) | instskip(SKIP_2) | instid1(VALU_DEP_2)
	v_dual_fmac_f32 v9, v0, v9 :: v_dual_fmac_f32 v10, v2, v10
	s_waitcnt vmcnt(0)
	v_mad_u64_u32 v[2:3], null, v1, s9, v[13:14]
	v_mul_f32_e32 v3, v11, v9
	s_delay_alu instid0(VALU_DEP_3) | instskip(NEXT) | instid1(VALU_DEP_2)
	v_mul_f32_e32 v13, v12, v10
	v_fma_f32 v14, -v7, v3, v11
	s_delay_alu instid0(VALU_DEP_4) | instskip(NEXT) | instid1(VALU_DEP_3)
	v_mad_u64_u32 v[0:1], null, v2, 48, v[104:105]
	v_fma_f32 v15, -v8, v13, v12
	s_delay_alu instid0(VALU_DEP_3) | instskip(NEXT) | instid1(VALU_DEP_2)
	v_fmac_f32_e32 v3, v14, v9
	v_fmac_f32_e32 v13, v15, v10
	s_delay_alu instid0(VALU_DEP_4) | instskip(NEXT) | instid1(VALU_DEP_3)
	v_ashrrev_i32_e32 v1, 31, v0
	v_fma_f32 v2, -v7, v3, v11
	s_delay_alu instid0(VALU_DEP_3) | instskip(NEXT) | instid1(VALU_DEP_3)
	v_fma_f32 v7, -v8, v13, v12
	v_lshlrev_b64 v[0:1], 3, v[0:1]
	s_delay_alu instid0(VALU_DEP_3) | instskip(SKIP_1) | instid1(VALU_DEP_3)
	v_div_fmas_f32 v2, v2, v9, v3
	s_mov_b32 vcc_lo, s4
	v_div_fmas_f32 v3, v7, v10, v13
	s_delay_alu instid0(VALU_DEP_3) | instskip(NEXT) | instid1(VALU_DEP_3)
	v_add_co_u32 v0, vcc_lo, s41, v0
	v_div_fixup_f32 v2, v2, v5, v4
	s_delay_alu instid0(VALU_DEP_3)
	v_div_fixup_f32 v3, v3, v5, v6
	v_add_co_ci_u32_e32 v1, vcc_lo, s59, v1, vcc_lo
	global_store_b64 v[0:1], v[2:3], off
.LBB14_340:                             ;   in Loop: Header=BB14_12 Depth=1
	s_or_b32 exec_lo, exec_lo, s7
	v_dual_mov_b32 v2, 0x47 :: v_dual_add_nc_u32 v1, s66, v126
	v_or_b32_e32 v0, s86, v132
	s_delay_alu instid0(VALU_DEP_2) | instskip(NEXT) | instid1(VALU_DEP_2)
	v_cmp_gt_i32_e32 vcc_lo, s8, v1
	v_cmp_gt_i32_e64 s4, s33, v0
	s_delay_alu instid0(VALU_DEP_1) | instskip(NEXT) | instid1(SALU_CYCLE_1)
	s_and_b32 s5, vcc_lo, s4
	s_and_saveexec_b32 s7, s5
	s_cbranch_execz .LBB14_342
; %bb.341:                              ;   in Loop: Header=BB14_12 Depth=1
	s_clause 0x1
	scratch_load_b32 v0, off, off offset:28
	scratch_load_b32 v2, off, off offset:24
	s_waitcnt vmcnt(1)
	v_add_nc_u32_e32 v0, 0x80, v0
	s_waitcnt vmcnt(0)
	v_add_nc_u32_e32 v6, 0, v2
	ds_load_2addr_stride64_b32 v[2:3], v0 offset1:13
	ds_load_2addr_b32 v[4:5], v6 offset0:48 offset1:49
	ds_load_b32 v0, v6 offset:3520
	s_waitcnt lgkmcnt(1)
	v_fma_mix_f32 v6, v4, v2, 0 op_sel_hi:[0,1,0]
	v_fma_mix_f32 v2, v4, v2, 0 op_sel:[0,1,0] op_sel_hi:[0,1,0]
	s_waitcnt lgkmcnt(0)
	s_delay_alu instid0(VALU_DEP_2) | instskip(NEXT) | instid1(VALU_DEP_2)
	v_fma_mix_f32 v4, v0, v3, v6 op_sel_hi:[0,1,0]
	v_fma_mix_f32 v6, v0, v3, v2 op_sel:[0,1,0] op_sel_hi:[0,1,0]
	v_mad_u64_u32 v[2:3], null, v1, s9, v[132:133]
	s_delay_alu instid0(VALU_DEP_3) | instskip(NEXT) | instid1(VALU_DEP_3)
	v_div_scale_f32 v7, null, v5, v5, v4
	v_div_scale_f32 v8, null, v5, v5, v6
	v_div_scale_f32 v11, s5, v6, v5, v6
	s_delay_alu instid0(VALU_DEP_3) | instskip(NEXT) | instid1(VALU_DEP_2)
	v_rcp_f32_e32 v9, v7
	v_rcp_f32_e32 v10, v8
	v_div_scale_f32 v3, vcc_lo, v4, v5, v4
	s_waitcnt_depctr 0xfff
	v_fma_f32 v0, -v7, v9, 1.0
	v_fma_f32 v1, -v8, v10, 1.0
	s_delay_alu instid0(VALU_DEP_1) | instskip(SKIP_1) | instid1(VALU_DEP_2)
	v_dual_fmac_f32 v9, v0, v9 :: v_dual_fmac_f32 v10, v1, v10
	v_mul_lo_u32 v0, v2, 48
	v_mul_f32_e32 v13, v11, v10
	s_delay_alu instid0(VALU_DEP_1) | instskip(NEXT) | instid1(VALU_DEP_1)
	v_fma_f32 v2, -v8, v13, v11
	v_dual_mul_f32 v12, v3, v9 :: v_dual_fmac_f32 v13, v2, v10
	s_delay_alu instid0(VALU_DEP_1) | instskip(NEXT) | instid1(VALU_DEP_1)
	v_fma_f32 v1, -v7, v12, v3
	v_fmac_f32_e32 v12, v1, v9
	v_ashrrev_i32_e32 v1, 31, v0
	v_or_b32_e32 v0, v0, v173
	s_delay_alu instid0(VALU_DEP_3) | instskip(NEXT) | instid1(VALU_DEP_3)
	v_fma_f32 v2, -v7, v12, v3
	v_or_b32_e32 v1, 0, v1
	v_fma_f32 v3, -v8, v13, v11
	s_delay_alu instid0(VALU_DEP_3) | instskip(NEXT) | instid1(VALU_DEP_3)
	v_div_fmas_f32 v2, v2, v9, v12
	v_lshlrev_b64 v[0:1], 3, v[0:1]
	s_mov_b32 vcc_lo, s5
	s_delay_alu instid0(VALU_DEP_3) | instskip(NEXT) | instid1(VALU_DEP_3)
	v_div_fmas_f32 v7, v3, v10, v13
	v_div_fixup_f32 v3, v2, v5, v4
	v_mov_b32_e32 v2, 0
	s_delay_alu instid0(VALU_DEP_4) | instskip(NEXT) | instid1(VALU_DEP_4)
	v_add_co_u32 v0, vcc_lo, s41, v0
	v_div_fixup_f32 v4, v7, v5, v6
	v_add_co_ci_u32_e32 v1, vcc_lo, s59, v1, vcc_lo
	global_store_b64 v[0:1], v[3:4], off offset:256
.LBB14_342:                             ;   in Loop: Header=BB14_12 Depth=1
	s_or_b32 exec_lo, exec_lo, s7
	s_mov_b32 s5, -1
	s_mov_b32 s7, exec_lo
	v_cmpx_gt_i32_e32 0x47, v2
; %bb.343:                              ;   in Loop: Header=BB14_12 Depth=1
	v_cmp_eq_u32_e32 vcc_lo, 0, v2
	s_or_not1_b32 s5, vcc_lo, exec_lo
; %bb.344:                              ;   in Loop: Header=BB14_12 Depth=1
	s_or_b32 exec_lo, exec_lo, s7
	s_delay_alu instid0(SALU_CYCLE_1)
	s_and_b32 exec_lo, exec_lo, s5
	s_cbranch_execz .LBB14_10
; %bb.345:                              ;   in Loop: Header=BB14_12 Depth=1
	s_clause 0x1
	scratch_load_b32 v0, off, off offset:36
	scratch_load_b64 v[2:3], off, off offset:8
	s_waitcnt vmcnt(1)
	v_add_nc_u32_e32 v1, s66, v0
	s_waitcnt vmcnt(0)
	v_or_b32_e32 v0, s86, v2
	v_mov_b32_e32 v2, 0x47
	s_delay_alu instid0(VALU_DEP_3) | instskip(NEXT) | instid1(VALU_DEP_3)
	v_cmp_gt_i32_e32 vcc_lo, s8, v1
	v_cmp_gt_i32_e64 s5, s33, v0
	s_delay_alu instid0(VALU_DEP_1) | instskip(NEXT) | instid1(SALU_CYCLE_1)
	s_and_b32 s5, vcc_lo, s5
	s_and_saveexec_b32 s7, s5
	s_cbranch_execz .LBB14_347
; %bb.346:                              ;   in Loop: Header=BB14_12 Depth=1
	s_clause 0x1
	scratch_load_b32 v0, off, off offset:152
	scratch_load_b32 v2, off, off offset:148
	s_waitcnt vmcnt(1)
	v_add_nc_u32_e32 v0, 0x80, v0
	s_waitcnt vmcnt(0)
	v_add_nc_u32_e32 v6, 0, v2
	ds_load_2addr_stride64_b32 v[2:3], v0 offset1:13
	ds_load_2addr_b32 v[4:5], v6 offset0:48 offset1:49
	ds_load_b32 v0, v6 offset:3520
	scratch_load_b64 v[11:12], off, off offset:8 ; 8-byte Folded Reload
	s_waitcnt lgkmcnt(1)
	v_fma_mix_f32 v6, v4, v2, 0 op_sel_hi:[0,1,0]
	v_fma_mix_f32 v2, v4, v2, 0 op_sel:[0,1,0] op_sel_hi:[0,1,0]
	s_waitcnt lgkmcnt(0)
	s_delay_alu instid0(VALU_DEP_2) | instskip(NEXT) | instid1(VALU_DEP_2)
	v_fma_mix_f32 v4, v0, v3, v6 op_sel_hi:[0,1,0]
	v_fma_mix_f32 v6, v0, v3, v2 op_sel:[0,1,0] op_sel_hi:[0,1,0]
	s_delay_alu instid0(VALU_DEP_2) | instskip(NEXT) | instid1(VALU_DEP_2)
	v_div_scale_f32 v7, null, v5, v5, v4
	v_div_scale_f32 v8, null, v5, v5, v6
	s_delay_alu instid0(VALU_DEP_2) | instskip(NEXT) | instid1(VALU_DEP_1)
	v_rcp_f32_e32 v9, v7
	v_rcp_f32_e32 v10, v8
	s_waitcnt_depctr 0xfff
	v_fma_f32 v0, -v7, v9, 1.0
	s_delay_alu instid0(VALU_DEP_1)
	v_fmac_f32_e32 v9, v0, v9
	s_waitcnt vmcnt(0)
	v_mad_u64_u32 v[2:3], null, v1, s9, v[11:12]
	v_fma_f32 v1, -v8, v10, 1.0
	v_div_scale_f32 v11, s5, v6, v5, v6
	v_div_scale_f32 v3, vcc_lo, v4, v5, v4
	s_delay_alu instid0(VALU_DEP_3) | instskip(SKIP_1) | instid1(VALU_DEP_2)
	v_fmac_f32_e32 v10, v1, v10
	v_mul_lo_u32 v0, v2, 48
	v_mul_f32_e32 v13, v11, v10
	s_delay_alu instid0(VALU_DEP_1) | instskip(NEXT) | instid1(VALU_DEP_1)
	v_fma_f32 v2, -v8, v13, v11
	v_dual_mul_f32 v12, v3, v9 :: v_dual_fmac_f32 v13, v2, v10
	s_delay_alu instid0(VALU_DEP_1) | instskip(NEXT) | instid1(VALU_DEP_1)
	v_fma_f32 v1, -v7, v12, v3
	v_fmac_f32_e32 v12, v1, v9
	v_ashrrev_i32_e32 v1, 31, v0
	v_or_b32_e32 v0, v0, v173
	s_delay_alu instid0(VALU_DEP_3) | instskip(NEXT) | instid1(VALU_DEP_3)
	v_fma_f32 v2, -v7, v12, v3
	v_or_b32_e32 v1, 0, v1
	v_fma_f32 v3, -v8, v13, v11
	s_delay_alu instid0(VALU_DEP_3) | instskip(NEXT) | instid1(VALU_DEP_3)
	v_div_fmas_f32 v2, v2, v9, v12
	v_lshlrev_b64 v[0:1], 3, v[0:1]
	s_mov_b32 vcc_lo, s5
	s_delay_alu instid0(VALU_DEP_3) | instskip(NEXT) | instid1(VALU_DEP_3)
	v_div_fmas_f32 v7, v3, v10, v13
	v_div_fixup_f32 v3, v2, v5, v4
	v_mov_b32_e32 v2, 0
	s_delay_alu instid0(VALU_DEP_4) | instskip(NEXT) | instid1(VALU_DEP_4)
	v_add_co_u32 v0, vcc_lo, s41, v0
	v_div_fixup_f32 v4, v7, v5, v6
	v_add_co_ci_u32_e32 v1, vcc_lo, s59, v1, vcc_lo
	global_store_b64 v[0:1], v[3:4], off offset:256
.LBB14_347:                             ;   in Loop: Header=BB14_12 Depth=1
	s_or_b32 exec_lo, exec_lo, s7
	s_mov_b32 s5, -1
	s_mov_b32 s7, exec_lo
	v_cmpx_gt_i32_e32 0x47, v2
; %bb.348:                              ;   in Loop: Header=BB14_12 Depth=1
	v_cmp_eq_u32_e32 vcc_lo, 0, v2
	s_or_not1_b32 s5, vcc_lo, exec_lo
; %bb.349:                              ;   in Loop: Header=BB14_12 Depth=1
	s_or_b32 exec_lo, exec_lo, s7
	s_delay_alu instid0(SALU_CYCLE_1)
	s_and_b32 exec_lo, exec_lo, s5
	s_cbranch_execz .LBB14_10
; %bb.350:                              ;   in Loop: Header=BB14_12 Depth=1
	s_clause 0x1
	scratch_load_b32 v0, off, off offset:160
	scratch_load_b64 v[2:3], off, off offset:124
	s_waitcnt vmcnt(1)
	v_add_nc_u32_e32 v1, s66, v0
	s_waitcnt vmcnt(0)
	v_or_b32_e32 v0, s86, v2
	v_mov_b32_e32 v2, 0x47
	s_delay_alu instid0(VALU_DEP_3) | instskip(NEXT) | instid1(VALU_DEP_3)
	v_cmp_gt_i32_e32 vcc_lo, s8, v1
	v_cmp_gt_i32_e64 s5, s33, v0
	s_delay_alu instid0(VALU_DEP_1) | instskip(NEXT) | instid1(SALU_CYCLE_1)
	s_and_b32 s5, vcc_lo, s5
	s_and_saveexec_b32 s7, s5
	s_cbranch_execz .LBB14_352
; %bb.351:                              ;   in Loop: Header=BB14_12 Depth=1
	s_clause 0x1
	scratch_load_b32 v0, off, off offset:192
	scratch_load_b32 v2, off, off offset:188
	s_waitcnt vmcnt(1)
	v_add_nc_u32_e32 v0, 0x80, v0
	s_waitcnt vmcnt(0)
	v_add_nc_u32_e32 v6, 0, v2
	ds_load_2addr_stride64_b32 v[2:3], v0 offset1:13
	ds_load_2addr_b32 v[4:5], v6 offset0:48 offset1:49
	ds_load_b32 v0, v6 offset:3520
	scratch_load_b64 v[11:12], off, off offset:124 ; 8-byte Folded Reload
	s_waitcnt lgkmcnt(1)
	v_fma_mix_f32 v6, v4, v2, 0 op_sel_hi:[0,1,0]
	v_fma_mix_f32 v2, v4, v2, 0 op_sel:[0,1,0] op_sel_hi:[0,1,0]
	s_waitcnt lgkmcnt(0)
	s_delay_alu instid0(VALU_DEP_2) | instskip(NEXT) | instid1(VALU_DEP_2)
	v_fma_mix_f32 v4, v0, v3, v6 op_sel_hi:[0,1,0]
	v_fma_mix_f32 v6, v0, v3, v2 op_sel:[0,1,0] op_sel_hi:[0,1,0]
	s_delay_alu instid0(VALU_DEP_2) | instskip(NEXT) | instid1(VALU_DEP_2)
	v_div_scale_f32 v7, null, v5, v5, v4
	v_div_scale_f32 v8, null, v5, v5, v6
	s_delay_alu instid0(VALU_DEP_2) | instskip(NEXT) | instid1(VALU_DEP_1)
	v_rcp_f32_e32 v9, v7
	v_rcp_f32_e32 v10, v8
	s_waitcnt_depctr 0xfff
	v_fma_f32 v0, -v7, v9, 1.0
	s_delay_alu instid0(VALU_DEP_1)
	v_fmac_f32_e32 v9, v0, v9
	s_waitcnt vmcnt(0)
	v_mad_u64_u32 v[2:3], null, v1, s9, v[11:12]
	v_fma_f32 v1, -v8, v10, 1.0
	v_div_scale_f32 v11, s5, v6, v5, v6
	v_div_scale_f32 v3, vcc_lo, v4, v5, v4
	s_delay_alu instid0(VALU_DEP_3) | instskip(SKIP_1) | instid1(VALU_DEP_2)
	v_fmac_f32_e32 v10, v1, v10
	v_mul_lo_u32 v0, v2, 48
	v_mul_f32_e32 v13, v11, v10
	s_delay_alu instid0(VALU_DEP_1) | instskip(NEXT) | instid1(VALU_DEP_1)
	v_fma_f32 v2, -v8, v13, v11
	v_dual_mul_f32 v12, v3, v9 :: v_dual_fmac_f32 v13, v2, v10
	s_delay_alu instid0(VALU_DEP_1) | instskip(NEXT) | instid1(VALU_DEP_1)
	v_fma_f32 v1, -v7, v12, v3
	v_fmac_f32_e32 v12, v1, v9
	v_ashrrev_i32_e32 v1, 31, v0
	v_or_b32_e32 v0, v0, v173
	s_delay_alu instid0(VALU_DEP_3) | instskip(NEXT) | instid1(VALU_DEP_3)
	v_fma_f32 v2, -v7, v12, v3
	v_or_b32_e32 v1, 0, v1
	v_fma_f32 v3, -v8, v13, v11
	s_delay_alu instid0(VALU_DEP_3) | instskip(NEXT) | instid1(VALU_DEP_3)
	v_div_fmas_f32 v2, v2, v9, v12
	v_lshlrev_b64 v[0:1], 3, v[0:1]
	s_mov_b32 vcc_lo, s5
	s_delay_alu instid0(VALU_DEP_3) | instskip(NEXT) | instid1(VALU_DEP_3)
	v_div_fmas_f32 v7, v3, v10, v13
	v_div_fixup_f32 v3, v2, v5, v4
	v_mov_b32_e32 v2, 0
	s_delay_alu instid0(VALU_DEP_4) | instskip(NEXT) | instid1(VALU_DEP_4)
	v_add_co_u32 v0, vcc_lo, s41, v0
	v_div_fixup_f32 v4, v7, v5, v6
	v_add_co_ci_u32_e32 v1, vcc_lo, s59, v1, vcc_lo
	global_store_b64 v[0:1], v[3:4], off offset:256
.LBB14_352:                             ;   in Loop: Header=BB14_12 Depth=1
	s_or_b32 exec_lo, exec_lo, s7
	s_mov_b32 s5, -1
	s_mov_b32 s7, exec_lo
	v_cmpx_gt_i32_e32 0x47, v2
; %bb.353:                              ;   in Loop: Header=BB14_12 Depth=1
	v_cmp_eq_u32_e32 vcc_lo, 0, v2
	s_or_not1_b32 s5, vcc_lo, exec_lo
; %bb.354:                              ;   in Loop: Header=BB14_12 Depth=1
	s_or_b32 exec_lo, exec_lo, s7
	s_delay_alu instid0(SALU_CYCLE_1)
	s_and_b32 exec_lo, exec_lo, s5
	s_cbranch_execz .LBB14_10
; %bb.355:                              ;   in Loop: Header=BB14_12 Depth=1
	s_clause 0x1
	scratch_load_b32 v0, off, off offset:200
	scratch_load_b64 v[2:3], off, off offset:172
	s_waitcnt vmcnt(1)
	v_add_nc_u32_e32 v1, s66, v0
	s_waitcnt vmcnt(0)
	v_or_b32_e32 v0, s86, v2
	v_mov_b32_e32 v2, 0x47
	s_delay_alu instid0(VALU_DEP_3) | instskip(NEXT) | instid1(VALU_DEP_3)
	v_cmp_gt_i32_e32 vcc_lo, s8, v1
	v_cmp_gt_i32_e64 s5, s33, v0
	s_delay_alu instid0(VALU_DEP_1) | instskip(NEXT) | instid1(SALU_CYCLE_1)
	s_and_b32 s5, vcc_lo, s5
	s_and_saveexec_b32 s7, s5
	s_cbranch_execz .LBB14_357
; %bb.356:                              ;   in Loop: Header=BB14_12 Depth=1
	s_clause 0x1
	scratch_load_b32 v0, off, off offset:224
	scratch_load_b32 v2, off, off offset:220
	s_waitcnt vmcnt(1)
	v_add_nc_u32_e32 v0, 0x80, v0
	s_waitcnt vmcnt(0)
	v_add_nc_u32_e32 v6, 0, v2
	ds_load_2addr_stride64_b32 v[2:3], v0 offset1:13
	ds_load_2addr_b32 v[4:5], v6 offset0:48 offset1:49
	ds_load_b32 v0, v6 offset:3520
	scratch_load_b64 v[11:12], off, off offset:172 ; 8-byte Folded Reload
	s_waitcnt lgkmcnt(1)
	v_fma_mix_f32 v6, v4, v2, 0 op_sel_hi:[0,1,0]
	v_fma_mix_f32 v2, v4, v2, 0 op_sel:[0,1,0] op_sel_hi:[0,1,0]
	s_waitcnt lgkmcnt(0)
	s_delay_alu instid0(VALU_DEP_2) | instskip(NEXT) | instid1(VALU_DEP_2)
	v_fma_mix_f32 v4, v0, v3, v6 op_sel_hi:[0,1,0]
	v_fma_mix_f32 v6, v0, v3, v2 op_sel:[0,1,0] op_sel_hi:[0,1,0]
	s_delay_alu instid0(VALU_DEP_2) | instskip(NEXT) | instid1(VALU_DEP_2)
	v_div_scale_f32 v7, null, v5, v5, v4
	v_div_scale_f32 v8, null, v5, v5, v6
	s_delay_alu instid0(VALU_DEP_2) | instskip(NEXT) | instid1(VALU_DEP_1)
	v_rcp_f32_e32 v9, v7
	v_rcp_f32_e32 v10, v8
	s_waitcnt_depctr 0xfff
	v_fma_f32 v0, -v7, v9, 1.0
	s_delay_alu instid0(VALU_DEP_1)
	v_fmac_f32_e32 v9, v0, v9
	s_waitcnt vmcnt(0)
	v_mad_u64_u32 v[2:3], null, v1, s9, v[11:12]
	v_fma_f32 v1, -v8, v10, 1.0
	v_div_scale_f32 v11, s5, v6, v5, v6
	v_div_scale_f32 v3, vcc_lo, v4, v5, v4
	s_delay_alu instid0(VALU_DEP_3) | instskip(SKIP_1) | instid1(VALU_DEP_2)
	v_fmac_f32_e32 v10, v1, v10
	v_mul_lo_u32 v0, v2, 48
	v_mul_f32_e32 v13, v11, v10
	s_delay_alu instid0(VALU_DEP_1) | instskip(NEXT) | instid1(VALU_DEP_1)
	v_fma_f32 v2, -v8, v13, v11
	v_dual_mul_f32 v12, v3, v9 :: v_dual_fmac_f32 v13, v2, v10
	s_delay_alu instid0(VALU_DEP_1) | instskip(NEXT) | instid1(VALU_DEP_1)
	v_fma_f32 v1, -v7, v12, v3
	v_fmac_f32_e32 v12, v1, v9
	v_ashrrev_i32_e32 v1, 31, v0
	v_or_b32_e32 v0, v0, v173
	s_delay_alu instid0(VALU_DEP_3) | instskip(NEXT) | instid1(VALU_DEP_3)
	v_fma_f32 v2, -v7, v12, v3
	v_or_b32_e32 v1, 0, v1
	v_fma_f32 v3, -v8, v13, v11
	s_delay_alu instid0(VALU_DEP_3) | instskip(NEXT) | instid1(VALU_DEP_3)
	v_div_fmas_f32 v2, v2, v9, v12
	v_lshlrev_b64 v[0:1], 3, v[0:1]
	s_mov_b32 vcc_lo, s5
	s_delay_alu instid0(VALU_DEP_3) | instskip(NEXT) | instid1(VALU_DEP_3)
	v_div_fmas_f32 v7, v3, v10, v13
	v_div_fixup_f32 v3, v2, v5, v4
	v_mov_b32_e32 v2, 0
	s_delay_alu instid0(VALU_DEP_4) | instskip(NEXT) | instid1(VALU_DEP_4)
	v_add_co_u32 v0, vcc_lo, s41, v0
	v_div_fixup_f32 v4, v7, v5, v6
	v_add_co_ci_u32_e32 v1, vcc_lo, s59, v1, vcc_lo
	global_store_b64 v[0:1], v[3:4], off offset:256
.LBB14_357:                             ;   in Loop: Header=BB14_12 Depth=1
	s_or_b32 exec_lo, exec_lo, s7
	s_mov_b32 s5, -1
	s_mov_b32 s7, exec_lo
	v_cmpx_gt_i32_e32 0x47, v2
; %bb.358:                              ;   in Loop: Header=BB14_12 Depth=1
	v_cmp_eq_u32_e32 vcc_lo, 0, v2
	s_or_not1_b32 s5, vcc_lo, exec_lo
; %bb.359:                              ;   in Loop: Header=BB14_12 Depth=1
	s_or_b32 exec_lo, exec_lo, s7
	s_delay_alu instid0(SALU_CYCLE_1)
	s_and_b32 exec_lo, exec_lo, s5
	s_cbranch_execz .LBB14_10
; %bb.360:                              ;   in Loop: Header=BB14_12 Depth=1
	scratch_load_b32 v0, off, off offset:228 ; 4-byte Folded Reload
	s_waitcnt vmcnt(0)
	v_dual_mov_b32 v2, 0x47 :: v_dual_add_nc_u32 v1, s66, v0
	s_delay_alu instid0(VALU_DEP_1) | instskip(SKIP_1) | instid1(SALU_CYCLE_1)
	v_cmp_gt_i32_e32 vcc_lo, s8, v1
	s_and_b32 s4, vcc_lo, s4
	s_and_saveexec_b32 s5, s4
	s_cbranch_execz .LBB14_362
; %bb.361:                              ;   in Loop: Header=BB14_12 Depth=1
	s_clause 0x1
	scratch_load_b32 v0, off, off offset:264
	scratch_load_b32 v2, off, off offset:260
	s_waitcnt vmcnt(1)
	v_add_nc_u32_e32 v0, 0x80, v0
	s_waitcnt vmcnt(0)
	v_add_nc_u32_e32 v6, 0, v2
	ds_load_2addr_stride64_b32 v[2:3], v0 offset1:13
	ds_load_2addr_b32 v[4:5], v6 offset0:48 offset1:49
	ds_load_b32 v0, v6 offset:3520
	s_waitcnt lgkmcnt(1)
	v_fma_mix_f32 v6, v4, v2, 0 op_sel_hi:[0,1,0]
	v_fma_mix_f32 v2, v4, v2, 0 op_sel:[0,1,0] op_sel_hi:[0,1,0]
	s_waitcnt lgkmcnt(0)
	s_delay_alu instid0(VALU_DEP_2) | instskip(NEXT) | instid1(VALU_DEP_2)
	v_fma_mix_f32 v4, v0, v3, v6 op_sel_hi:[0,1,0]
	v_fma_mix_f32 v6, v0, v3, v2 op_sel:[0,1,0] op_sel_hi:[0,1,0]
	v_mad_u64_u32 v[2:3], null, v1, s9, v[132:133]
	s_delay_alu instid0(VALU_DEP_3) | instskip(NEXT) | instid1(VALU_DEP_3)
	v_div_scale_f32 v7, null, v5, v5, v4
	v_div_scale_f32 v8, null, v5, v5, v6
	v_div_scale_f32 v11, s4, v6, v5, v6
	s_delay_alu instid0(VALU_DEP_3) | instskip(NEXT) | instid1(VALU_DEP_2)
	v_rcp_f32_e32 v9, v7
	v_rcp_f32_e32 v10, v8
	v_div_scale_f32 v3, vcc_lo, v4, v5, v4
	s_waitcnt_depctr 0xfff
	v_fma_f32 v0, -v7, v9, 1.0
	v_fma_f32 v1, -v8, v10, 1.0
	s_delay_alu instid0(VALU_DEP_1) | instskip(SKIP_1) | instid1(VALU_DEP_2)
	v_dual_fmac_f32 v9, v0, v9 :: v_dual_fmac_f32 v10, v1, v10
	v_mul_lo_u32 v0, v2, 48
	v_mul_f32_e32 v13, v11, v10
	s_delay_alu instid0(VALU_DEP_1) | instskip(NEXT) | instid1(VALU_DEP_1)
	v_fma_f32 v2, -v8, v13, v11
	v_dual_mul_f32 v12, v3, v9 :: v_dual_fmac_f32 v13, v2, v10
	s_delay_alu instid0(VALU_DEP_1) | instskip(NEXT) | instid1(VALU_DEP_1)
	v_fma_f32 v1, -v7, v12, v3
	v_fmac_f32_e32 v12, v1, v9
	v_ashrrev_i32_e32 v1, 31, v0
	v_or_b32_e32 v0, v0, v173
	s_delay_alu instid0(VALU_DEP_3) | instskip(NEXT) | instid1(VALU_DEP_3)
	v_fma_f32 v2, -v7, v12, v3
	v_or_b32_e32 v1, 0, v1
	v_fma_f32 v3, -v8, v13, v11
	s_delay_alu instid0(VALU_DEP_3) | instskip(NEXT) | instid1(VALU_DEP_3)
	v_div_fmas_f32 v2, v2, v9, v12
	v_lshlrev_b64 v[0:1], 3, v[0:1]
	s_mov_b32 vcc_lo, s4
	s_delay_alu instid0(VALU_DEP_3) | instskip(NEXT) | instid1(VALU_DEP_3)
	v_div_fmas_f32 v7, v3, v10, v13
	v_div_fixup_f32 v3, v2, v5, v4
	v_mov_b32_e32 v2, 0
	s_delay_alu instid0(VALU_DEP_4) | instskip(NEXT) | instid1(VALU_DEP_4)
	v_add_co_u32 v0, vcc_lo, s41, v0
	v_div_fixup_f32 v4, v7, v5, v6
	v_add_co_ci_u32_e32 v1, vcc_lo, s59, v1, vcc_lo
	global_store_b64 v[0:1], v[3:4], off offset:256
.LBB14_362:                             ;   in Loop: Header=BB14_12 Depth=1
	s_or_b32 exec_lo, exec_lo, s5
	s_mov_b32 s4, -1
	s_mov_b32 s5, exec_lo
	v_cmpx_gt_i32_e32 0x47, v2
; %bb.363:                              ;   in Loop: Header=BB14_12 Depth=1
	v_cmp_eq_u32_e32 vcc_lo, 0, v2
	s_or_not1_b32 s4, vcc_lo, exec_lo
; %bb.364:                              ;   in Loop: Header=BB14_12 Depth=1
	s_or_b32 exec_lo, exec_lo, s5
	s_delay_alu instid0(SALU_CYCLE_1)
	s_and_b32 exec_lo, exec_lo, s4
	s_cbranch_execz .LBB14_10
; %bb.365:                              ;   in Loop: Header=BB14_12 Depth=1
	s_clause 0x1
	scratch_load_b32 v0, off, off offset:272
	scratch_load_b64 v[2:3], off, off offset:244
	s_waitcnt vmcnt(1)
	v_add_nc_u32_e32 v1, s66, v0
	s_waitcnt vmcnt(0)
	v_or_b32_e32 v0, s86, v2
	v_mov_b32_e32 v2, 0x47
	s_delay_alu instid0(VALU_DEP_3) | instskip(NEXT) | instid1(VALU_DEP_3)
	v_cmp_gt_i32_e32 vcc_lo, s8, v1
	v_cmp_gt_i32_e64 s4, s33, v0
	s_delay_alu instid0(VALU_DEP_1) | instskip(NEXT) | instid1(SALU_CYCLE_1)
	s_and_b32 s4, vcc_lo, s4
	s_and_saveexec_b32 s5, s4
	s_cbranch_execz .LBB14_367
; %bb.366:                              ;   in Loop: Header=BB14_12 Depth=1
	s_clause 0x1
	scratch_load_b32 v0, off, off offset:304
	scratch_load_b32 v2, off, off offset:300
	s_waitcnt vmcnt(1)
	v_add_nc_u32_e32 v0, 0x80, v0
	s_waitcnt vmcnt(0)
	v_add_nc_u32_e32 v6, 0, v2
	ds_load_2addr_stride64_b32 v[2:3], v0 offset1:13
	ds_load_2addr_b32 v[4:5], v6 offset0:48 offset1:49
	ds_load_b32 v0, v6 offset:3520
	scratch_load_b64 v[11:12], off, off offset:244 ; 8-byte Folded Reload
	s_waitcnt lgkmcnt(1)
	v_fma_mix_f32 v6, v4, v2, 0 op_sel_hi:[0,1,0]
	v_fma_mix_f32 v2, v4, v2, 0 op_sel:[0,1,0] op_sel_hi:[0,1,0]
	s_waitcnt lgkmcnt(0)
	s_delay_alu instid0(VALU_DEP_2) | instskip(NEXT) | instid1(VALU_DEP_2)
	v_fma_mix_f32 v4, v0, v3, v6 op_sel_hi:[0,1,0]
	v_fma_mix_f32 v6, v0, v3, v2 op_sel:[0,1,0] op_sel_hi:[0,1,0]
	s_delay_alu instid0(VALU_DEP_2) | instskip(NEXT) | instid1(VALU_DEP_2)
	v_div_scale_f32 v7, null, v5, v5, v4
	v_div_scale_f32 v8, null, v5, v5, v6
	s_delay_alu instid0(VALU_DEP_2) | instskip(NEXT) | instid1(VALU_DEP_1)
	v_rcp_f32_e32 v9, v7
	v_rcp_f32_e32 v10, v8
	s_waitcnt_depctr 0xfff
	v_fma_f32 v0, -v7, v9, 1.0
	s_delay_alu instid0(VALU_DEP_1)
	v_fmac_f32_e32 v9, v0, v9
	s_waitcnt vmcnt(0)
	v_mad_u64_u32 v[2:3], null, v1, s9, v[11:12]
	v_fma_f32 v1, -v8, v10, 1.0
	v_div_scale_f32 v11, s4, v6, v5, v6
	v_div_scale_f32 v3, vcc_lo, v4, v5, v4
	s_delay_alu instid0(VALU_DEP_3) | instskip(SKIP_1) | instid1(VALU_DEP_2)
	v_fmac_f32_e32 v10, v1, v10
	v_mul_lo_u32 v0, v2, 48
	v_mul_f32_e32 v13, v11, v10
	s_delay_alu instid0(VALU_DEP_1) | instskip(NEXT) | instid1(VALU_DEP_1)
	v_fma_f32 v2, -v8, v13, v11
	v_dual_mul_f32 v12, v3, v9 :: v_dual_fmac_f32 v13, v2, v10
	s_delay_alu instid0(VALU_DEP_1) | instskip(NEXT) | instid1(VALU_DEP_1)
	v_fma_f32 v1, -v7, v12, v3
	v_fmac_f32_e32 v12, v1, v9
	v_ashrrev_i32_e32 v1, 31, v0
	v_or_b32_e32 v0, v0, v173
	s_delay_alu instid0(VALU_DEP_3) | instskip(NEXT) | instid1(VALU_DEP_3)
	v_fma_f32 v2, -v7, v12, v3
	v_or_b32_e32 v1, 0, v1
	v_fma_f32 v3, -v8, v13, v11
	s_delay_alu instid0(VALU_DEP_3) | instskip(NEXT) | instid1(VALU_DEP_3)
	v_div_fmas_f32 v2, v2, v9, v12
	v_lshlrev_b64 v[0:1], 3, v[0:1]
	s_mov_b32 vcc_lo, s4
	s_delay_alu instid0(VALU_DEP_3) | instskip(NEXT) | instid1(VALU_DEP_3)
	v_div_fmas_f32 v7, v3, v10, v13
	v_div_fixup_f32 v3, v2, v5, v4
	v_mov_b32_e32 v2, 0
	s_delay_alu instid0(VALU_DEP_4) | instskip(NEXT) | instid1(VALU_DEP_4)
	v_add_co_u32 v0, vcc_lo, s41, v0
	v_div_fixup_f32 v4, v7, v5, v6
	v_add_co_ci_u32_e32 v1, vcc_lo, s59, v1, vcc_lo
	global_store_b64 v[0:1], v[3:4], off offset:256
.LBB14_367:                             ;   in Loop: Header=BB14_12 Depth=1
	s_or_b32 exec_lo, exec_lo, s5
	s_mov_b32 s4, -1
	s_mov_b32 s5, exec_lo
	v_cmpx_gt_i32_e32 0x47, v2
; %bb.368:                              ;   in Loop: Header=BB14_12 Depth=1
	v_cmp_eq_u32_e32 vcc_lo, 0, v2
	s_or_not1_b32 s4, vcc_lo, exec_lo
; %bb.369:                              ;   in Loop: Header=BB14_12 Depth=1
	s_or_b32 exec_lo, exec_lo, s5
	s_delay_alu instid0(SALU_CYCLE_1)
	s_and_b32 exec_lo, exec_lo, s4
	s_cbranch_execz .LBB14_10
; %bb.370:                              ;   in Loop: Header=BB14_12 Depth=1
	s_clause 0x1
	scratch_load_b32 v0, off, off offset:312
	scratch_load_b64 v[2:3], off, off offset:284
	s_waitcnt vmcnt(1)
	v_add_nc_u32_e32 v1, s66, v0
	s_waitcnt vmcnt(0)
	v_or_b32_e32 v0, s86, v2
	v_mov_b32_e32 v2, 0x47
	s_delay_alu instid0(VALU_DEP_3) | instskip(NEXT) | instid1(VALU_DEP_3)
	v_cmp_gt_i32_e32 vcc_lo, s8, v1
	v_cmp_gt_i32_e64 s4, s33, v0
	s_delay_alu instid0(VALU_DEP_1) | instskip(NEXT) | instid1(SALU_CYCLE_1)
	s_and_b32 s4, vcc_lo, s4
	s_and_saveexec_b32 s5, s4
	s_cbranch_execz .LBB14_372
; %bb.371:                              ;   in Loop: Header=BB14_12 Depth=1
	s_clause 0x1
	scratch_load_b32 v0, off, off offset:344
	scratch_load_b32 v2, off, off offset:340
	s_waitcnt vmcnt(1)
	v_add_nc_u32_e32 v0, 0x80, v0
	s_waitcnt vmcnt(0)
	v_add_nc_u32_e32 v6, 0, v2
	ds_load_2addr_stride64_b32 v[2:3], v0 offset1:13
	ds_load_2addr_b32 v[4:5], v6 offset0:48 offset1:49
	ds_load_b32 v0, v6 offset:3520
	scratch_load_b64 v[11:12], off, off offset:284 ; 8-byte Folded Reload
	s_waitcnt lgkmcnt(1)
	v_fma_mix_f32 v6, v4, v2, 0 op_sel_hi:[0,1,0]
	v_fma_mix_f32 v2, v4, v2, 0 op_sel:[0,1,0] op_sel_hi:[0,1,0]
	s_waitcnt lgkmcnt(0)
	s_delay_alu instid0(VALU_DEP_2) | instskip(NEXT) | instid1(VALU_DEP_2)
	v_fma_mix_f32 v4, v0, v3, v6 op_sel_hi:[0,1,0]
	v_fma_mix_f32 v6, v0, v3, v2 op_sel:[0,1,0] op_sel_hi:[0,1,0]
	s_delay_alu instid0(VALU_DEP_2) | instskip(NEXT) | instid1(VALU_DEP_2)
	v_div_scale_f32 v7, null, v5, v5, v4
	v_div_scale_f32 v8, null, v5, v5, v6
	s_delay_alu instid0(VALU_DEP_2) | instskip(NEXT) | instid1(VALU_DEP_1)
	v_rcp_f32_e32 v9, v7
	v_rcp_f32_e32 v10, v8
	s_waitcnt_depctr 0xfff
	v_fma_f32 v0, -v7, v9, 1.0
	s_delay_alu instid0(VALU_DEP_1)
	v_fmac_f32_e32 v9, v0, v9
	s_waitcnt vmcnt(0)
	v_mad_u64_u32 v[2:3], null, v1, s9, v[11:12]
	v_fma_f32 v1, -v8, v10, 1.0
	v_div_scale_f32 v11, s4, v6, v5, v6
	v_div_scale_f32 v3, vcc_lo, v4, v5, v4
	s_delay_alu instid0(VALU_DEP_3) | instskip(SKIP_1) | instid1(VALU_DEP_2)
	v_fmac_f32_e32 v10, v1, v10
	v_mul_lo_u32 v0, v2, 48
	v_mul_f32_e32 v13, v11, v10
	s_delay_alu instid0(VALU_DEP_1) | instskip(NEXT) | instid1(VALU_DEP_1)
	v_fma_f32 v2, -v8, v13, v11
	v_dual_mul_f32 v12, v3, v9 :: v_dual_fmac_f32 v13, v2, v10
	s_delay_alu instid0(VALU_DEP_1) | instskip(NEXT) | instid1(VALU_DEP_1)
	v_fma_f32 v1, -v7, v12, v3
	v_fmac_f32_e32 v12, v1, v9
	v_ashrrev_i32_e32 v1, 31, v0
	v_or_b32_e32 v0, v0, v173
	s_delay_alu instid0(VALU_DEP_3) | instskip(NEXT) | instid1(VALU_DEP_3)
	v_fma_f32 v2, -v7, v12, v3
	v_or_b32_e32 v1, 0, v1
	v_fma_f32 v3, -v8, v13, v11
	s_delay_alu instid0(VALU_DEP_3) | instskip(NEXT) | instid1(VALU_DEP_3)
	v_div_fmas_f32 v2, v2, v9, v12
	v_lshlrev_b64 v[0:1], 3, v[0:1]
	s_mov_b32 vcc_lo, s4
	s_delay_alu instid0(VALU_DEP_3) | instskip(NEXT) | instid1(VALU_DEP_3)
	v_div_fmas_f32 v7, v3, v10, v13
	v_div_fixup_f32 v3, v2, v5, v4
	v_mov_b32_e32 v2, 0
	s_delay_alu instid0(VALU_DEP_4) | instskip(NEXT) | instid1(VALU_DEP_4)
	v_add_co_u32 v0, vcc_lo, s41, v0
	v_div_fixup_f32 v4, v7, v5, v6
	v_add_co_ci_u32_e32 v1, vcc_lo, s59, v1, vcc_lo
	global_store_b64 v[0:1], v[3:4], off offset:256
.LBB14_372:                             ;   in Loop: Header=BB14_12 Depth=1
	s_or_b32 exec_lo, exec_lo, s5
	s_mov_b32 s4, -1
	s_mov_b32 s5, exec_lo
	v_cmpx_gt_i32_e32 0x47, v2
; %bb.373:                              ;   in Loop: Header=BB14_12 Depth=1
	v_cmp_eq_u32_e32 vcc_lo, 0, v2
	s_or_not1_b32 s4, vcc_lo, exec_lo
; %bb.374:                              ;   in Loop: Header=BB14_12 Depth=1
	s_or_b32 exec_lo, exec_lo, s5
	s_delay_alu instid0(SALU_CYCLE_1)
	s_and_b32 exec_lo, exec_lo, s4
	s_cbranch_execz .LBB14_10
; %bb.375:                              ;   in Loop: Header=BB14_12 Depth=1
	s_clause 0x1
	scratch_load_b32 v0, off, off offset:352
	scratch_load_b64 v[2:3], off, off offset:324
	s_waitcnt vmcnt(1)
	v_add_nc_u32_e32 v1, s66, v0
	s_waitcnt vmcnt(0)
	v_or_b32_e32 v0, s86, v2
	s_delay_alu instid0(VALU_DEP_2) | instskip(NEXT) | instid1(VALU_DEP_2)
	v_cmp_gt_i32_e32 vcc_lo, s8, v1
	v_cmp_gt_i32_e64 s4, s33, v0
	s_delay_alu instid0(VALU_DEP_1) | instskip(NEXT) | instid1(SALU_CYCLE_1)
	s_and_b32 s4, vcc_lo, s4
	s_and_b32 exec_lo, exec_lo, s4
	s_cbranch_execz .LBB14_10
; %bb.376:                              ;   in Loop: Header=BB14_12 Depth=1
	s_clause 0x1
	scratch_load_b32 v0, off, off offset:372
	scratch_load_b32 v2, off, off offset:368
	s_waitcnt vmcnt(1)
	v_add_nc_u32_e32 v0, 0x80, v0
	s_waitcnt vmcnt(0)
	v_add_nc_u32_e32 v6, 0, v2
	ds_load_2addr_stride64_b32 v[2:3], v0 offset1:13
	ds_load_2addr_b32 v[4:5], v6 offset0:48 offset1:49
	ds_load_b32 v0, v6 offset:3520
	scratch_load_b64 v[11:12], off, off offset:324 ; 8-byte Folded Reload
	s_waitcnt lgkmcnt(1)
	v_fma_mix_f32 v6, v4, v2, 0 op_sel_hi:[0,1,0]
	v_fma_mix_f32 v2, v4, v2, 0 op_sel:[0,1,0] op_sel_hi:[0,1,0]
	s_waitcnt lgkmcnt(0)
	s_delay_alu instid0(VALU_DEP_2) | instskip(NEXT) | instid1(VALU_DEP_2)
	v_fma_mix_f32 v4, v0, v3, v6 op_sel_hi:[0,1,0]
	v_fma_mix_f32 v6, v0, v3, v2 op_sel:[0,1,0] op_sel_hi:[0,1,0]
	s_delay_alu instid0(VALU_DEP_2) | instskip(NEXT) | instid1(VALU_DEP_2)
	v_div_scale_f32 v7, null, v5, v5, v4
	v_div_scale_f32 v8, null, v5, v5, v6
	s_delay_alu instid0(VALU_DEP_2) | instskip(NEXT) | instid1(VALU_DEP_1)
	v_rcp_f32_e32 v9, v7
	v_rcp_f32_e32 v10, v8
	s_waitcnt_depctr 0xfff
	v_fma_f32 v0, -v7, v9, 1.0
	s_delay_alu instid0(VALU_DEP_1)
	v_fmac_f32_e32 v9, v0, v9
	s_waitcnt vmcnt(0)
	v_mad_u64_u32 v[2:3], null, v1, s9, v[11:12]
	v_fma_f32 v1, -v8, v10, 1.0
	v_div_scale_f32 v11, s4, v6, v5, v6
	v_div_scale_f32 v3, vcc_lo, v4, v5, v4
	s_delay_alu instid0(VALU_DEP_3) | instskip(SKIP_1) | instid1(VALU_DEP_2)
	v_fmac_f32_e32 v10, v1, v10
	v_mul_lo_u32 v0, v2, 48
	v_mul_f32_e32 v13, v11, v10
	s_delay_alu instid0(VALU_DEP_1) | instskip(NEXT) | instid1(VALU_DEP_1)
	v_fma_f32 v2, -v8, v13, v11
	v_dual_mul_f32 v12, v3, v9 :: v_dual_fmac_f32 v13, v2, v10
	s_delay_alu instid0(VALU_DEP_1) | instskip(NEXT) | instid1(VALU_DEP_1)
	v_fma_f32 v1, -v7, v12, v3
	v_fmac_f32_e32 v12, v1, v9
	v_ashrrev_i32_e32 v1, 31, v0
	v_or_b32_e32 v0, v0, v173
	s_delay_alu instid0(VALU_DEP_3) | instskip(NEXT) | instid1(VALU_DEP_3)
	v_fma_f32 v2, -v7, v12, v3
	v_or_b32_e32 v1, 0, v1
	v_fma_f32 v3, -v8, v13, v11
	s_delay_alu instid0(VALU_DEP_3) | instskip(NEXT) | instid1(VALU_DEP_3)
	v_div_fmas_f32 v2, v2, v9, v12
	v_lshlrev_b64 v[0:1], 3, v[0:1]
	s_mov_b32 vcc_lo, s4
	s_delay_alu instid0(VALU_DEP_3) | instskip(NEXT) | instid1(VALU_DEP_3)
	v_div_fmas_f32 v3, v3, v10, v13
	v_div_fixup_f32 v2, v2, v5, v4
	s_delay_alu instid0(VALU_DEP_3) | instskip(NEXT) | instid1(VALU_DEP_3)
	v_add_co_u32 v0, vcc_lo, s41, v0
	v_div_fixup_f32 v3, v3, v5, v6
	v_add_co_ci_u32_e32 v1, vcc_lo, s59, v1, vcc_lo
	global_store_b64 v[0:1], v[2:3], off offset:256
	s_branch .LBB14_10
.LBB14_377:
	v_lshlrev_b32_e32 v214, 4, v149
	v_lshlrev_b32_e32 v215, 3, v149
	v_and_b32_e32 v216, 1, v149
	v_add_nc_u32_e32 v76, 14, v149
	v_add_nc_u32_e32 v77, 12, v149
	;; [unrolled: 1-line block ×7, first 2 shown]
	s_and_not1_b32 vcc_lo, exec_lo, s4
	s_cbranch_vccnz .LBB14_8
.LBB14_378:
	s_abs_i32 s0, s71
	s_abs_i32 s3, s50
	v_cvt_f32_u32_e32 v0, s0
	s_sub_i32 s2, 0, s0
	v_mov_b32_e32 v16, s92
	s_delay_alu instid0(VALU_DEP_2) | instskip(SKIP_2) | instid1(VALU_DEP_1)
	v_rcp_iflag_f32_e32 v0, v0
	s_waitcnt_depctr 0xfff
	v_mul_f32_e32 v0, 0x4f7ffffe, v0
	v_cvt_u32_f32_e32 v0, v0
	s_delay_alu instid0(VALU_DEP_1) | instskip(NEXT) | instid1(VALU_DEP_1)
	v_readfirstlane_b32 s1, v0
	s_mul_i32 s2, s2, s1
	s_delay_alu instid0(SALU_CYCLE_1) | instskip(NEXT) | instid1(SALU_CYCLE_1)
	s_mul_hi_u32 s2, s1, s2
	s_add_i32 s1, s1, s2
	s_xor_b32 s2, s50, s71
	s_mul_hi_u32 s1, s3, s1
	s_ashr_i32 s2, s2, 31
	s_mul_i32 s4, s1, s0
	s_delay_alu instid0(SALU_CYCLE_1)
	s_sub_i32 s3, s3, s4
	s_add_i32 s4, s1, 1
	s_sub_i32 s5, s3, s0
	s_cmp_ge_u32 s3, s0
	s_cselect_b32 s1, s4, s1
	s_cselect_b32 s3, s5, s3
	s_add_i32 s4, s1, 1
	s_cmp_ge_u32 s3, s0
	s_cselect_b32 s0, s4, s1
	s_abs_i32 s1, s70
	s_xor_b32 s0, s0, s2
	v_cvt_f32_u32_e32 v0, s1
	s_sub_i32 s2, s0, s2
	s_sub_i32 s0, 0, s1
	s_mul_i32 s4, s2, s71
	s_delay_alu instid0(VALU_DEP_1) | instskip(SKIP_1) | instid1(SALU_CYCLE_1)
	v_rcp_iflag_f32_e32 v0, v0
	s_sub_i32 s4, s50, s4
	s_abs_i32 s5, s4
	s_waitcnt_depctr 0xfff
	v_mul_f32_e32 v0, 0x4f7ffffe, v0
	s_delay_alu instid0(VALU_DEP_1) | instskip(NEXT) | instid1(VALU_DEP_1)
	v_cvt_u32_f32_e32 v0, v0
	v_readfirstlane_b32 s3, v0
	s_delay_alu instid0(VALU_DEP_1) | instskip(NEXT) | instid1(SALU_CYCLE_1)
	s_mul_i32 s0, s0, s3
	s_mul_hi_u32 s0, s3, s0
	s_delay_alu instid0(SALU_CYCLE_1) | instskip(NEXT) | instid1(SALU_CYCLE_1)
	s_add_i32 s3, s3, s0
	s_mul_hi_u32 s0, s5, s3
	s_xor_b32 s3, s4, s70
	s_mul_i32 s6, s0, s1
	s_ashr_i32 s3, s3, 31
	s_sub_i32 s5, s5, s6
	s_add_i32 s6, s0, 1
	s_sub_i32 s7, s5, s1
	s_cmp_ge_u32 s5, s1
	s_cselect_b32 s0, s6, s0
	s_cselect_b32 s5, s7, s5
	s_add_i32 s6, s0, 1
	s_cmp_ge_u32 s5, s1
	s_cselect_b32 s0, s6, s0
	s_abs_i32 s5, s69
	s_xor_b32 s0, s0, s3
	v_cvt_f32_u32_e32 v0, s5
	s_sub_i32 s1, s0, s3
	s_sub_i32 s0, 0, s5
	s_mul_i32 s3, s1, s70
	s_delay_alu instid0(VALU_DEP_1) | instskip(SKIP_1) | instid1(SALU_CYCLE_1)
	v_rcp_iflag_f32_e32 v0, v0
	s_sub_i32 s3, s4, s3
	s_abs_i32 s4, s3
	s_waitcnt_depctr 0xfff
	v_mul_f32_e32 v0, 0x4f7ffffe, v0
	s_delay_alu instid0(VALU_DEP_1) | instskip(NEXT) | instid1(VALU_DEP_1)
	v_cvt_u32_f32_e32 v0, v0
	v_readfirstlane_b32 s6, v0
	s_delay_alu instid0(VALU_DEP_1) | instskip(NEXT) | instid1(SALU_CYCLE_1)
	s_mul_i32 s0, s0, s6
	s_mul_hi_u32 s0, s6, s0
	s_delay_alu instid0(SALU_CYCLE_1) | instskip(NEXT) | instid1(SALU_CYCLE_1)
	s_add_i32 s6, s6, s0
	s_mul_hi_u32 s0, s4, s6
	s_xor_b32 s6, s3, s69
	s_mul_i32 s7, s0, s5
	s_ashr_i32 s6, s6, 31
	s_sub_i32 s4, s4, s7
	s_add_i32 s7, s0, 1
	s_sub_i32 s9, s4, s5
	s_cmp_ge_u32 s4, s5
	s_cselect_b32 s0, s7, s0
	s_cselect_b32 s4, s9, s4
	s_add_i32 s7, s0, 1
	s_cmp_ge_u32 s4, s5
	s_cselect_b32 s0, s7, s0
	s_delay_alu instid0(SALU_CYCLE_1) | instskip(NEXT) | instid1(SALU_CYCLE_1)
	s_xor_b32 s0, s0, s6
	s_sub_i32 s0, s0, s6
	s_delay_alu instid0(SALU_CYCLE_1) | instskip(NEXT) | instid1(SALU_CYCLE_1)
	s_mul_i32 s4, s0, s69
	s_sub_i32 s3, s3, s4
	s_delay_alu instid0(SALU_CYCLE_1) | instskip(SKIP_4) | instid1(SALU_CYCLE_1)
	s_abs_i32 s4, s3
	s_ashr_i32 s3, s3, 31
	s_mul_hi_u32 s5, s4, s75
	s_xor_b32 s7, s3, s74
	s_mul_i32 s6, s5, s73
	s_sub_i32 s3, s4, s6
	s_add_i32 s4, s5, 1
	s_sub_i32 s6, s3, s73
	s_cmp_ge_u32 s3, s73
	s_cselect_b32 s4, s4, s5
	s_cselect_b32 s3, s6, s3
	s_add_i32 s5, s4, 1
	s_cmp_ge_u32 s3, s73
	s_cselect_b32 s4, s5, s4
	s_abs_i32 s3, s52
	s_xor_b32 s4, s4, s7
	v_cvt_f32_u32_e32 v0, s3
	s_sub_i32 s6, s4, s7
	s_cmp_eq_u64 s[26:27], 0
	s_delay_alu instid0(VALU_DEP_1) | instskip(SKIP_2) | instid1(VALU_DEP_1)
	v_rcp_iflag_f32_e32 v0, v0
	s_waitcnt_depctr 0xfff
	v_mul_f32_e32 v0, 0x4f7ffffe, v0
	v_cvt_u32_f32_e32 v0, v0
	s_delay_alu instid0(VALU_DEP_1)
	v_readfirstlane_b32 s9, v0
	s_cbranch_scc1 .LBB14_380
; %bb.379:
	s_mul_i32 s4, s2, s68
	v_mov_b32_e32 v0, 0
	s_add_i32 s4, s6, s4
	s_delay_alu instid0(SALU_CYCLE_1) | instskip(NEXT) | instid1(SALU_CYCLE_1)
	s_ashr_i32 s5, s4, 31
	s_lshl_b64 s[4:5], s[4:5], 2
	s_delay_alu instid0(SALU_CYCLE_1) | instskip(SKIP_4) | instid1(VALU_DEP_1)
	s_add_u32 s4, s26, s4
	s_addc_u32 s5, s27, s5
	global_load_b32 v0, v0, s[4:5]
	s_waitcnt vmcnt(0)
	v_ashrrev_i32_e32 v1, 31, v0
	v_lshrrev_b32_e32 v1, 27, v1
	s_delay_alu instid0(VALU_DEP_1) | instskip(NEXT) | instid1(VALU_DEP_1)
	v_add_nc_u32_e32 v0, v0, v1
	v_ashrrev_i32_e32 v0, 5, v0
	s_delay_alu instid0(VALU_DEP_1)
	v_min_i32_e32 v16, s92, v0
.LBB14_380:
	s_mul_i32 s4, s1, s33
	s_lshl_b32 s7, s0, 3
	s_mul_i32 s0, s2, s49
	s_add_i32 s4, s7, s4
	s_ashr_i32 s5, s0, 31
	s_mul_i32 s4, s4, s48
	s_add_u32 s0, s16, s0
	s_addc_u32 s5, s17, s5
	s_ashr_i32 s11, s4, 31
	s_add_u32 s4, s0, s4
	s_addc_u32 s5, s5, s11
	s_lshl_b32 s11, s6, 1
	v_or_b32_e32 v1, s7, v158
	v_add_nc_u32_e32 v0, s11, v162
	s_delay_alu instid0(VALU_DEP_2) | instskip(NEXT) | instid1(VALU_DEP_2)
	v_cmp_gt_i32_e32 vcc_lo, s33, v1
	v_cmp_le_i32_e64 s0, s8, v0
	s_xor_b32 s16, vcc_lo, -1
	s_delay_alu instid0(VALU_DEP_1) | instid1(SALU_CYCLE_1)
	s_or_b32 s0, s0, s16
	s_delay_alu instid0(SALU_CYCLE_1) | instskip(NEXT) | instid1(SALU_CYCLE_1)
	s_and_saveexec_b32 s17, s0
	s_xor_b32 s0, exec_lo, s17
	s_cbranch_execz .LBB14_382
; %bb.381:
	v_mad_u32_u24 v0, v149, 52, v104
	v_mov_b32_e32 v1, 0
	s_delay_alu instid0(VALU_DEP_2)
	v_lshl_add_u32 v0, v0, 2, 0
	ds_store_b32 v0, v1
                                        ; implicit-def: $vgpr0
.LBB14_382:
	s_and_not1_saveexec_b32 s0, s0
	s_cbranch_execz .LBB14_384
; %bb.383:
	v_mul_lo_u32 v0, v0, s51
	v_mul_lo_u32 v1, v158, s55
	s_delay_alu instid0(VALU_DEP_1) | instskip(NEXT) | instid1(VALU_DEP_1)
	v_add3_u32 v0, v1, v104, v0
	v_ashrrev_i32_e32 v1, 31, v0
	s_delay_alu instid0(VALU_DEP_1) | instskip(NEXT) | instid1(VALU_DEP_1)
	v_lshlrev_b64 v[0:1], 3, v[0:1]
	v_add_co_u32 v0, vcc_lo, s4, v0
	s_delay_alu instid0(VALU_DEP_2) | instskip(SKIP_4) | instid1(VALU_DEP_1)
	v_add_co_ci_u32_e32 v1, vcc_lo, s5, v1, vcc_lo
	global_load_b64 v[0:1], v[0:1], off
	s_waitcnt vmcnt(0)
	v_cvt_f16_f32_e32 v0, v0
	v_cvt_f16_f32_e32 v1, v1
	v_pack_b32_f16 v0, v0, v1
	v_mad_u32_u24 v1, v149, 52, v104
	s_delay_alu instid0(VALU_DEP_2) | instskip(NEXT) | instid1(VALU_DEP_2)
	v_pk_mul_f16 v0, v153, v0
	v_lshl_add_u32 v1, v1, 2, 0
	ds_store_b32 v1, v0
.LBB14_384:
	s_or_b32 exec_lo, exec_lo, s0
	v_lshrrev_b32_e32 v1, 3, v82
	v_and_b32_e32 v0, 7, v82
	s_delay_alu instid0(VALU_DEP_2) | instskip(NEXT) | instid1(VALU_DEP_2)
	v_add_nc_u32_e32 v1, s11, v1
	v_or_b32_e32 v2, s7, v0
	s_delay_alu instid0(VALU_DEP_2) | instskip(NEXT) | instid1(VALU_DEP_2)
	v_cmp_le_i32_e32 vcc_lo, s8, v1
	v_cmp_le_i32_e64 s0, s33, v2
	s_delay_alu instid0(VALU_DEP_1) | instskip(NEXT) | instid1(SALU_CYCLE_1)
	s_or_b32 s0, vcc_lo, s0
	s_and_saveexec_b32 s17, s0
	s_delay_alu instid0(SALU_CYCLE_1)
	s_xor_b32 s0, exec_lo, s17
	s_cbranch_execz .LBB14_386
; %bb.385:
	v_mad_u32_u24 v0, v82, 52, v104
	v_mov_b32_e32 v1, 0
                                        ; implicit-def: $vgpr82
	s_delay_alu instid0(VALU_DEP_2)
	v_lshl_add_u32 v0, v0, 2, 0
	ds_store_b32 v0, v1
                                        ; implicit-def: $vgpr1
                                        ; implicit-def: $vgpr0
.LBB14_386:
	s_and_not1_saveexec_b32 s0, s0
	s_cbranch_execz .LBB14_388
; %bb.387:
	v_mul_lo_u32 v1, v1, s51
	v_mul_lo_u32 v0, v0, s55
	s_delay_alu instid0(VALU_DEP_1) | instskip(NEXT) | instid1(VALU_DEP_1)
	v_add3_u32 v0, v0, v104, v1
	v_ashrrev_i32_e32 v1, 31, v0
	s_delay_alu instid0(VALU_DEP_1) | instskip(NEXT) | instid1(VALU_DEP_1)
	v_lshlrev_b64 v[0:1], 3, v[0:1]
	v_add_co_u32 v0, vcc_lo, s4, v0
	s_delay_alu instid0(VALU_DEP_2) | instskip(SKIP_4) | instid1(VALU_DEP_1)
	v_add_co_ci_u32_e32 v1, vcc_lo, s5, v1, vcc_lo
	global_load_b64 v[0:1], v[0:1], off
	s_waitcnt vmcnt(0)
	v_cvt_f16_f32_e32 v0, v0
	v_cvt_f16_f32_e32 v1, v1
	v_pack_b32_f16 v0, v0, v1
	v_mad_u32_u24 v1, v82, 52, v104
	s_delay_alu instid0(VALU_DEP_2) | instskip(NEXT) | instid1(VALU_DEP_2)
	v_pk_mul_f16 v0, v153, v0
	v_lshl_add_u32 v1, v1, 2, 0
	ds_store_b32 v1, v0
.LBB14_388:
	s_or_b32 exec_lo, exec_lo, s0
	v_lshrrev_b32_e32 v1, 3, v81
	v_and_b32_e32 v0, 7, v81
	s_delay_alu instid0(VALU_DEP_2) | instskip(NEXT) | instid1(VALU_DEP_2)
	v_add_nc_u32_e32 v1, s11, v1
	v_or_b32_e32 v2, s7, v0
	s_delay_alu instid0(VALU_DEP_2) | instskip(NEXT) | instid1(VALU_DEP_2)
	v_cmp_le_i32_e32 vcc_lo, s8, v1
	v_cmp_le_i32_e64 s0, s33, v2
	s_delay_alu instid0(VALU_DEP_1) | instskip(NEXT) | instid1(SALU_CYCLE_1)
	s_or_b32 s0, vcc_lo, s0
	s_and_saveexec_b32 s17, s0
	s_delay_alu instid0(SALU_CYCLE_1)
	s_xor_b32 s0, exec_lo, s17
	s_cbranch_execz .LBB14_390
; %bb.389:
	v_mad_u32_u24 v0, v81, 52, v104
	v_mov_b32_e32 v1, 0
                                        ; implicit-def: $vgpr81
	s_delay_alu instid0(VALU_DEP_2)
	v_lshl_add_u32 v0, v0, 2, 0
	ds_store_b32 v0, v1
                                        ; implicit-def: $vgpr1
                                        ; implicit-def: $vgpr0
.LBB14_390:
	s_and_not1_saveexec_b32 s0, s0
	s_cbranch_execz .LBB14_392
; %bb.391:
	v_mul_lo_u32 v1, v1, s51
	v_mul_lo_u32 v0, v0, s55
	s_delay_alu instid0(VALU_DEP_1) | instskip(NEXT) | instid1(VALU_DEP_1)
	v_add3_u32 v0, v0, v104, v1
	v_ashrrev_i32_e32 v1, 31, v0
	s_delay_alu instid0(VALU_DEP_1) | instskip(NEXT) | instid1(VALU_DEP_1)
	v_lshlrev_b64 v[0:1], 3, v[0:1]
	v_add_co_u32 v0, vcc_lo, s4, v0
	s_delay_alu instid0(VALU_DEP_2) | instskip(SKIP_4) | instid1(VALU_DEP_1)
	v_add_co_ci_u32_e32 v1, vcc_lo, s5, v1, vcc_lo
	global_load_b64 v[0:1], v[0:1], off
	s_waitcnt vmcnt(0)
	v_cvt_f16_f32_e32 v0, v0
	v_cvt_f16_f32_e32 v1, v1
	v_pack_b32_f16 v0, v0, v1
	v_mad_u32_u24 v1, v81, 52, v104
	s_delay_alu instid0(VALU_DEP_2) | instskip(NEXT) | instid1(VALU_DEP_2)
	v_pk_mul_f16 v0, v153, v0
	v_lshl_add_u32 v1, v1, 2, 0
	ds_store_b32 v1, v0
.LBB14_392:
	s_or_b32 exec_lo, exec_lo, s0
	v_lshrrev_b32_e32 v1, 3, v80
	v_and_b32_e32 v0, 7, v80
	s_delay_alu instid0(VALU_DEP_2) | instskip(NEXT) | instid1(VALU_DEP_2)
	v_add_nc_u32_e32 v1, s11, v1
	v_or_b32_e32 v2, s7, v0
	s_delay_alu instid0(VALU_DEP_2) | instskip(NEXT) | instid1(VALU_DEP_2)
	v_cmp_le_i32_e32 vcc_lo, s8, v1
	v_cmp_le_i32_e64 s0, s33, v2
	s_delay_alu instid0(VALU_DEP_1) | instskip(NEXT) | instid1(SALU_CYCLE_1)
	s_or_b32 s0, vcc_lo, s0
	s_and_saveexec_b32 s17, s0
	s_delay_alu instid0(SALU_CYCLE_1)
	s_xor_b32 s0, exec_lo, s17
	s_cbranch_execz .LBB14_394
; %bb.393:
	v_mad_u32_u24 v0, v80, 52, v104
	v_mov_b32_e32 v1, 0
                                        ; implicit-def: $vgpr80
	s_delay_alu instid0(VALU_DEP_2)
	v_lshl_add_u32 v0, v0, 2, 0
	ds_store_b32 v0, v1
                                        ; implicit-def: $vgpr1
                                        ; implicit-def: $vgpr0
.LBB14_394:
	s_and_not1_saveexec_b32 s0, s0
	s_cbranch_execz .LBB14_396
; %bb.395:
	v_mul_lo_u32 v1, v1, s51
	v_mul_lo_u32 v0, v0, s55
	s_delay_alu instid0(VALU_DEP_1) | instskip(NEXT) | instid1(VALU_DEP_1)
	v_add3_u32 v0, v0, v104, v1
	v_ashrrev_i32_e32 v1, 31, v0
	s_delay_alu instid0(VALU_DEP_1) | instskip(NEXT) | instid1(VALU_DEP_1)
	v_lshlrev_b64 v[0:1], 3, v[0:1]
	v_add_co_u32 v0, vcc_lo, s4, v0
	s_delay_alu instid0(VALU_DEP_2) | instskip(SKIP_4) | instid1(VALU_DEP_1)
	v_add_co_ci_u32_e32 v1, vcc_lo, s5, v1, vcc_lo
	global_load_b64 v[0:1], v[0:1], off
	s_waitcnt vmcnt(0)
	v_cvt_f16_f32_e32 v0, v0
	v_cvt_f16_f32_e32 v1, v1
	v_pack_b32_f16 v0, v0, v1
	v_mad_u32_u24 v1, v80, 52, v104
	s_delay_alu instid0(VALU_DEP_2) | instskip(NEXT) | instid1(VALU_DEP_2)
	v_pk_mul_f16 v0, v153, v0
	v_lshl_add_u32 v1, v1, 2, 0
	ds_store_b32 v1, v0
.LBB14_396:
	s_or_b32 exec_lo, exec_lo, s0
	v_lshrrev_b32_e32 v0, 3, v79
	s_delay_alu instid0(VALU_DEP_1) | instskip(NEXT) | instid1(VALU_DEP_1)
	v_add_nc_u32_e32 v0, s11, v0
	v_cmp_le_i32_e32 vcc_lo, s8, v0
	s_or_b32 s0, vcc_lo, s16
	s_delay_alu instid0(SALU_CYCLE_1) | instskip(NEXT) | instid1(SALU_CYCLE_1)
	s_and_saveexec_b32 s16, s0
	s_xor_b32 s0, exec_lo, s16
	s_cbranch_execz .LBB14_398
; %bb.397:
	v_mad_u32_u24 v0, v79, 52, v104
	v_mov_b32_e32 v1, 0
                                        ; implicit-def: $vgpr158
                                        ; implicit-def: $vgpr79
	s_delay_alu instid0(VALU_DEP_2)
	v_lshl_add_u32 v0, v0, 2, 0
	ds_store_b32 v0, v1
                                        ; implicit-def: $vgpr0
.LBB14_398:
	s_and_not1_saveexec_b32 s0, s0
	s_cbranch_execz .LBB14_400
; %bb.399:
	v_mul_lo_u32 v0, v0, s51
	v_mul_lo_u32 v1, v158, s55
	s_delay_alu instid0(VALU_DEP_1) | instskip(NEXT) | instid1(VALU_DEP_1)
	v_add3_u32 v0, v1, v104, v0
	v_ashrrev_i32_e32 v1, 31, v0
	s_delay_alu instid0(VALU_DEP_1) | instskip(NEXT) | instid1(VALU_DEP_1)
	v_lshlrev_b64 v[0:1], 3, v[0:1]
	v_add_co_u32 v0, vcc_lo, s4, v0
	s_delay_alu instid0(VALU_DEP_2) | instskip(SKIP_4) | instid1(VALU_DEP_1)
	v_add_co_ci_u32_e32 v1, vcc_lo, s5, v1, vcc_lo
	global_load_b64 v[0:1], v[0:1], off
	s_waitcnt vmcnt(0)
	v_cvt_f16_f32_e32 v0, v0
	v_cvt_f16_f32_e32 v1, v1
	v_pack_b32_f16 v0, v0, v1
	v_mad_u32_u24 v1, v79, 52, v104
	s_delay_alu instid0(VALU_DEP_2) | instskip(NEXT) | instid1(VALU_DEP_2)
	v_pk_mul_f16 v0, v153, v0
	v_lshl_add_u32 v1, v1, 2, 0
	ds_store_b32 v1, v0
.LBB14_400:
	s_or_b32 exec_lo, exec_lo, s0
	v_lshrrev_b32_e32 v1, 3, v78
	v_and_b32_e32 v0, 7, v78
	s_delay_alu instid0(VALU_DEP_2) | instskip(NEXT) | instid1(VALU_DEP_2)
	v_add_nc_u32_e32 v1, s11, v1
	v_or_b32_e32 v2, s7, v0
	s_delay_alu instid0(VALU_DEP_2) | instskip(NEXT) | instid1(VALU_DEP_2)
	v_cmp_le_i32_e32 vcc_lo, s8, v1
	v_cmp_le_i32_e64 s0, s33, v2
	s_delay_alu instid0(VALU_DEP_1) | instskip(NEXT) | instid1(SALU_CYCLE_1)
	s_or_b32 s0, vcc_lo, s0
	s_and_saveexec_b32 s16, s0
	s_delay_alu instid0(SALU_CYCLE_1)
	s_xor_b32 s0, exec_lo, s16
	s_cbranch_execz .LBB14_402
; %bb.401:
	v_mad_u32_u24 v0, v78, 52, v104
	v_mov_b32_e32 v1, 0
                                        ; implicit-def: $vgpr78
	s_delay_alu instid0(VALU_DEP_2)
	v_lshl_add_u32 v0, v0, 2, 0
	ds_store_b32 v0, v1
                                        ; implicit-def: $vgpr1
                                        ; implicit-def: $vgpr0
.LBB14_402:
	s_and_not1_saveexec_b32 s0, s0
	s_cbranch_execz .LBB14_404
; %bb.403:
	v_mul_lo_u32 v1, v1, s51
	v_mul_lo_u32 v0, v0, s55
	s_delay_alu instid0(VALU_DEP_1) | instskip(NEXT) | instid1(VALU_DEP_1)
	v_add3_u32 v0, v0, v104, v1
	v_ashrrev_i32_e32 v1, 31, v0
	s_delay_alu instid0(VALU_DEP_1) | instskip(NEXT) | instid1(VALU_DEP_1)
	v_lshlrev_b64 v[0:1], 3, v[0:1]
	v_add_co_u32 v0, vcc_lo, s4, v0
	s_delay_alu instid0(VALU_DEP_2) | instskip(SKIP_4) | instid1(VALU_DEP_1)
	v_add_co_ci_u32_e32 v1, vcc_lo, s5, v1, vcc_lo
	global_load_b64 v[0:1], v[0:1], off
	s_waitcnt vmcnt(0)
	v_cvt_f16_f32_e32 v0, v0
	v_cvt_f16_f32_e32 v1, v1
	v_pack_b32_f16 v0, v0, v1
	v_mad_u32_u24 v1, v78, 52, v104
	s_delay_alu instid0(VALU_DEP_2) | instskip(NEXT) | instid1(VALU_DEP_2)
	v_pk_mul_f16 v0, v153, v0
	v_lshl_add_u32 v1, v1, 2, 0
	ds_store_b32 v1, v0
.LBB14_404:
	s_or_b32 exec_lo, exec_lo, s0
	v_lshrrev_b32_e32 v1, 3, v77
	v_and_b32_e32 v0, 7, v77
	s_delay_alu instid0(VALU_DEP_2) | instskip(NEXT) | instid1(VALU_DEP_2)
	v_add_nc_u32_e32 v1, s11, v1
	v_or_b32_e32 v2, s7, v0
	s_delay_alu instid0(VALU_DEP_2) | instskip(NEXT) | instid1(VALU_DEP_2)
	v_cmp_le_i32_e32 vcc_lo, s8, v1
	v_cmp_le_i32_e64 s0, s33, v2
	s_delay_alu instid0(VALU_DEP_1) | instskip(NEXT) | instid1(SALU_CYCLE_1)
	s_or_b32 s0, vcc_lo, s0
	s_and_saveexec_b32 s16, s0
	s_delay_alu instid0(SALU_CYCLE_1)
	s_xor_b32 s0, exec_lo, s16
	s_cbranch_execz .LBB14_406
; %bb.405:
	v_mad_u32_u24 v0, v77, 52, v104
	v_mov_b32_e32 v1, 0
                                        ; implicit-def: $vgpr77
	s_delay_alu instid0(VALU_DEP_2)
	v_lshl_add_u32 v0, v0, 2, 0
	ds_store_b32 v0, v1
                                        ; implicit-def: $vgpr1
                                        ; implicit-def: $vgpr0
.LBB14_406:
	s_and_not1_saveexec_b32 s0, s0
	s_cbranch_execz .LBB14_408
; %bb.407:
	v_mul_lo_u32 v1, v1, s51
	v_mul_lo_u32 v0, v0, s55
	s_delay_alu instid0(VALU_DEP_1) | instskip(NEXT) | instid1(VALU_DEP_1)
	v_add3_u32 v0, v0, v104, v1
	v_ashrrev_i32_e32 v1, 31, v0
	s_delay_alu instid0(VALU_DEP_1) | instskip(NEXT) | instid1(VALU_DEP_1)
	v_lshlrev_b64 v[0:1], 3, v[0:1]
	v_add_co_u32 v0, vcc_lo, s4, v0
	s_delay_alu instid0(VALU_DEP_2) | instskip(SKIP_4) | instid1(VALU_DEP_1)
	v_add_co_ci_u32_e32 v1, vcc_lo, s5, v1, vcc_lo
	global_load_b64 v[0:1], v[0:1], off
	s_waitcnt vmcnt(0)
	v_cvt_f16_f32_e32 v0, v0
	v_cvt_f16_f32_e32 v1, v1
	v_pack_b32_f16 v0, v0, v1
	v_mad_u32_u24 v1, v77, 52, v104
	s_delay_alu instid0(VALU_DEP_2) | instskip(NEXT) | instid1(VALU_DEP_2)
	v_pk_mul_f16 v0, v153, v0
	v_lshl_add_u32 v1, v1, 2, 0
	ds_store_b32 v1, v0
.LBB14_408:
	s_or_b32 exec_lo, exec_lo, s0
	v_lshrrev_b32_e32 v1, 3, v76
	v_and_b32_e32 v0, 7, v76
	s_delay_alu instid0(VALU_DEP_2) | instskip(NEXT) | instid1(VALU_DEP_2)
	v_add_nc_u32_e32 v1, s11, v1
	v_or_b32_e32 v2, s7, v0
	s_delay_alu instid0(VALU_DEP_2) | instskip(NEXT) | instid1(VALU_DEP_2)
	v_cmp_le_i32_e32 vcc_lo, s8, v1
	v_cmp_le_i32_e64 s0, s33, v2
	s_delay_alu instid0(VALU_DEP_1) | instskip(NEXT) | instid1(SALU_CYCLE_1)
	s_or_b32 s0, vcc_lo, s0
	s_and_saveexec_b32 s16, s0
	s_delay_alu instid0(SALU_CYCLE_1)
	s_xor_b32 s0, exec_lo, s16
	s_cbranch_execz .LBB14_410
; %bb.409:
	v_mad_u32_u24 v0, v76, 52, v104
	v_mov_b32_e32 v1, 0
                                        ; implicit-def: $vgpr76
	s_delay_alu instid0(VALU_DEP_2)
	v_lshl_add_u32 v0, v0, 2, 0
	ds_store_b32 v0, v1
                                        ; implicit-def: $vgpr1
                                        ; implicit-def: $vgpr0
.LBB14_410:
	s_and_not1_saveexec_b32 s0, s0
	s_cbranch_execz .LBB14_412
; %bb.411:
	v_mul_lo_u32 v1, v1, s51
	v_mul_lo_u32 v0, v0, s55
	s_delay_alu instid0(VALU_DEP_1) | instskip(NEXT) | instid1(VALU_DEP_1)
	v_add3_u32 v0, v0, v104, v1
	v_ashrrev_i32_e32 v1, 31, v0
	s_delay_alu instid0(VALU_DEP_1) | instskip(NEXT) | instid1(VALU_DEP_1)
	v_lshlrev_b64 v[0:1], 3, v[0:1]
	v_add_co_u32 v0, vcc_lo, s4, v0
	s_delay_alu instid0(VALU_DEP_2) | instskip(SKIP_4) | instid1(VALU_DEP_1)
	v_add_co_ci_u32_e32 v1, vcc_lo, s5, v1, vcc_lo
	global_load_b64 v[0:1], v[0:1], off
	s_waitcnt vmcnt(0)
	v_cvt_f16_f32_e32 v0, v0
	v_cvt_f16_f32_e32 v1, v1
	v_pack_b32_f16 v0, v0, v1
	v_mad_u32_u24 v1, v76, 52, v104
	s_delay_alu instid0(VALU_DEP_2) | instskip(NEXT) | instid1(VALU_DEP_2)
	v_pk_mul_f16 v0, v153, v0
	v_lshl_add_u32 v1, v1, 2, 0
	ds_store_b32 v1, v0
.LBB14_412:
	s_or_b32 exec_lo, exec_lo, s0
	v_lshrrev_b32_e32 v130, 4, v104
	v_and_b32_e32 v129, 15, v104
	s_delay_alu instid0(VALU_DEP_2) | instskip(NEXT) | instid1(VALU_DEP_1)
	v_lshl_add_u32 v135, v149, 1, v130
	v_and_b32_e32 v1, 7, v135
	v_lshrrev_b32_e32 v0, 3, v135
	s_delay_alu instid0(VALU_DEP_2) | instskip(NEXT) | instid1(VALU_DEP_2)
	v_or_b32_e32 v3, s7, v1
	v_add_nc_u32_e32 v2, s11, v0
	s_delay_alu instid0(VALU_DEP_2) | instskip(NEXT) | instid1(VALU_DEP_2)
	v_cmp_gt_i32_e32 vcc_lo, s33, v3
	v_cmp_le_i32_e64 s0, s8, v2
	s_xor_b32 s16, vcc_lo, -1
	s_delay_alu instid0(VALU_DEP_1) | instid1(SALU_CYCLE_1)
	s_or_b32 s0, s0, s16
	s_delay_alu instid0(SALU_CYCLE_1) | instskip(NEXT) | instid1(SALU_CYCLE_1)
	s_and_saveexec_b32 s17, s0
	s_xor_b32 s0, exec_lo, s17
	s_cbranch_execz .LBB14_414
; %bb.413:
	v_mad_u32_u24 v0, v135, 52, v129
	v_mov_b32_e32 v2, 0
	s_delay_alu instid0(VALU_DEP_2)
	v_lshl_add_u32 v0, v0, 2, 0
	ds_store_b32 v0, v2 offset:128
                                        ; implicit-def: $vgpr2
.LBB14_414:
	s_or_saveexec_b32 s0, s0
	v_or_b32_e32 v0, 32, v129
	s_xor_b32 exec_lo, exec_lo, s0
	s_cbranch_execz .LBB14_416
; %bb.415:
	v_mul_lo_u32 v2, v2, s51
	v_mul_lo_u32 v3, v1, s55
	s_delay_alu instid0(VALU_DEP_1) | instskip(NEXT) | instid1(VALU_DEP_1)
	v_add3_u32 v2, v3, v0, v2
	v_ashrrev_i32_e32 v3, 31, v2
	s_delay_alu instid0(VALU_DEP_1) | instskip(NEXT) | instid1(VALU_DEP_1)
	v_lshlrev_b64 v[2:3], 3, v[2:3]
	v_add_co_u32 v2, vcc_lo, s4, v2
	s_delay_alu instid0(VALU_DEP_2) | instskip(SKIP_4) | instid1(VALU_DEP_1)
	v_add_co_ci_u32_e32 v3, vcc_lo, s5, v3, vcc_lo
	global_load_b64 v[2:3], v[2:3], off
	s_waitcnt vmcnt(0)
	v_cvt_f16_f32_e32 v2, v2
	v_cvt_f16_f32_e32 v3, v3
	v_pack_b32_f16 v2, v2, v3
	v_mad_u32_u24 v3, v135, 52, v129
	s_delay_alu instid0(VALU_DEP_2) | instskip(NEXT) | instid1(VALU_DEP_2)
	v_pk_mul_f16 v2, v153, v2
	v_lshl_add_u32 v3, v3, 2, 0
	ds_store_b32 v3, v2 offset:128
.LBB14_416:
	s_or_b32 exec_lo, exec_lo, s0
	v_add_nc_u32_e32 v2, 4, v135
	s_sub_i32 s17, 0, s3
	s_delay_alu instid0(VALU_DEP_1) | instskip(SKIP_1) | instid1(VALU_DEP_2)
	v_lshrrev_b32_e32 v4, 3, v2
	v_and_b32_e32 v3, 7, v2
	v_add_nc_u32_e32 v4, s11, v4
	s_delay_alu instid0(VALU_DEP_2) | instskip(NEXT) | instid1(VALU_DEP_2)
	v_or_b32_e32 v5, s7, v3
	v_cmp_le_i32_e32 vcc_lo, s8, v4
	s_delay_alu instid0(VALU_DEP_2) | instskip(NEXT) | instid1(VALU_DEP_1)
	v_cmp_le_i32_e64 s0, s33, v5
	s_or_b32 s0, vcc_lo, s0
	s_delay_alu instid0(SALU_CYCLE_1) | instskip(NEXT) | instid1(SALU_CYCLE_1)
	s_and_saveexec_b32 s24, s0
	s_xor_b32 s0, exec_lo, s24
	s_cbranch_execz .LBB14_418
; %bb.417:
	v_mad_u32_u24 v2, v2, 52, v129
	v_mov_b32_e32 v3, 0
                                        ; implicit-def: $vgpr4
	s_delay_alu instid0(VALU_DEP_2)
	v_lshl_add_u32 v2, v2, 2, 0
	ds_store_b32 v2, v3 offset:128
                                        ; implicit-def: $vgpr3
                                        ; implicit-def: $vgpr2
.LBB14_418:
	s_or_saveexec_b32 s0, s0
	s_mul_i32 s17, s17, s9
	s_xor_b32 exec_lo, exec_lo, s0
	s_cbranch_execz .LBB14_420
; %bb.419:
	v_mul_lo_u32 v4, v4, s51
	v_mul_lo_u32 v3, v3, s55
	v_mad_u32_u24 v2, v2, 52, v129
	s_delay_alu instid0(VALU_DEP_1) | instskip(NEXT) | instid1(VALU_DEP_3)
	v_lshl_add_u32 v2, v2, 2, 0
	v_add3_u32 v3, v3, v0, v4
	s_delay_alu instid0(VALU_DEP_1) | instskip(NEXT) | instid1(VALU_DEP_1)
	v_ashrrev_i32_e32 v4, 31, v3
	v_lshlrev_b64 v[3:4], 3, v[3:4]
	s_delay_alu instid0(VALU_DEP_1) | instskip(NEXT) | instid1(VALU_DEP_2)
	v_add_co_u32 v3, vcc_lo, s4, v3
	v_add_co_ci_u32_e32 v4, vcc_lo, s5, v4, vcc_lo
	global_load_b64 v[3:4], v[3:4], off
	s_waitcnt vmcnt(0)
	v_cvt_f16_f32_e32 v3, v3
	v_cvt_f16_f32_e32 v4, v4
	s_delay_alu instid0(VALU_DEP_1) | instskip(NEXT) | instid1(VALU_DEP_1)
	v_pack_b32_f16 v3, v3, v4
	v_pk_mul_f16 v3, v153, v3
	ds_store_b32 v2, v3 offset:128
.LBB14_420:
	s_or_b32 exec_lo, exec_lo, s0
	v_add_nc_u32_e32 v2, 8, v135
	s_mul_hi_u32 s24, s9, s17
	s_delay_alu instid0(VALU_DEP_1) | instskip(NEXT) | instid1(VALU_DEP_1)
	v_lshrrev_b32_e32 v3, 3, v2
	v_add_nc_u32_e32 v3, s11, v3
	s_delay_alu instid0(VALU_DEP_1) | instskip(SKIP_1) | instid1(SALU_CYCLE_1)
	v_cmp_le_i32_e32 vcc_lo, s8, v3
	s_or_b32 s0, vcc_lo, s16
	s_and_saveexec_b32 s16, s0
	s_delay_alu instid0(SALU_CYCLE_1)
	s_xor_b32 s0, exec_lo, s16
	s_cbranch_execz .LBB14_422
; %bb.421:
	v_mad_u32_u24 v1, v2, 52, v129
	v_mov_b32_e32 v2, 0
                                        ; implicit-def: $vgpr3
	s_delay_alu instid0(VALU_DEP_2)
	v_lshl_add_u32 v1, v1, 2, 0
	ds_store_b32 v1, v2 offset:128
                                        ; implicit-def: $vgpr1
                                        ; implicit-def: $vgpr2
.LBB14_422:
	s_or_saveexec_b32 s0, s0
	s_abs_i32 s17, s2
	s_add_i32 s9, s9, s24
	s_xor_b32 exec_lo, exec_lo, s0
	s_cbranch_execz .LBB14_424
; %bb.423:
	v_mul_lo_u32 v3, v3, s51
	v_mul_lo_u32 v1, v1, s55
	v_mad_u32_u24 v2, v2, 52, v129
	s_delay_alu instid0(VALU_DEP_1) | instskip(NEXT) | instid1(VALU_DEP_3)
	v_lshl_add_u32 v2, v2, 2, 0
	v_add3_u32 v3, v1, v0, v3
	s_delay_alu instid0(VALU_DEP_1) | instskip(NEXT) | instid1(VALU_DEP_1)
	v_ashrrev_i32_e32 v4, 31, v3
	v_lshlrev_b64 v[3:4], 3, v[3:4]
	s_delay_alu instid0(VALU_DEP_1) | instskip(NEXT) | instid1(VALU_DEP_2)
	v_add_co_u32 v3, vcc_lo, s4, v3
	v_add_co_ci_u32_e32 v4, vcc_lo, s5, v4, vcc_lo
	global_load_b64 v[3:4], v[3:4], off
	s_waitcnt vmcnt(0)
	v_cvt_f16_f32_e32 v1, v3
	v_cvt_f16_f32_e32 v3, v4
	s_delay_alu instid0(VALU_DEP_1) | instskip(NEXT) | instid1(VALU_DEP_1)
	v_pack_b32_f16 v1, v1, v3
	v_pk_mul_f16 v1, v153, v1
	ds_store_b32 v2, v1 offset:128
.LBB14_424:
	s_or_b32 exec_lo, exec_lo, s0
	v_add_nc_u32_e32 v1, 12, v135
	s_delay_alu instid0(VALU_DEP_1) | instskip(SKIP_1) | instid1(VALU_DEP_2)
	v_lshrrev_b32_e32 v3, 3, v1
	v_and_b32_e32 v2, 7, v1
	v_add_nc_u32_e32 v3, s11, v3
	s_delay_alu instid0(VALU_DEP_2) | instskip(SKIP_1) | instid1(VALU_DEP_2)
	v_or_b32_e32 v4, s7, v2
	s_mul_hi_u32 s7, s17, s9
	v_cmp_le_i32_e32 vcc_lo, s8, v3
	s_delay_alu instid0(VALU_DEP_2) | instskip(NEXT) | instid1(VALU_DEP_1)
	v_cmp_le_i32_e64 s0, s33, v4
	s_or_b32 s0, vcc_lo, s0
	s_delay_alu instid0(SALU_CYCLE_1) | instskip(NEXT) | instid1(SALU_CYCLE_1)
	s_and_saveexec_b32 s9, s0
	s_xor_b32 s0, exec_lo, s9
	s_cbranch_execz .LBB14_426
; %bb.425:
	v_mad_u32_u24 v0, v1, 52, v129
	v_mov_b32_e32 v1, 0
                                        ; implicit-def: $vgpr3
                                        ; implicit-def: $vgpr2
                                        ; implicit-def: $vgpr153
	s_delay_alu instid0(VALU_DEP_2)
	v_lshl_add_u32 v0, v0, 2, 0
	ds_store_b32 v0, v1 offset:128
                                        ; implicit-def: $vgpr0
                                        ; implicit-def: $vgpr1
.LBB14_426:
	s_or_saveexec_b32 s9, s0
	s_ashr_i32 s0, s2, 31
	s_xor_b32 exec_lo, exec_lo, s9
	s_cbranch_execz .LBB14_428
; %bb.427:
	v_mul_lo_u32 v3, v3, s51
	v_mul_lo_u32 v2, v2, s55
	v_mad_u32_u24 v1, v1, 52, v129
	s_delay_alu instid0(VALU_DEP_1) | instskip(NEXT) | instid1(VALU_DEP_3)
	v_lshl_add_u32 v1, v1, 2, 0
	v_add3_u32 v2, v2, v0, v3
	s_delay_alu instid0(VALU_DEP_1) | instskip(NEXT) | instid1(VALU_DEP_1)
	v_ashrrev_i32_e32 v3, 31, v2
	v_lshlrev_b64 v[2:3], 3, v[2:3]
	s_delay_alu instid0(VALU_DEP_1) | instskip(NEXT) | instid1(VALU_DEP_2)
	v_add_co_u32 v2, vcc_lo, s4, v2
	v_add_co_ci_u32_e32 v3, vcc_lo, s5, v3, vcc_lo
	global_load_b64 v[2:3], v[2:3], off
	s_waitcnt vmcnt(0)
	v_cvt_f16_f32_e32 v0, v2
	v_cvt_f16_f32_e32 v2, v3
	s_delay_alu instid0(VALU_DEP_1) | instskip(NEXT) | instid1(VALU_DEP_1)
	v_pack_b32_f16 v0, v0, v2
	v_pk_mul_f16 v0, v153, v0
	ds_store_b32 v1, v0 offset:128
.LBB14_428:
	s_or_b32 exec_lo, exec_lo, s9
	v_and_b32_e32 v17, 0x1ff0, v215
	s_mul_i32 s4, s2, s37
	s_mul_hi_u32 s5, s2, s36
	v_mul_u32_u24_e32 v133, 0xd0, v129
	s_add_i32 s4, s5, s4
	s_mul_i32 s5, s0, s36
	v_mul_u32_u24_e32 v0, 0xd0, v17
	s_mul_i32 s9, s2, s36
	s_add_i32 s4, s4, s5
	s_add_u32 s5, s18, s9
	s_mul_i32 s9, s1, s47
	s_addc_u32 s4, s19, s4
	s_ashr_i32 s16, s9, 31
	s_mul_i32 s7, s7, s3
	v_add3_u32 v18, 0, v0, v133
	s_add_u32 s11, s5, s9
	s_addc_u32 s16, s4, s16
	s_sub_i32 s4, s17, s7
	s_waitcnt lgkmcnt(0)
	s_sub_i32 s5, s4, s3
	s_cmp_ge_u32 s4, s3
	s_barrier
	buffer_gl0_inv
	ds_load_b128 v[8:11], v18
	ds_load_b128 v[12:15], v18 offset:16
	ds_load_b128 v[0:3], v18 offset:32
	;; [unrolled: 1-line block ×11, first 2 shown]
	s_cselect_b32 s4, s5, s4
	v_dual_mov_b32 v23, 0 :: v_dual_add_nc_u32 v140, -1, v16
	s_sub_i32 s5, s4, s3
	s_cmp_ge_u32 s4, s3
	s_mul_i32 s1, s1, s39
	s_cselect_b32 s3, s5, s4
	v_cmp_ge_i32_e32 vcc_lo, s102, v140
	s_xor_b32 s3, s3, s0
	v_lshrrev_b32_e32 v138, 2, v104
	s_sub_i32 s3, s3, s0
	s_mul_i32 s0, s0, s42
	s_mul_i32 s4, s3, s45
	s_mul_hi_u32 s5, s3, s44
	s_ashr_i32 s7, s3, 31
	s_add_i32 s4, s5, s4
	s_mul_i32 s7, s7, s44
	s_mul_i32 s3, s3, s44
	s_add_i32 s4, s4, s7
	s_add_u32 s17, s22, s3
	s_mul_i32 s3, s2, s43
	s_mul_hi_u32 s5, s2, s42
	s_addc_u32 s18, s23, s4
	s_add_i32 s3, s5, s3
	s_mul_i32 s2, s2, s42
	s_add_i32 s3, s3, s0
	s_add_u32 s0, s20, s2
	s_addc_u32 s2, s21, s3
	s_ashr_i32 s3, s1, 31
	s_add_u32 s7, s0, s1
	v_cmp_gt_u32_e64 s0, 2, v135
	v_lshrrev_b32_e32 v137, 3, v104
	v_and_or_b32 v136, v104, 8, v17
	v_lshlrev_b32_e32 v134, 1, v130
	v_mbcnt_lo_u32_b32 v132, -1, 0
	v_xor_b32_e32 v131, 1, v130
	s_addc_u32 s9, s2, s3
	s_waitcnt lgkmcnt(0)
	s_barrier
	buffer_gl0_inv
	s_cbranch_vccnz .LBB14_435
; %bb.429:
	v_xor_b32_e32 v47, 16, v132
	v_add_nc_u32_e32 v16, s6, v149
	v_dual_mov_b32 v72, 0 :: v_dual_add_nc_u32 v19, v138, v215
	v_dual_mov_b32 v141, 0xfeffffff :: v_dual_lshlrev_b32 v18, 2, v104
	s_delay_alu instid0(VALU_DEP_3) | instskip(SKIP_2) | instid1(VALU_DEP_3)
	v_lshl_add_u32 v21, v16, 1, v130
	v_lshl_add_u32 v22, v149, 2, v137
	s_lshl_b32 s1, s34, 3
	v_dual_mov_b32 v161, 0 :: v_dual_and_b32 v60, 60, v18
	s_delay_alu instid0(VALU_DEP_3)
	v_mul_hi_u32 v20, s12, v21
	v_and_b32_e32 v73, 12, v18
	v_and_b32_e32 v74, 28, v18
	v_mul_lo_u32 v18, s34, v22
	v_mul_u32_u24_e32 v43, 0xd0, v22
	v_mul_u32_u24_e32 v41, 0xd0, v19
	v_mul_lo_u32 v16, s34, v19
	v_lshlrev_b32_e32 v56, 2, v74
	v_add_nc_u32_e32 v20, v21, v20
	v_lshrrev_b32_e32 v40, 3, v136
	v_mul_lo_u32 v22, s10, v22
	s_lshl_b32 s2, s10, 3
	v_add3_u32 v143, 0, v43, v56
	v_lshrrev_b32_e32 v42, s13, v20
	v_mul_lo_u32 v20, s10, v19
	v_ashrrev_i32_e32 v19, 31, v18
	v_mad_u32_u24 v62, 0x50, v40, 0
	v_lshl_add_u32 v40, s34, 4, v16
	v_mul_lo_u32 v42, v42, s8
	v_mul_u32_u24_e32 v17, 0x50, v135
	v_lshlrev_b64 v[109:110], 2, v[18:19]
	v_and_b32_e32 v23, 16, v214
	v_add_nc_u32_e32 v44, s2, v22
	v_mul_i32_i24_e32 v76, 0xffffff34, v129
	v_add3_u32 v142, 0, v17, v60
	v_ashrrev_i32_e32 v17, 31, v16
	v_sub_nc_u32_e32 v21, v21, v42
	v_add_nc_u32_e32 v42, s1, v18
	v_add_nc_u32_e32 v146, 0x680, v143
	;; [unrolled: 1-line block ×3, first 2 shown]
	v_lshlrev_b64 v[105:106], 2, v[16:17]
	v_dual_mov_b32 v17, v72 :: v_dual_add_nc_u32 v148, 0x1380, v143
	v_add_nc_u32_e32 v56, s1, v42
	s_lshl_b32 s4, s102, 5
	v_mov_b32_e32 v19, v72
	v_mov_b32_e32 v18, v72
	;; [unrolled: 1-line block ×3, first 2 shown]
	v_add_nc_u32_e32 v58, s1, v56
	s_delay_alu instid0(VALU_DEP_1) | instskip(NEXT) | instid1(VALU_DEP_1)
	v_ashrrev_i32_e32 v59, 31, v58
	v_lshlrev_b64 v[115:116], 2, v[58:59]
	v_dual_mov_b32 v58, v72 :: v_dual_lshlrev_b32 v45, 2, v73
	v_dual_mov_b32 v59, v72 :: v_dual_lshlrev_b32 v158, 2, v73
	v_lshlrev_b32_e32 v159, 2, v74
	s_delay_alu instid0(VALU_DEP_3) | instskip(SKIP_2) | instid1(VALU_DEP_3)
	v_add3_u32 v57, 0, v41, v45
	v_mad_i64_i32 v[45:46], null, v21, s40, 0
	v_ashrrev_i32_e32 v41, 31, v40
	v_add_nc_u32_e32 v144, 0x80, v57
	v_add_nc_u32_e32 v145, 0xd80, v57
	v_ashrrev_i32_e32 v57, 31, v56
	s_delay_alu instid0(VALU_DEP_4)
	v_lshlrev_b64 v[107:108], 2, v[40:41]
	v_mov_b32_e32 v40, 0
	v_lshlrev_b64 v[45:46], 1, v[45:46]
	v_mov_b32_e32 v41, v72
	;; [unrolled: 2-line block ×3, first 2 shown]
	v_mad_u32_u24 v61, 0xd0, v23, 0
	v_lshlrev_b32_e32 v23, 1, v23
	v_add_co_u32 v21, vcc_lo, s17, v45
	v_add_co_ci_u32_e32 v45, vcc_lo, s18, v46, vcc_lo
	s_delay_alu instid0(VALU_DEP_3) | instskip(NEXT) | instid1(VALU_DEP_3)
	v_add3_u32 v154, v62, v23, v134
	v_add_co_u32 v150, vcc_lo, v21, v60
	s_delay_alu instid0(VALU_DEP_3)
	v_add_co_ci_u32_e32 v152, vcc_lo, 0, v45, vcc_lo
	v_cmp_gt_i32_e32 vcc_lo, 32, v47
	v_add_nc_u32_e32 v60, s2, v44
	v_ashrrev_i32_e32 v23, 31, v22
	v_lshl_add_u32 v46, s10, 4, v20
	v_add_nc_u32_e32 v153, v61, v133
	v_cndmask_b32_e32 v21, v132, v47, vcc_lo
	v_lshl_add_u32 v75, v129, 2, v61
	v_lshlrev_b64 v[121:122], 2, v[22:23]
	v_mov_b32_e32 v23, v72
	v_ashrrev_i32_e32 v47, 31, v46
	v_lshlrev_b32_e32 v155, 2, v21
	v_ashrrev_i32_e32 v21, 31, v20
	v_ashrrev_i32_e32 v45, 31, v44
	v_add_nc_u32_e32 v156, 64, v75
	v_lshlrev_b64 v[119:120], 2, v[46:47]
	v_mov_b32_e32 v46, v72
	v_lshlrev_b64 v[117:118], 2, v[20:21]
	v_dual_mov_b32 v21, v72 :: v_dual_add_nc_u32 v62, s2, v60
	v_ashrrev_i32_e32 v61, 31, v60
	v_lshlrev_b64 v[123:124], 2, v[44:45]
	v_add_nc_u32_e32 v157, 0x80, v75
	v_mov_b32_e32 v57, v72
	v_ashrrev_i32_e32 v63, 31, v62
	v_lshlrev_b64 v[125:126], 2, v[60:61]
	v_mov_b32_e32 v60, v72
	v_mov_b32_e32 v61, v72
	;; [unrolled: 1-line block ×3, first 2 shown]
	v_lshlrev_b64 v[127:128], 2, v[62:63]
	v_mov_b32_e32 v63, v72
	v_ashrrev_i32_e32 v43, 31, v42
	v_add_nc_u32_e32 v160, v153, v76
	v_mov_b32_e32 v62, v72
	v_mov_b32_e32 v45, v72
	;; [unrolled: 1-line block ×3, first 2 shown]
	v_lshlrev_b64 v[111:112], 2, v[42:43]
	v_mov_b32_e32 v42, v72
	v_mov_b32_e32 v43, v72
	;; [unrolled: 1-line block ×4, first 2 shown]
	s_ashr_i32 s5, s4, 31
	s_and_saveexec_b32 s1, s0
	s_cbranch_execz .LBB14_431
.LBB14_430:
	s_lshl_b64 s[2:3], s[4:5], 1
	s_delay_alu instid0(SALU_CYCLE_1)
	v_add_co_u32 v73, vcc_lo, v150, s2
	v_add_co_ci_u32_e32 v74, vcc_lo, s3, v152, vcc_lo
	global_load_b32 v73, v[73:74], off
	s_waitcnt vmcnt(0)
	ds_store_b32 v142, v73 offset:6656
.LBB14_431:                             ; =>This Inner Loop Header: Depth=1
	s_or_b32 exec_lo, exec_lo, s1
	s_mul_hi_i32 s3, s4, s34
	s_mul_i32 s2, s4, s34
	s_delay_alu instid0(SALU_CYCLE_1) | instskip(NEXT) | instid1(SALU_CYCLE_1)
	s_lshl_b64 s[2:3], s[2:3], 2
	s_add_u32 s1, s11, s2
	s_addc_u32 s2, s16, s3
	v_add_co_u32 v73, vcc_lo, s1, v105
	v_add_co_ci_u32_e32 v74, vcc_lo, s2, v106, vcc_lo
	v_add_co_u32 v75, vcc_lo, s1, v107
	v_add_co_ci_u32_e32 v76, vcc_lo, s2, v108, vcc_lo
	s_delay_alu instid0(VALU_DEP_4) | instskip(NEXT) | instid1(VALU_DEP_4)
	v_add_co_u32 v73, vcc_lo, v73, v158
	v_add_co_ci_u32_e32 v74, vcc_lo, 0, v74, vcc_lo
	s_delay_alu instid0(VALU_DEP_4) | instskip(NEXT) | instid1(VALU_DEP_4)
	v_add_co_u32 v75, vcc_lo, v75, v158
	v_add_co_ci_u32_e32 v76, vcc_lo, 0, v76, vcc_lo
	v_add_co_u32 v77, vcc_lo, s1, v109
	v_add_co_ci_u32_e32 v78, vcc_lo, s2, v110, vcc_lo
	v_add_co_u32 v79, vcc_lo, s1, v111
	v_add_co_ci_u32_e32 v80, vcc_lo, s2, v112, vcc_lo
	s_delay_alu instid0(VALU_DEP_4) | instskip(NEXT) | instid1(VALU_DEP_4)
	v_add_co_u32 v77, vcc_lo, v77, v159
	v_add_co_ci_u32_e32 v78, vcc_lo, 0, v78, vcc_lo
	s_delay_alu instid0(VALU_DEP_4) | instskip(NEXT) | instid1(VALU_DEP_4)
	v_add_co_u32 v92, vcc_lo, v79, v159
	v_add_co_ci_u32_e32 v93, vcc_lo, 0, v80, vcc_lo
	;; [unrolled: 10-line block ×3, first 2 shown]
	s_clause 0x5
	global_load_b128 v[80:83], v[73:74], off offset:128
	global_load_b128 v[84:87], v[75:76], off offset:128
	global_load_b128 v[88:91], v[77:78], off
	global_load_b128 v[92:95], v[92:93], off
	;; [unrolled: 1-line block ×4, first 2 shown]
	v_mov_b32_e32 v79, v72
	s_mul_hi_i32 s3, s4, s10
	s_mul_i32 s2, s4, s10
	v_mov_b32_e32 v73, v72
	v_mov_b32_e32 v74, v72
	;; [unrolled: 1-line block ×6, first 2 shown]
	s_lshl_b64 s[2:3], s[2:3], 2
	v_mov_b32_e32 v169, v79
	s_add_u32 s1, s7, s2
	v_dual_mov_b32 v167, v77 :: v_dual_mov_b32 v166, v76
	v_dual_mov_b32 v168, v78 :: v_dual_mov_b32 v165, v75
	;; [unrolled: 1-line block ×3, first 2 shown]
	v_mov_b32_e32 v162, v72
	s_addc_u32 s2, s9, s3
	v_add_co_u32 v73, vcc_lo, s1, v117
	v_add_co_ci_u32_e32 v74, vcc_lo, s2, v118, vcc_lo
	v_add_co_u32 v75, vcc_lo, s1, v119
	v_add_co_ci_u32_e32 v76, vcc_lo, s2, v120, vcc_lo
	;; [unrolled: 2-line block ×11, first 2 shown]
	v_cmp_eq_u32_e64 s1, 1, v131
	v_cmp_eq_u32_e64 s2, 0, v130
	;; [unrolled: 1-line block ×3, first 2 shown]
	s_add_i32 s102, s102, 1
	s_add_i32 s4, s4, 32
	s_waitcnt vmcnt(5)
	ds_store_b128 v144, v[80:83]
	s_waitcnt vmcnt(4)
	ds_store_b128 v145, v[84:87]
	;; [unrolled: 2-line block ×6, first 2 shown]
	v_add_co_u32 v101, vcc_lo, v171, v159
	s_waitcnt lgkmcnt(0)
	s_barrier
	buffer_gl0_inv
	ds_load_b128 v[73:76], v153
	ds_load_b128 v[77:80], v153 offset:16
	v_add_co_ci_u32_e32 v102, vcc_lo, 0, v172, vcc_lo
	ds_load_b128 v[81:84], v153 offset:32
	ds_load_b128 v[85:88], v153 offset:48
	;; [unrolled: 1-line block ×10, first 2 shown]
	s_waitcnt lgkmcnt(0)
	s_barrier
	buffer_gl0_inv
	s_clause 0x5
	global_load_b128 v[97:100], v[194:195], off offset:128
	global_load_b128 v[194:197], v[196:197], off offset:128
	global_load_b128 v[198:201], v[198:199], off
	global_load_b128 v[202:205], v[202:203], off
	;; [unrolled: 1-line block ×4, first 2 shown]
	v_wmma_f32_16x16x16_f16 v[162:169], v[73:80], v[8:15], v[162:169]
	ds_load_u16 v73, v154 offset:6656
	ds_load_u16 v74, v154 offset:6660
	;; [unrolled: 1-line block ×8, first 2 shown]
	s_waitcnt vmcnt(5)
	ds_store_b128 v144, v[97:100]
	s_waitcnt vmcnt(4)
	ds_store_b128 v145, v[194:197]
	;; [unrolled: 2-line block ×6, first 2 shown]
	v_wmma_f32_16x16x16_f16 v[162:169], v[81:88], v[0:7], v[162:169]
	s_waitcnt lgkmcnt(13)
	v_cvt_f32_f16_e32 v73, v73
	s_waitcnt lgkmcnt(12)
	v_cvt_f32_f16_e32 v74, v74
	;; [unrolled: 2-line block ×4, first 2 shown]
	v_wmma_f32_16x16x16_f16 v[162:169], v[89:96], v[24:31], v[162:169]
	s_waitcnt lgkmcnt(9)
	v_cvt_f32_f16_e32 v77, v77
	s_waitcnt lgkmcnt(8)
	v_cvt_f32_f16_e32 v78, v78
	;; [unrolled: 2-line block ×4, first 2 shown]
	v_wmma_f32_16x16x16_f16 v[162:169], v[170:177], v[32:39], v[162:169]
	s_waitcnt lgkmcnt(0)
	s_barrier
	buffer_gl0_inv
	v_wmma_f32_16x16x16_f16 v[162:169], v[178:185], v[48:55], v[162:169]
	s_delay_alu instid0(VALU_DEP_1) | instskip(NEXT) | instid1(VALU_DEP_1)
	v_wmma_f32_16x16x16_f16 v[162:169], v[186:193], v[64:71], v[162:169]
	v_dual_add_f32 v73, v162, v73 :: v_dual_add_f32 v74, v163, v74
	s_delay_alu instid0(VALU_DEP_2) | instskip(NEXT) | instid1(VALU_DEP_3)
	v_dual_add_f32 v76, v165, v76 :: v_dual_add_f32 v75, v164, v75
	v_add_f32_e32 v77, v166, v77
	s_delay_alu instid0(VALU_DEP_3) | instskip(NEXT) | instid1(VALU_DEP_3)
	v_dual_add_f32 v81, 0x40051340, v73 :: v_dual_add_f32 v82, 0x40051340, v74
	v_add_f32_e32 v84, 0x40051340, v76
	s_delay_alu instid0(VALU_DEP_4) | instskip(SKIP_1) | instid1(VALU_DEP_4)
	v_dual_add_f32 v78, v167, v78 :: v_dual_add_f32 v83, 0x40051340, v75
	v_add_f32_e32 v80, v169, v80
	v_max3_f32 v81, v141, v81, v82
	v_dual_add_f32 v79, v168, v79 :: v_dual_add_f32 v82, 0x40051340, v77
	s_delay_alu instid0(VALU_DEP_4) | instskip(NEXT) | instid1(VALU_DEP_3)
	v_add_f32_e32 v85, 0x40051340, v78
	v_max3_f32 v81, v81, v83, v84
	s_delay_alu instid0(VALU_DEP_3) | instskip(NEXT) | instid1(VALU_DEP_2)
	v_dual_add_f32 v84, 0x40051340, v80 :: v_dual_add_f32 v83, 0x40051340, v79
	v_max3_f32 v81, v81, v82, v85
	s_delay_alu instid0(VALU_DEP_1) | instskip(SKIP_3) | instid1(VALU_DEP_1)
	v_max3_f32 v81, v81, v83, v84
	ds_bpermute_b32 v82, v155, v81
	s_waitcnt lgkmcnt(0)
	v_max_f32_e32 v82, v82, v82
	v_dual_max_f32 v139, v81, v82 :: v_dual_add_nc_u32 v88, 0x400, v160
	v_add_nc_u32_e32 v89, 0x800, v160
	v_add_nc_u32_e32 v90, 0xa00, v160
	;; [unrolled: 1-line block ×3, first 2 shown]
	s_delay_alu instid0(VALU_DEP_4) | instskip(SKIP_4) | instid1(VALU_DEP_3)
	v_dual_sub_f32 v78, v78, v139 :: v_dual_add_nc_u32 v81, 0x300, v156
	v_sub_f32_e32 v73, v73, v139
	v_sub_f32_e32 v76, v76, v139
	v_dual_sub_f32 v75, v75, v139 :: v_dual_add_nc_u32 v82, 0xc00, v160
	v_sub_f32_e32 v74, v74, v139
	v_dual_sub_f32 v79, v79, v139 :: v_dual_mul_f32 v92, 0x3fb8aa3b, v76
	v_dual_sub_f32 v84, v141, v139 :: v_dual_mul_f32 v85, 0x3fb8aa3b, v73
	s_delay_alu instid0(VALU_DEP_3) | instskip(SKIP_1) | instid1(VALU_DEP_3)
	v_dual_sub_f32 v77, v77, v139 :: v_dual_mul_f32 v86, 0x3fb8aa3b, v74
	v_dual_mul_f32 v87, 0x3fb8aa3b, v75 :: v_dual_mul_f32 v94, 0x3fb8aa3b, v78
	v_fma_f32 v102, 0x3fb8aa3b, v73, -v85
	v_rndne_f32_e32 v103, v85
	v_rndne_f32_e32 v165, v92
	v_mul_f32_e32 v95, 0x3fb8aa3b, v79
	v_dual_sub_f32 v80, v80, v139 :: v_dual_add_nc_u32 v91, 0x300, v157
	v_fma_f32 v141, 0x3fb8aa3b, v74, -v86
	v_rndne_f32_e32 v151, v86
	v_mul_f32_e32 v101, 0x3fb8aa3b, v84
	v_fma_f32 v164, 0x3fb8aa3b, v76, -v92
	v_fma_f32 v168, 0x3fb8aa3b, v78, -v94
	v_dual_fmac_f32 v102, 0x32a5705f, v73 :: v_dual_sub_f32 v85, v85, v103
	v_sub_f32_e32 v92, v92, v165
	v_fma_f32 v170, 0x3fb8aa3b, v79, -v95
	v_rndne_f32_e32 v171, v95
	v_dual_mul_f32 v93, 0x3fb8aa3b, v77 :: v_dual_mul_f32 v96, 0x3fb8aa3b, v80
	v_fma_f32 v162, 0x3fb8aa3b, v75, -v87
	v_rndne_f32_e32 v163, v87
	v_rndne_f32_e32 v169, v94
	v_dual_fmac_f32 v141, 0x32a5705f, v74 :: v_dual_sub_f32 v86, v86, v151
	s_delay_alu instid0(VALU_DEP_4)
	v_fmac_f32_e32 v162, 0x32a5705f, v75
	v_fma_f32 v174, 0x3fb8aa3b, v84, -v101
	v_rndne_f32_e32 v175, v101
	v_dual_fmac_f32 v168, 0x32a5705f, v78 :: v_dual_sub_f32 v95, v95, v171
	v_dual_fmac_f32 v170, 0x32a5705f, v79 :: v_dual_add_f32 v85, v85, v102
	v_fma_f32 v172, 0x3fb8aa3b, v80, -v96
	v_dual_sub_f32 v87, v87, v163 :: v_dual_fmac_f32 v164, 0x32a5705f, v76
	v_dual_sub_f32 v94, v94, v169 :: v_dual_sub_f32 v101, v101, v175
	s_delay_alu instid0(VALU_DEP_4) | instskip(SKIP_3) | instid1(VALU_DEP_3)
	v_dual_fmac_f32 v174, 0x32a5705f, v84 :: v_dual_add_f32 v95, v95, v170
	v_add_f32_e32 v86, v86, v141
	v_exp_f32_e32 v85, v85
	v_fma_f32 v166, 0x3fb8aa3b, v77, -v93
	v_add_f32_e32 v101, v101, v174
	v_rndne_f32_e32 v167, v93
	v_cvt_i32_f32_e32 v103, v103
	v_dual_fmac_f32 v172, 0x32a5705f, v80 :: v_dual_add_f32 v87, v87, v162
	v_exp_f32_e32 v86, v86
	v_rndne_f32_e32 v173, v96
	v_cvt_i32_f32_e32 v151, v151
	v_dual_fmac_f32 v166, 0x32a5705f, v77 :: v_dual_sub_f32 v93, v93, v167
	v_exp_f32_e32 v87, v87
	v_exp_f32_e32 v95, v95
	v_ldexp_f32 v85, v85, v103
	v_cmp_ngt_f32_e32 vcc_lo, 0xc2ce8ed0, v73
	v_add_f32_e32 v92, v92, v164
	v_cvt_i32_f32_e32 v163, v163
	v_cvt_i32_f32_e32 v171, v171
	v_dual_sub_f32 v96, v96, v173 :: v_dual_add_f32 v93, v93, v166
	v_ldexp_f32 v86, v86, v151
	v_cndmask_b32_e32 v85, 0, v85, vcc_lo
	v_exp_f32_e32 v92, v92
	v_cmp_ngt_f32_e32 vcc_lo, 0xc2ce8ed0, v74
	v_cvt_i32_f32_e32 v165, v165
	v_exp_f32_e32 v93, v93
	v_exp_f32_e32 v101, v101
	v_ldexp_f32 v87, v87, v163
	v_ldexp_f32 v95, v95, v171
	v_cndmask_b32_e32 v86, 0, v86, vcc_lo
	v_cmp_ngt_f32_e32 vcc_lo, 0xc2ce8ed0, v75
	v_add_f32_e32 v94, v94, v168
	v_cvt_i32_f32_e32 v167, v167
	v_cvt_i32_f32_e32 v102, v175
	v_ldexp_f32 v92, v92, v165
	v_cndmask_b32_e32 v87, 0, v87, vcc_lo
	v_exp_f32_e32 v94, v94
	v_cmp_ngt_f32_e32 vcc_lo, 0xc2ce8ed0, v76
	v_cvt_i32_f32_e32 v169, v169
	v_ldexp_f32 v93, v93, v167
	v_ldexp_f32 v101, v101, v102
	v_cvt_i32_f32_e32 v173, v173
	v_cndmask_b32_e32 v92, 0, v92, vcc_lo
	v_cmp_ngt_f32_e32 vcc_lo, 0xc2ce8ed0, v77
	v_add_f32_e32 v96, v96, v172
	s_delay_alu instid0(TRANS32_DEP_1) | instskip(SKIP_1) | instid1(VALU_DEP_3)
	v_ldexp_f32 v94, v94, v169
	v_cndmask_b32_e32 v93, 0, v93, vcc_lo
	v_exp_f32_e32 v96, v96
	v_cmp_ngt_f32_e32 vcc_lo, 0xc2ce8ed0, v78
	s_delay_alu instid0(VALU_DEP_3)
	v_cndmask_b32_e32 v94, 0, v94, vcc_lo
	v_cmp_ngt_f32_e32 vcc_lo, 0xc2ce8ed0, v79
	s_waitcnt_depctr 0xfff
	v_ldexp_f32 v96, v96, v173
	v_cndmask_b32_e32 v95, 0, v95, vcc_lo
	v_cmp_ngt_f32_e32 vcc_lo, 0xc2ce8ed0, v80
	s_delay_alu instid0(VALU_DEP_3)
	v_cndmask_b32_e32 v96, 0, v96, vcc_lo
	v_cmp_ngt_f32_e32 vcc_lo, 0xc2ce8ed0, v84
	v_cndmask_b32_e32 v101, 0, v101, vcc_lo
	v_cmp_nlt_f32_e32 vcc_lo, 0x42b17218, v73
	v_cndmask_b32_e32 v73, 0x7f800000, v85, vcc_lo
	v_cmp_nlt_f32_e32 vcc_lo, 0x42b17218, v74
	ds_bpermute_b32 v85, v155, v73
	v_cndmask_b32_e32 v74, 0x7f800000, v86, vcc_lo
	v_cmp_nlt_f32_e32 vcc_lo, 0x42b17218, v75
	v_cndmask_b32_e32 v75, 0x7f800000, v87, vcc_lo
	v_cmp_nlt_f32_e32 vcc_lo, 0x42b17218, v76
	s_delay_alu instid0(VALU_DEP_4) | instskip(SKIP_1) | instid1(VALU_DEP_2)
	v_dual_add_f32 v87, v73, v74 :: v_dual_cndmask_b32 v76, 0x7f800000, v92
	v_cmp_nlt_f32_e32 vcc_lo, 0x42b17218, v77
	v_add_f32_e32 v87, v75, v87
	v_cndmask_b32_e32 v77, 0x7f800000, v93, vcc_lo
	v_cmp_nlt_f32_e32 vcc_lo, 0x42b17218, v78
	s_delay_alu instid0(VALU_DEP_3)
	v_add_f32_e32 v87, v76, v87
	ds_bpermute_b32 v93, v155, v77
	v_cndmask_b32_e32 v78, 0x7f800000, v94, vcc_lo
	v_cmp_nlt_f32_e32 vcc_lo, 0x42b17218, v79
	v_add_f32_e32 v87, v77, v87
	ds_bpermute_b32 v92, v155, v76
	v_cndmask_b32_e32 v79, 0x7f800000, v95, vcc_lo
	v_cmp_nlt_f32_e32 vcc_lo, 0x42b17218, v84
	v_dual_add_f32 v87, v78, v87 :: v_dual_cndmask_b32 v86, 0x7f800000, v101
	v_cmp_nlt_f32_e32 vcc_lo, 0x42b17218, v80
	s_delay_alu instid0(VALU_DEP_2)
	v_add_f32_e32 v87, v79, v87
	ds_bpermute_b32 v95, v155, v78
	v_cndmask_b32_e32 v80, 0x7f800000, v96, vcc_lo
	v_cmp_le_f32_e32 vcc_lo, 0xc1a00000, v84
	ds_bpermute_b32 v84, v155, v74
	ds_bpermute_b32 v96, v155, v79
	v_add_f32_e32 v141, v80, v87
	v_cndmask_b32_e32 v151, 0, v86, vcc_lo
	v_cmp_eq_u32_e32 vcc_lo, 0, v131
	ds_bpermute_b32 v86, v155, v75
	s_waitcnt lgkmcnt(6)
	v_cndmask_b32_e32 v102, v73, v85, vcc_lo
	v_cndmask_b32_e64 v73, v73, v85, s1
	v_fmac_f32_e32 v141, v161, v151
	ds_bpermute_b32 v101, v155, v80
	v_cvt_f16_f32_e64 v94, v151
	v_cndmask_b32_e64 v85, v102, v74, s2
	v_cndmask_b32_e64 v74, v73, v74, s3
	v_cvt_f16_f32_e32 v73, v73
	s_delay_alu instid0(VALU_DEP_4)
	v_pk_mul_f16 v56, v94, v56 op_sel_hi:[0,1]
	s_waitcnt lgkmcnt(3)
	v_cndmask_b32_e32 v85, v85, v84, vcc_lo
	v_cndmask_b32_e64 v74, v74, v84, s1
	v_pk_mul_f16 v57, v94, v57 op_sel_hi:[0,1]
	v_pk_mul_f16 v58, v94, v58 op_sel_hi:[0,1]
	;; [unrolled: 1-line block ×3, first 2 shown]
	v_cndmask_b32_e64 v84, v85, v75, s2
	v_cndmask_b32_e64 v75, v74, v75, s3
	v_cvt_f16_f32_e32 v74, v74
	v_pk_mul_f16 v60, v94, v60 op_sel_hi:[0,1]
	v_pk_mul_f16 v61, v94, v61 op_sel_hi:[0,1]
	s_waitcnt lgkmcnt(1)
	v_cndmask_b32_e32 v84, v84, v86, vcc_lo
	v_cndmask_b32_e64 v75, v75, v86, s1
	v_cvt_f16_f32_e32 v85, v85
	v_pk_mul_f16 v62, v94, v62 op_sel_hi:[0,1]
	v_pk_mul_f16 v63, v94, v63 op_sel_hi:[0,1]
	v_cndmask_b32_e64 v86, v84, v76, s2
	v_cndmask_b32_e64 v76, v75, v76, s3
	v_cvt_f16_f32_e32 v84, v84
	v_cvt_f16_f32_e32 v75, v75
	v_pack_b32_f16 v74, v85, v74
	v_cndmask_b32_e32 v86, v86, v92, vcc_lo
	v_cndmask_b32_e64 v76, v76, v92, s1
	v_pk_mul_f16 v40, v94, v40 op_sel_hi:[0,1]
	v_pack_b32_f16 v75, v84, v75
	v_pk_mul_f16 v41, v94, v41 op_sel_hi:[0,1]
	v_cndmask_b32_e64 v92, v86, v77, s2
	v_cndmask_b32_e64 v77, v76, v77, s3
	v_cvt_f16_f32_e32 v84, v86
	v_cvt_f16_f32_e32 v76, v76
	v_pk_mul_f16 v42, v94, v42 op_sel_hi:[0,1]
	v_cndmask_b32_e32 v92, v92, v93, vcc_lo
	v_cndmask_b32_e64 v77, v77, v93, s1
	v_pk_mul_f16 v43, v94, v43 op_sel_hi:[0,1]
	v_pk_mul_f16 v44, v94, v44 op_sel_hi:[0,1]
	;; [unrolled: 1-line block ×3, first 2 shown]
	v_cndmask_b32_e64 v93, v92, v78, s2
	v_cndmask_b32_e64 v78, v77, v78, s3
	v_pk_mul_f16 v46, v94, v46 op_sel_hi:[0,1]
	v_pk_mul_f16 v47, v94, v47 op_sel_hi:[0,1]
	;; [unrolled: 1-line block ×3, first 2 shown]
	v_cndmask_b32_e32 v87, v93, v95, vcc_lo
	v_cndmask_b32_e64 v78, v78, v95, s1
	v_pk_mul_f16 v17, v94, v17 op_sel_hi:[0,1]
	v_pk_mul_f16 v18, v94, v18 op_sel_hi:[0,1]
	;; [unrolled: 1-line block ×3, first 2 shown]
	v_cndmask_b32_e64 v93, v87, v79, s2
	v_cndmask_b32_e64 v79, v78, v79, s3
	v_cvt_f16_f32_e32 v87, v87
	v_cvt_f16_f32_e32 v78, v78
	v_pk_mul_f16 v20, v94, v20 op_sel_hi:[0,1]
	v_cndmask_b32_e32 v85, v93, v96, vcc_lo
	v_cndmask_b32_e64 v79, v79, v96, s1
	v_pk_mul_f16 v21, v94, v21 op_sel_hi:[0,1]
	v_pk_mul_f16 v22, v94, v22 op_sel_hi:[0,1]
	;; [unrolled: 1-line block ×3, first 2 shown]
	v_cndmask_b32_e64 v86, v85, v80, s2
	v_cndmask_b32_e64 v80, v79, v80, s3
	v_cvt_f16_f32_e32 v79, v79
	v_cvt_f16_f32_e32 v94, v102
	v_pack_b32_f16 v76, v84, v76
	s_waitcnt lgkmcnt(0)
	v_cndmask_b32_e32 v86, v86, v101, vcc_lo
	v_cndmask_b32_e64 v80, v80, v101, s1
	v_cvt_f16_f32_e32 v85, v85
	v_pack_b32_f16 v78, v87, v78
	v_cvt_f16_f32_e32 v92, v92
	v_cvt_f16_f32_e32 v86, v86
	;; [unrolled: 1-line block ×3, first 2 shown]
	v_pack_b32_f16 v79, v85, v79
	v_cvt_f16_f32_e32 v77, v77
	v_pack_b32_f16 v73, v94, v73
	v_cmp_lt_i32_e32 vcc_lo, s102, v140
	v_pack_b32_f16 v80, v86, v80
	ds_load_2addr_b32 v[96:97], v160 offset1:16
	ds_load_2addr_b32 v[98:99], v160 offset0:32 offset1:52
	ds_load_2addr_b32 v[100:101], v160 offset0:104 offset1:120
	;; [unrolled: 1-line block ×22, first 2 shown]
	ds_load_b32 v169, v156 offset:2496
	ds_load_b32 v203, v157 offset:2496
	v_pack_b32_f16 v77, v92, v77
	s_waitcnt lgkmcnt(23)
	v_perm_b32 v81, v99, v96, 0x5040100
	v_perm_b32 v89, v99, v96, 0x7060302
	s_waitcnt lgkmcnt(21)
	v_perm_b32 v82, v103, v100, 0x5040100
	s_waitcnt lgkmcnt(20)
	v_perm_b32 v83, v85, v84, 0x5040100
	v_perm_b32 v91, v85, v84, 0x7060302
	s_waitcnt lgkmcnt(18)
	v_perm_b32 v84, v183, v165, 0x5040100
	;; [unrolled: 3-line block ×13, first 2 shown]
	v_perm_b32 v176, v197, v169, 0x7060302
	v_perm_b32 v169, v199, v177, 0x5040100
	;; [unrolled: 1-line block ×12, first 2 shown]
	s_waitcnt lgkmcnt(0)
	v_perm_b32 v184, v198, v203, 0x5040100
	v_perm_b32 v185, v200, v193, 0x5040100
	;; [unrolled: 1-line block ×8, first 2 shown]
	v_wmma_f16_16x16x16_f16 v[56:63], v[81:88], v[73:80], v[56:63]
	v_wmma_f16_16x16x16_f16 v[40:47], v[162:169], v[73:80], v[40:47]
	;; [unrolled: 1-line block ×3, first 2 shown]
	s_and_b32 vcc_lo, exec_lo, vcc_lo
	s_delay_alu instid0(VALU_DEP_3) | instskip(NEXT) | instid1(VALU_DEP_3)
	v_wmma_f16_16x16x16_f16 v[56:63], v[89:96], v[73:80], v[56:63] op_sel:[0,0,1]
	v_wmma_f16_16x16x16_f16 v[40:47], v[170:177], v[73:80], v[40:47] op_sel:[0,0,1]
	s_delay_alu instid0(VALU_DEP_3)
	v_wmma_f16_16x16x16_f16 v[16:23], v[186:193], v[73:80], v[16:23] op_sel:[0,0,1]
	s_barrier
	buffer_gl0_inv
	s_cbranch_vccz .LBB14_436
; %bb.432:                              ;   in Loop: Header=BB14_431 Depth=1
	v_mov_b32_e32 v161, v141
	v_mov_b32_e32 v141, v139
	s_ashr_i32 s5, s4, 31
	s_and_saveexec_b32 s1, s0
	s_cbranch_execnz .LBB14_430
	s_branch .LBB14_431
.LBB14_433:
                                        ; implicit-def: $sgpr50_sgpr51
	s_load_b64 s[48:49], s[0:1], 0x74
	v_cvt_f32_u32_e32 v2, s14
	s_branch .LBB14_2
.LBB14_434:
                                        ; implicit-def: $sgpr54_sgpr55
	s_load_b64 s[12:13], s[0:1], 0x5c
	s_branch .LBB14_5
.LBB14_435:
	v_dual_mov_b32 v141, 0 :: v_dual_mov_b32 v22, 0
	v_dual_mov_b32 v139, 0xfeffffff :: v_dual_mov_b32 v20, 0
	v_dual_mov_b32 v21, 0 :: v_dual_mov_b32 v18, 0
	v_dual_mov_b32 v19, 0 :: v_dual_mov_b32 v16, 0
	v_dual_mov_b32 v17, 0 :: v_dual_mov_b32 v46, 0
	v_dual_mov_b32 v47, 0 :: v_dual_mov_b32 v44, 0
	v_dual_mov_b32 v45, 0 :: v_dual_mov_b32 v42, 0
	v_dual_mov_b32 v43, 0 :: v_dual_mov_b32 v40, 0
	v_dual_mov_b32 v41, 0 :: v_dual_mov_b32 v62, 0
	v_dual_mov_b32 v63, 0 :: v_dual_mov_b32 v60, 0
	v_dual_mov_b32 v61, 0 :: v_dual_mov_b32 v58, 0
	v_dual_mov_b32 v59, 0 :: v_dual_mov_b32 v56, 0
	v_mov_b32_e32 v57, 0
.LBB14_436:
	s_lshl_b32 s0, s102, 5
	s_mov_b32 s2, exec_lo
	s_ashr_i32 s1, s0, 31
	v_cmpx_gt_u32_e32 2, v135
	s_cbranch_execz .LBB14_438
; %bb.437:
	v_add_nc_u32_e32 v72, s6, v149
	s_lshl_b64 s[4:5], s[0:1], 1
	s_delay_alu instid0(SALU_CYCLE_1) | instskip(SKIP_1) | instid1(VALU_DEP_1)
	s_add_u32 s1, s17, s4
	s_addc_u32 s3, s18, s5
	v_lshl_or_b32 v72, v72, 1, v130
	s_delay_alu instid0(VALU_DEP_1) | instskip(NEXT) | instid1(VALU_DEP_1)
	v_mul_hi_u32 v73, s12, v72
	v_add_nc_u32_e32 v73, v72, v73
	s_delay_alu instid0(VALU_DEP_1) | instskip(NEXT) | instid1(VALU_DEP_1)
	v_lshrrev_b32_e32 v73, s13, v73
	v_mul_lo_u32 v73, v73, s8
	s_delay_alu instid0(VALU_DEP_1) | instskip(NEXT) | instid1(VALU_DEP_1)
	v_sub_nc_u32_e32 v74, v72, v73
	v_mad_i64_i32 v[72:73], null, v74, s40, 0
	v_lshlrev_b32_e32 v74, 2, v104
	s_delay_alu instid0(VALU_DEP_1) | instskip(NEXT) | instid1(VALU_DEP_3)
	v_and_b32_e32 v74, 60, v74
	v_lshlrev_b64 v[72:73], 1, v[72:73]
	s_delay_alu instid0(VALU_DEP_1) | instskip(NEXT) | instid1(VALU_DEP_2)
	v_add_co_u32 v72, vcc_lo, s1, v72
	v_add_co_ci_u32_e32 v73, vcc_lo, s3, v73, vcc_lo
	s_delay_alu instid0(VALU_DEP_2) | instskip(NEXT) | instid1(VALU_DEP_2)
	v_add_co_u32 v72, vcc_lo, v72, v74
	v_add_co_ci_u32_e32 v73, vcc_lo, 0, v73, vcc_lo
	global_load_b32 v72, v[72:73], off
	v_mul_u32_u24_e32 v73, 0x50, v135
	s_delay_alu instid0(VALU_DEP_1)
	v_add3_u32 v73, 0, v73, v74
	s_waitcnt vmcnt(0)
	ds_store_b32 v73, v72 offset:6656
.LBB14_438:
	s_or_b32 exec_lo, exec_lo, s2
	v_add_nc_u32_e32 v107, v138, v215
	v_lshl_add_u32 v108, v149, 2, v137
	s_mul_hi_i32 s3, s0, s34
	s_mul_i32 s2, s0, s34
	v_lshlrev_b32_e32 v79, 4, v104
	v_mul_lo_u32 v72, s34, v107
	v_mul_lo_u32 v74, s34, v108
	s_lshl_b64 s[2:3], s[2:3], 2
	v_lshrrev_b32_e32 v110, 3, v136
	s_add_u32 s1, s11, s2
	s_addc_u32 s2, s16, s3
	v_and_b32_e32 v106, 48, v79
	s_lshl_b32 s3, s34, 3
	v_lshl_add_u32 v76, s34, 4, v72
	v_ashrrev_i32_e32 v73, 31, v72
	v_ashrrev_i32_e32 v75, 31, v74
	v_add_nc_u32_e32 v78, s3, v74
	v_and_b32_e32 v105, 0x70, v79
	v_ashrrev_i32_e32 v77, 31, v76
	v_lshlrev_b64 v[72:73], 2, v[72:73]
	v_lshlrev_b64 v[74:75], 2, v[74:75]
	v_ashrrev_i32_e32 v79, 31, v78
	v_mad_u32_u24 v110, 0x50, v110, 0
	v_lshlrev_b64 v[76:77], 2, v[76:77]
	v_mul_u32_u24_e32 v113, 0xd0, v108
	v_add_co_u32 v72, vcc_lo, s1, v72
	v_add_co_ci_u32_e32 v73, vcc_lo, s2, v73, vcc_lo
	s_delay_alu instid0(VALU_DEP_4) | instskip(SKIP_1) | instid1(VALU_DEP_4)
	v_add_co_u32 v76, vcc_lo, s1, v76
	v_add_co_ci_u32_e32 v77, vcc_lo, s2, v77, vcc_lo
	v_add_co_u32 v72, vcc_lo, v72, v106
	s_delay_alu instid0(VALU_DEP_4) | instskip(NEXT) | instid1(VALU_DEP_4)
	v_add_co_ci_u32_e32 v73, vcc_lo, 0, v73, vcc_lo
	v_add_co_u32 v76, vcc_lo, v76, v106
	s_delay_alu instid0(VALU_DEP_4) | instskip(SKIP_4) | instid1(VALU_DEP_4)
	v_add_co_ci_u32_e32 v77, vcc_lo, 0, v77, vcc_lo
	v_add_co_u32 v80, vcc_lo, s1, v74
	v_add_co_ci_u32_e32 v81, vcc_lo, s2, v75, vcc_lo
	v_lshlrev_b64 v[74:75], 2, v[78:79]
	v_add_nc_u32_e32 v78, s3, v78
	v_add_co_u32 v88, vcc_lo, v80, v105
	s_delay_alu instid0(VALU_DEP_4) | instskip(NEXT) | instid1(VALU_DEP_3)
	v_add_co_ci_u32_e32 v89, vcc_lo, 0, v81, vcc_lo
	v_add_nc_u32_e32 v80, s3, v78
	v_ashrrev_i32_e32 v79, 31, v78
	v_add_co_u32 v82, vcc_lo, s1, v74
	v_add_co_ci_u32_e32 v83, vcc_lo, s2, v75, vcc_lo
	s_delay_alu instid0(VALU_DEP_4) | instskip(NEXT) | instid1(VALU_DEP_4)
	v_ashrrev_i32_e32 v81, 31, v80
	v_lshlrev_b64 v[74:75], 2, v[78:79]
	s_delay_alu instid0(VALU_DEP_4) | instskip(NEXT) | instid1(VALU_DEP_4)
	v_add_co_u32 v78, vcc_lo, v82, v105
	v_add_co_ci_u32_e32 v79, vcc_lo, 0, v83, vcc_lo
	s_delay_alu instid0(VALU_DEP_4) | instskip(NEXT) | instid1(VALU_DEP_4)
	v_lshlrev_b64 v[80:81], 2, v[80:81]
	v_add_co_u32 v74, vcc_lo, s1, v74
	v_add_co_ci_u32_e32 v75, vcc_lo, s2, v75, vcc_lo
	s_delay_alu instid0(VALU_DEP_3) | instskip(NEXT) | instid1(VALU_DEP_4)
	v_add_co_u32 v80, vcc_lo, s1, v80
	v_add_co_ci_u32_e32 v81, vcc_lo, s2, v81, vcc_lo
	s_delay_alu instid0(VALU_DEP_4) | instskip(NEXT) | instid1(VALU_DEP_4)
	v_add_co_u32 v74, vcc_lo, v74, v105
	v_add_co_ci_u32_e32 v75, vcc_lo, 0, v75, vcc_lo
	s_delay_alu instid0(VALU_DEP_4) | instskip(NEXT) | instid1(VALU_DEP_4)
	v_add_co_u32 v100, vcc_lo, v80, v105
	v_add_co_ci_u32_e32 v101, vcc_lo, 0, v81, vcc_lo
	s_clause 0x5
	global_load_b128 v[80:83], v[72:73], off offset:128
	global_load_b128 v[84:87], v[76:77], off offset:128
	global_load_b128 v[88:91], v[88:89], off
	global_load_b128 v[92:95], v[78:79], off
	;; [unrolled: 1-line block ×4, first 2 shown]
	v_dual_mov_b32 v72, 0 :: v_dual_and_b32 v109, 16, v214
	v_mul_lo_u32 v111, s10, v107
	v_mul_u32_u24_e32 v112, 0xd0, v107
	s_mul_hi_i32 s1, s0, s10
	s_delay_alu instid0(VALU_DEP_3)
	v_mov_b32_e32 v78, v72
	v_mad_u32_u24 v140, 0xd0, v109, 0
	v_lshlrev_b32_e32 v114, 1, v109
	v_mul_lo_u32 v109, s10, v108
	v_mov_b32_e32 v73, v72
	v_add3_u32 v108, 0, v112, v106
	v_ashrrev_i32_e32 v112, 31, v111
	s_mul_i32 s0, s0, s10
	v_add3_u32 v148, v110, v114, v134
	s_lshl_b64 s[0:1], s[0:1], 2
	v_lshl_add_u32 v115, s10, 4, v111
	v_ashrrev_i32_e32 v110, 31, v109
	s_add_u32 s0, s7, s0
	v_lshlrev_b64 v[111:112], 2, v[111:112]
	s_addc_u32 s1, s9, s1
	s_lshl_b32 s2, s10, 3
	v_mov_b32_e32 v76, v72
	v_add3_u32 v107, 0, v113, v105
	v_add_nc_u32_e32 v113, s2, v109
	v_lshlrev_b64 v[109:110], 2, v[109:110]
	v_ashrrev_i32_e32 v116, 31, v115
	v_add_co_u32 v111, vcc_lo, s0, v111
	v_add_co_ci_u32_e32 v112, vcc_lo, s1, v112, vcc_lo
	s_delay_alu instid0(VALU_DEP_3)
	v_lshlrev_b64 v[115:116], 2, v[115:116]
	v_add_co_u32 v121, vcc_lo, s0, v109
	v_ashrrev_i32_e32 v114, 31, v113
	v_add_nc_u32_e32 v117, s2, v113
	v_add_co_ci_u32_e32 v122, vcc_lo, s1, v110, vcc_lo
	v_add_co_u32 v125, vcc_lo, v111, v106
	v_add_co_ci_u32_e32 v126, vcc_lo, 0, v112, vcc_lo
	v_lshlrev_b64 v[113:114], 2, v[113:114]
	v_add_co_u32 v115, vcc_lo, s0, v115
	v_ashrrev_i32_e32 v118, 31, v117
	v_add_co_ci_u32_e32 v116, vcc_lo, s1, v116, vcc_lo
	v_add_co_u32 v137, vcc_lo, v121, v105
	v_add_nc_u32_e32 v119, s2, v117
	v_add_co_ci_u32_e32 v138, vcc_lo, 0, v122, vcc_lo
	v_lshlrev_b64 v[109:110], 2, v[117:118]
	v_add_co_u32 v113, vcc_lo, s0, v113
	v_add_co_ci_u32_e32 v114, vcc_lo, s1, v114, vcc_lo
	v_add_nc_u32_e32 v127, v140, v133
	v_add_co_u32 v133, vcc_lo, v115, v106
	v_ashrrev_i32_e32 v120, 31, v119
	v_add_co_ci_u32_e32 v134, vcc_lo, 0, v116, vcc_lo
	v_add_co_u32 v106, vcc_lo, s0, v109
	v_add_co_ci_u32_e32 v109, vcc_lo, s1, v110, vcc_lo
	s_delay_alu instid0(VALU_DEP_4)
	v_lshlrev_b64 v[111:112], 2, v[119:120]
	v_add_co_u32 v146, vcc_lo, v113, v105
	v_add_co_ci_u32_e32 v147, vcc_lo, 0, v114, vcc_lo
	v_add_co_u32 v162, vcc_lo, v106, v105
	v_add_co_ci_u32_e32 v163, vcc_lo, 0, v109, vcc_lo
	;; [unrolled: 2-line block ×3, first 2 shown]
	v_mov_b32_e32 v74, v72
	s_delay_alu instid0(VALU_DEP_3) | instskip(NEXT) | instid1(VALU_DEP_3)
	v_add_co_u32 v105, vcc_lo, v106, v105
	v_add_co_ci_u32_e32 v106, vcc_lo, 0, v109, vcc_lo
	v_mov_b32_e32 v75, v72
	v_mov_b32_e32 v77, v72
	;; [unrolled: 1-line block ×3, first 2 shown]
	v_cmp_eq_u32_e64 s0, 1, v131
	v_cmp_eq_u32_e64 s1, 0, v130
	;; [unrolled: 1-line block ×3, first 2 shown]
	s_waitcnt vmcnt(5)
	ds_store_b128 v108, v[80:83] offset:128
	s_waitcnt vmcnt(4)
	ds_store_b128 v108, v[84:87] offset:3456
	s_waitcnt vmcnt(3)
	ds_store_b128 v107, v[88:91]
	s_waitcnt vmcnt(2)
	ds_store_b128 v107, v[92:95] offset:1664
	s_waitcnt vmcnt(1)
	ds_store_b128 v107, v[96:99] offset:3328
	s_waitcnt vmcnt(0)
	ds_store_b128 v107, v[100:103] offset:4992
	s_waitcnt lgkmcnt(0)
	s_barrier
	buffer_gl0_inv
	ds_load_b128 v[80:83], v127
	ds_load_b128 v[84:87], v127 offset:16
	ds_load_b128 v[88:91], v127 offset:32
	;; [unrolled: 1-line block ×11, first 2 shown]
	s_waitcnt lgkmcnt(0)
	s_barrier
	buffer_gl0_inv
	s_clause 0x3
	global_load_b128 v[125:128], v[125:126], off offset:128
	global_load_b128 v[133:136], v[133:134], off offset:128
	global_load_b128 v[142:145], v[137:138], off
	global_load_b128 v[158:161], v[146:147], off
	v_wmma_f32_16x16x16_f16 v[72:79], v[80:87], v[8:15], v[72:79]
	s_clause 0x1
	global_load_b128 v[84:87], v[162:163], off
	global_load_b128 v[162:165], v[105:106], off
	ds_load_u16 v8, v148 offset:6656
	ds_load_u16 v9, v148 offset:6660
	;; [unrolled: 1-line block ×3, first 2 shown]
	v_wmma_f32_16x16x16_f16 v[72:79], v[88:95], v[0:7], v[72:79]
	ds_load_u16 v0, v148 offset:6668
	ds_load_u16 v1, v148 offset:6672
	;; [unrolled: 1-line block ×5, first 2 shown]
	v_xor_b32_e32 v5, 16, v132
	s_waitcnt vmcnt(5)
	ds_store_b128 v108, v[125:128] offset:128
	s_waitcnt vmcnt(4)
	ds_store_b128 v108, v[133:136] offset:3456
	s_waitcnt vmcnt(3)
	ds_store_b128 v107, v[142:145]
	s_waitcnt vmcnt(2)
	ds_store_b128 v107, v[158:161] offset:1664
	s_waitcnt vmcnt(1)
	ds_store_b128 v107, v[84:87] offset:3328
	;; [unrolled: 2-line block ×3, first 2 shown]
	v_wmma_f32_16x16x16_f16 v[72:79], v[96:103], v[24:31], v[72:79]
	s_waitcnt lgkmcnt(13)
	v_cvt_f32_f16_e32 v6, v8
	s_waitcnt lgkmcnt(12)
	v_cvt_f32_f16_e32 v7, v9
	;; [unrolled: 2-line block ×4, first 2 shown]
	v_wmma_f32_16x16x16_f16 v[72:79], v[109:116], v[32:39], v[72:79]
	s_waitcnt lgkmcnt(9)
	v_cvt_f32_f16_e32 v1, v1
	s_waitcnt lgkmcnt(8)
	v_cvt_f32_f16_e32 v2, v2
	;; [unrolled: 2-line block ×4, first 2 shown]
	v_wmma_f32_16x16x16_f16 v[72:79], v[117:124], v[48:55], v[72:79]
	v_cmp_gt_i32_e32 vcc_lo, 32, v5
	v_lshl_add_u32 v32, v129, 2, v140
	s_waitcnt lgkmcnt(0)
	s_barrier
	v_wmma_f32_16x16x16_f16 v[72:79], v[150:157], v[64:71], v[72:79]
	s_delay_alu instid0(VALU_DEP_2)
	v_dual_cndmask_b32 v5, v132, v5 :: v_dual_add_nc_u32 v34, 0x400, v32
	v_add_nc_u32_e32 v36, 0xa00, v32
	buffer_gl0_inv
	v_dual_add_f32 v6, v72, v6 :: v_dual_add_f32 v7, v73, v7
	v_add_f32_e32 v8, v74, v8
	v_dual_add_f32 v0, v75, v0 :: v_dual_add_f32 v1, v76, v1
	v_add_f32_e32 v2, v77, v2
	s_delay_alu instid0(VALU_DEP_4) | instskip(NEXT) | instid1(VALU_DEP_3)
	v_dual_add_f32 v9, 0x40051340, v6 :: v_dual_add_f32 v10, 0x40051340, v7
	v_add_f32_e32 v12, 0x40051340, v0
	v_add_f32_e32 v11, 0x40051340, v8
	v_dual_add_f32 v3, v78, v3 :: v_dual_add_f32 v4, v79, v4
	s_delay_alu instid0(VALU_DEP_4) | instskip(SKIP_2) | instid1(VALU_DEP_3)
	v_max3_f32 v9, v139, v9, v10
	v_dual_add_f32 v10, 0x40051340, v1 :: v_dual_add_f32 v13, 0x40051340, v2
	v_lshlrev_b32_e32 v80, 2, v5
	v_max3_f32 v9, v9, v11, v12
	v_dual_add_f32 v12, 0x40051340, v4 :: v_dual_add_f32 v11, 0x40051340, v3
	s_delay_alu instid0(VALU_DEP_2) | instskip(NEXT) | instid1(VALU_DEP_1)
	v_max3_f32 v9, v9, v10, v13
	v_max3_f32 v5, v9, v11, v12
	ds_bpermute_b32 v9, v80, v5
	s_waitcnt lgkmcnt(0)
	v_max_f32_e32 v9, v9, v9
	s_delay_alu instid0(VALU_DEP_1) | instskip(SKIP_1) | instid1(VALU_DEP_2)
	v_max_f32_e32 v81, v5, v9
	v_add_nc_u32_e32 v33, 0x200, v32
	v_sub_f32_e32 v5, v6, v81
	v_sub_f32_e32 v6, v7, v81
	s_delay_alu instid0(VALU_DEP_1) | instskip(SKIP_3) | instid1(VALU_DEP_4)
	v_mul_f32_e32 v10, 0x3fb8aa3b, v6
	v_dual_sub_f32 v2, v2, v81 :: v_dual_add_nc_u32 v37, 0xc00, v32
	v_sub_f32_e32 v7, v8, v81
	v_dual_sub_f32 v0, v0, v81 :: v_dual_add_nc_u32 v35, 0x800, v32
	v_fma_f32 v28, 0x3fb8aa3b, v6, -v10
	s_delay_alu instid0(VALU_DEP_4) | instskip(NEXT) | instid1(VALU_DEP_4)
	v_mul_f32_e32 v14, 0x3fb8aa3b, v2
	v_dual_sub_f32 v4, v4, v81 :: v_dual_mul_f32 v11, 0x3fb8aa3b, v7
	s_delay_alu instid0(VALU_DEP_4) | instskip(NEXT) | instid1(VALU_DEP_3)
	v_dual_sub_f32 v1, v1, v81 :: v_dual_mul_f32 v12, 0x3fb8aa3b, v0
	v_rndne_f32_e32 v51, v14
	s_delay_alu instid0(VALU_DEP_3) | instskip(NEXT) | instid1(VALU_DEP_4)
	v_mul_f32_e32 v24, 0x3fb8aa3b, v4
	v_fma_f32 v30, 0x3fb8aa3b, v7, -v11
	s_delay_alu instid0(VALU_DEP_4)
	v_mul_f32_e32 v13, 0x3fb8aa3b, v1
	v_rndne_f32_e32 v31, v11
	v_fma_f32 v38, 0x3fb8aa3b, v0, -v12
	v_rndne_f32_e32 v39, v12
	v_mul_f32_e32 v9, 0x3fb8aa3b, v5
	v_fma_f32 v50, 0x3fb8aa3b, v2, -v14
	v_fma_f32 v54, 0x3fb8aa3b, v4, -v24
	v_dual_sub_f32 v11, v11, v31 :: v_dual_fmac_f32 v38, 0x32a5705f, v0
	v_sub_f32_e32 v14, v14, v51
	v_rndne_f32_e32 v49, v13
	v_dual_fmac_f32 v30, 0x32a5705f, v7 :: v_dual_sub_f32 v3, v3, v81
	v_fmac_f32_e32 v28, 0x32a5705f, v6
	v_fma_f32 v48, 0x3fb8aa3b, v1, -v13
	v_sub_f32_e32 v12, v12, v39
	v_fma_f32 v26, 0x3fb8aa3b, v5, -v9
	v_rndne_f32_e32 v27, v9
	v_dual_sub_f32 v13, v13, v49 :: v_dual_fmac_f32 v54, 0x32a5705f, v4
	v_add_f32_e32 v11, v11, v30
	v_dual_sub_f32 v8, v139, v81 :: v_dual_mul_f32 v15, 0x3fb8aa3b, v3
	v_rndne_f32_e32 v29, v10
	v_dual_fmac_f32 v26, 0x32a5705f, v5 :: v_dual_sub_f32 v9, v9, v27
	s_delay_alu instid0(VALU_DEP_4) | instskip(NEXT) | instid1(VALU_DEP_2)
	v_exp_f32_e32 v11, v11
	v_dual_mul_f32 v25, 0x3fb8aa3b, v8 :: v_dual_sub_f32 v10, v10, v29
	v_fma_f32 v52, 0x3fb8aa3b, v3, -v15
	v_rndne_f32_e32 v53, v15
	v_cvt_i32_f32_e32 v31, v31
	v_dual_fmac_f32 v48, 0x32a5705f, v1 :: v_dual_add_f32 v9, v9, v26
	v_rndne_f32_e32 v65, v25
	s_delay_alu instid0(VALU_DEP_4) | instskip(SKIP_1) | instid1(VALU_DEP_4)
	v_dual_fmac_f32 v50, 0x32a5705f, v2 :: v_dual_sub_f32 v15, v15, v53
	v_fmac_f32_e32 v52, 0x32a5705f, v3
	v_exp_f32_e32 v9, v9
	v_ldexp_f32 v11, v11, v31
	v_add_f32_e32 v10, v10, v28
	v_fma_f32 v64, 0x3fb8aa3b, v8, -v25
	v_cvt_i32_f32_e32 v27, v27
	v_dual_sub_f32 v25, v25, v65 :: v_dual_add_f32 v12, v12, v38
	v_add_f32_e32 v15, v15, v52
	v_exp_f32_e32 v10, v10
	v_rndne_f32_e32 v55, v24
	v_cvt_i32_f32_e32 v29, v29
	v_ldexp_f32 v9, v9, v27
	v_exp_f32_e32 v15, v15
	v_cmp_ngt_f32_e32 vcc_lo, 0xc2ce8ed0, v5
	v_fmac_f32_e32 v64, 0x32a5705f, v8
	v_cvt_i32_f32_e32 v53, v53
	v_dual_sub_f32 v24, v24, v55 :: v_dual_add_f32 v13, v13, v48
	v_exp_f32_e32 v12, v12
	v_ldexp_f32 v10, v10, v29
	v_dual_cndmask_b32 v9, 0, v9 :: v_dual_add_f32 v14, v14, v50
	v_add_f32_e32 v25, v25, v64
	v_cmp_ngt_f32_e32 vcc_lo, 0xc2ce8ed0, v6
	v_cvt_i32_f32_e32 v39, v39
	v_exp_f32_e32 v13, v13
	v_ldexp_f32 v15, v15, v53
	v_exp_f32_e32 v25, v25
	v_cndmask_b32_e32 v10, 0, v10, vcc_lo
	v_cmp_ngt_f32_e32 vcc_lo, 0xc2ce8ed0, v7
	v_cvt_i32_f32_e32 v49, v49
	v_exp_f32_e32 v14, v14
	v_cvt_i32_f32_e32 v26, v65
	v_ldexp_f32 v12, v12, v39
	v_cndmask_b32_e32 v11, 0, v11, vcc_lo
	v_cmp_ngt_f32_e32 vcc_lo, 0xc2ce8ed0, v0
	v_cvt_i32_f32_e32 v51, v51
	v_ldexp_f32 v13, v13, v49
	v_ldexp_f32 v25, v25, v26
	v_cvt_i32_f32_e32 v55, v55
	v_cndmask_b32_e32 v12, 0, v12, vcc_lo
	v_cmp_ngt_f32_e32 vcc_lo, 0xc2ce8ed0, v1
	v_add_f32_e32 v24, v24, v54
	v_ldexp_f32 v14, v14, v51
	v_cndmask_b32_e32 v13, 0, v13, vcc_lo
	s_delay_alu instid0(VALU_DEP_3) | instskip(SKIP_1) | instid1(VALU_DEP_3)
	v_exp_f32_e32 v24, v24
	v_cmp_ngt_f32_e32 vcc_lo, 0xc2ce8ed0, v2
	v_cndmask_b32_e32 v14, 0, v14, vcc_lo
	v_cmp_ngt_f32_e32 vcc_lo, 0xc2ce8ed0, v3
	s_waitcnt_depctr 0xfff
	v_ldexp_f32 v24, v24, v55
	v_cndmask_b32_e32 v15, 0, v15, vcc_lo
	v_cmp_ngt_f32_e32 vcc_lo, 0xc2ce8ed0, v4
	s_delay_alu instid0(VALU_DEP_3)
	v_cndmask_b32_e32 v24, 0, v24, vcc_lo
	v_cmp_ngt_f32_e32 vcc_lo, 0xc2ce8ed0, v8
	v_cndmask_b32_e32 v25, 0, v25, vcc_lo
	v_cmp_nlt_f32_e32 vcc_lo, 0x42b17218, v5
	v_cndmask_b32_e32 v5, 0x7f800000, v9, vcc_lo
	v_cmp_nlt_f32_e32 vcc_lo, 0x42b17218, v6
	;; [unrolled: 2-line block ×5, first 2 shown]
	v_add_f32_e32 v1, v5, v6
	v_cndmask_b32_e32 v27, 0x7f800000, v13, vcc_lo
	v_cmp_nlt_f32_e32 vcc_lo, 0x42b17218, v2
	v_cndmask_b32_e32 v28, 0x7f800000, v14, vcc_lo
	v_cmp_nlt_f32_e32 vcc_lo, 0x42b17218, v3
	ds_bpermute_b32 v14, v80, v11
	ds_bpermute_b32 v39, v80, v28
	v_cndmask_b32_e32 v29, 0x7f800000, v15, vcc_lo
	v_cmp_nlt_f32_e32 vcc_lo, 0x42b17218, v8
	v_cndmask_b32_e32 v0, 0x7f800000, v25, vcc_lo
	v_cmp_nlt_f32_e32 vcc_lo, 0x42b17218, v4
	v_cndmask_b32_e32 v30, 0x7f800000, v24, vcc_lo
	v_cmp_le_f32_e32 vcc_lo, 0xc1a00000, v8
	ds_bpermute_b32 v8, v80, v6
	ds_bpermute_b32 v49, v80, v30
	v_dual_cndmask_b32 v25, 0, v0 :: v_dual_add_f32 v0, v11, v1
	v_cmp_eq_u32_e32 vcc_lo, 0, v131
	ds_bpermute_b32 v48, v80, v29
	v_cvt_f16_f32_e32 v38, v25
	v_add_f32_e32 v50, v26, v0
	ds_bpermute_b32 v7, v80, v5
	v_pk_mul_f16 v12, v38, v44 op_sel_hi:[0,1]
	v_pk_mul_f16 v13, v38, v45 op_sel_hi:[0,1]
	;; [unrolled: 1-line block ×15, first 2 shown]
	s_waitcnt lgkmcnt(0)
	v_cndmask_b32_e32 v51, v5, v7, vcc_lo
	v_cndmask_b32_e64 v52, v5, v7, s0
	v_pk_mul_f16 v5, v38, v61 op_sel_hi:[0,1]
	v_pk_mul_f16 v7, v38, v63 op_sel_hi:[0,1]
	s_delay_alu instid0(VALU_DEP_4) | instskip(NEXT) | instid1(VALU_DEP_4)
	v_cndmask_b32_e64 v9, v51, v6, s1
	v_cndmask_b32_e64 v10, v52, v6, s2
	v_pk_mul_f16 v6, v38, v62 op_sel_hi:[0,1]
	s_delay_alu instid0(VALU_DEP_3) | instskip(NEXT) | instid1(VALU_DEP_3)
	v_cndmask_b32_e32 v53, v9, v8, vcc_lo
	v_cndmask_b32_e64 v54, v10, v8, s0
	v_pk_mul_f16 v8, v38, v40 op_sel_hi:[0,1]
	v_pk_mul_f16 v9, v38, v41 op_sel_hi:[0,1]
	;; [unrolled: 1-line block ×3, first 2 shown]
	v_cndmask_b32_e64 v15, v53, v11, s1
	v_cndmask_b32_e64 v40, v54, v11, s2
	v_pk_mul_f16 v11, v38, v43 op_sel_hi:[0,1]
	v_add_f32_e32 v43, v27, v50
	ds_bpermute_b32 v24, v80, v26
	v_cndmask_b32_e32 v41, v15, v14, vcc_lo
	v_cndmask_b32_e64 v40, v40, v14, s0
	v_pk_mul_f16 v14, v38, v46 op_sel_hi:[0,1]
	v_pk_mul_f16 v15, v38, v47 op_sel_hi:[0,1]
	s_delay_alu instid0(VALU_DEP_4) | instskip(NEXT) | instid1(VALU_DEP_4)
	v_cndmask_b32_e64 v42, v41, v26, s1
	v_cndmask_b32_e64 v26, v40, v26, s2
	v_cvt_f16_f32_e32 v40, v40
	s_waitcnt lgkmcnt(0)
	s_delay_alu instid0(VALU_DEP_3) | instskip(NEXT) | instid1(VALU_DEP_3)
	v_cndmask_b32_e32 v42, v42, v24, vcc_lo
	v_cndmask_b32_e64 v44, v26, v24, s0
	v_add_f32_e32 v24, v28, v43
	ds_bpermute_b32 v31, v80, v27
	v_cndmask_b32_e64 v26, v42, v27, s1
	v_cndmask_b32_e64 v27, v44, v27, s2
	v_add_f32_e32 v24, v29, v24
	s_delay_alu instid0(VALU_DEP_1) | instskip(SKIP_1) | instid1(VALU_DEP_2)
	v_add_f32_e32 v82, v30, v24
	v_cvt_f16_f32_e32 v38, v41
	v_fmac_f32_e32 v82, v141, v25
	v_cvt_f16_f32_e32 v25, v53
	ds_bpermute_b32 v83, v80, v82
	s_waitcnt lgkmcnt(1)
	v_cndmask_b32_e32 v43, v26, v31, vcc_lo
	v_cndmask_b32_e64 v27, v27, v31, s0
	v_cvt_f16_f32_e32 v26, v51
	v_cvt_f16_f32_e32 v31, v52
	s_delay_alu instid0(VALU_DEP_4) | instskip(NEXT) | instid1(VALU_DEP_4)
	v_cndmask_b32_e64 v45, v43, v28, s1
	v_cndmask_b32_e64 v28, v27, v28, s2
	s_delay_alu instid0(VALU_DEP_3) | instskip(SKIP_1) | instid1(VALU_DEP_4)
	v_pack_b32_f16 v24, v26, v31
	v_cvt_f16_f32_e32 v26, v54
	v_cndmask_b32_e32 v31, v45, v39, vcc_lo
	s_delay_alu instid0(VALU_DEP_4) | instskip(NEXT) | instid1(VALU_DEP_3)
	v_cndmask_b32_e64 v28, v28, v39, s0
	v_pack_b32_f16 v25, v25, v26
	s_delay_alu instid0(VALU_DEP_3) | instskip(NEXT) | instid1(VALU_DEP_3)
	v_cndmask_b32_e64 v39, v31, v29, s1
	v_cndmask_b32_e64 v29, v28, v29, s2
	v_pack_b32_f16 v26, v38, v40
	v_cvt_f16_f32_e32 v38, v42
	v_cvt_f16_f32_e32 v42, v43
	v_cndmask_b32_e32 v39, v39, v48, vcc_lo
	v_cndmask_b32_e64 v29, v29, v48, s0
	v_cvt_f16_f32_e32 v43, v27
	v_cvt_f16_f32_e32 v40, v44
	;; [unrolled: 1-line block ×3, first 2 shown]
	v_cndmask_b32_e64 v41, v39, v30, s1
	v_cndmask_b32_e64 v30, v29, v30, s2
	v_cvt_f16_f32_e32 v39, v39
	v_cvt_f16_f32_e32 v44, v29
	s_delay_alu instid0(VALU_DEP_4) | instskip(NEXT) | instid1(VALU_DEP_4)
	v_cndmask_b32_e32 v27, v41, v49, vcc_lo
	v_cndmask_b32_e64 v30, v30, v49, s0
	v_cvt_f16_f32_e32 v41, v28
	v_pack_b32_f16 v28, v42, v43
	v_cmp_gt_u32_e32 vcc_lo, 16, v104
	v_cvt_f16_f32_e32 v45, v27
	v_cvt_f16_f32_e32 v46, v30
	v_pack_b32_f16 v27, v38, v40
	v_pack_b32_f16 v29, v31, v41
	;; [unrolled: 1-line block ×3, first 2 shown]
	s_delay_alu instid0(VALU_DEP_4)
	v_pack_b32_f16 v31, v45, v46
	ds_load_2addr_b32 v[39:40], v32 offset1:16
	ds_load_2addr_b32 v[48:49], v32 offset0:32 offset1:52
	ds_load_2addr_b32 v[41:42], v32 offset0:104 offset1:120
	;; [unrolled: 1-line block ×23, first 2 shown]
	s_waitcnt lgkmcnt(22)
	v_perm_b32 v56, v49, v39, 0x5040100
	v_perm_b32 v32, v49, v39, 0x7060302
	s_waitcnt lgkmcnt(20)
	v_perm_b32 v57, v51, v41, 0x5040100
	v_perm_b32 v33, v51, v41, 0x7060302
	;; [unrolled: 3-line block ×16, first 2 shown]
	v_perm_b32 v72, v91, v48, 0x5040100
	v_perm_b32 v48, v91, v48, 0x7060302
	;; [unrolled: 1-line block ×16, first 2 shown]
	s_barrier
	buffer_gl0_inv
	s_and_saveexec_b32 s0, vcc_lo
	s_cbranch_execz .LBB14_440
; %bb.439:
	v_or_b32_e32 v84, v214, v104
	v_add_f32_e32 v82, v82, v83
	s_delay_alu instid0(VALU_DEP_2)
	v_mad_u32_u24 v84, 0xd0, v84, 0
	ds_store_2addr_b32 v84, v81, v82 offset0:48 offset1:49
.LBB14_440:
	s_or_b32 exec_lo, exec_lo, s0
	v_wmma_f16_16x16x16_f16 v[0:7], v[56:63], v[24:31], v[0:7]
	v_wmma_f16_16x16x16_f16 v[8:15], v[64:71], v[24:31], v[8:15]
	;; [unrolled: 1-line block ×3, first 2 shown]
	v_cmp_eq_u32_e64 s0, 0, v216
	v_cmp_eq_u32_e64 s1, 1, v216
	s_waitcnt lgkmcnt(0)
	s_barrier
	buffer_gl0_inv
	s_and_saveexec_b32 s2, s1
	s_delay_alu instid0(SALU_CYCLE_1)
	s_xor_b32 s1, exec_lo, s2
	s_cbranch_execz .LBB14_442
; %bb.441:
	s_barrier
	buffer_gl0_inv
                                        ; implicit-def: $vgpr80
                                        ; implicit-def: $vgpr215
.LBB14_442:
	s_or_saveexec_b32 s4, s1
	v_wmma_f16_16x16x16_f16 v[0:7], v[32:39], v[24:31], v[0:7] op_sel:[0,0,1]
	v_wmma_f16_16x16x16_f16 v[8:15], v[40:47], v[24:31], v[8:15] op_sel:[0,0,1]
	;; [unrolled: 1-line block ×3, first 2 shown]
	s_xor_b32 exec_lo, exec_lo, s4
	s_cbranch_execz .LBB14_446
; %bb.443:
	v_add_nc_u32_e32 v24, v214, v104
	s_mov_b32 s3, 0
	s_delay_alu instid0(VALU_DEP_1)
	v_mad_u32_u24 v28, 0xd0, v24, 0
	ds_load_b64 v[26:27], v28 offset:192
	s_waitcnt lgkmcnt(0)
	s_barrier
	buffer_gl0_inv
	ds_bpermute_b32 v24, v80, v26
	s_waitcnt lgkmcnt(0)
	v_dual_max_f32 v25, v26, v26 :: v_dual_max_f32 v24, v24, v24
	s_delay_alu instid0(VALU_DEP_1) | instskip(NEXT) | instid1(VALU_DEP_1)
	v_max_f32_e32 v24, v25, v24
	v_sub_f32_e32 v25, v26, v24
	s_delay_alu instid0(VALU_DEP_1) | instskip(SKIP_1) | instid1(VALU_DEP_2)
	v_mul_f32_e32 v26, 0x3fb8aa3b, v25
	v_cmp_ngt_f32_e64 s1, 0xc2ce8ed0, v25
	v_fma_f32 v29, 0x3fb8aa3b, v25, -v26
	v_rndne_f32_e32 v30, v26
	s_delay_alu instid0(VALU_DEP_1) | instskip(NEXT) | instid1(VALU_DEP_1)
	v_dual_fmamk_f32 v29, v25, 0x32a5705f, v29 :: v_dual_sub_f32 v26, v26, v30
	v_add_f32_e32 v26, v26, v29
	v_cvt_i32_f32_e32 v29, v30
	s_delay_alu instid0(VALU_DEP_2) | instskip(SKIP_2) | instid1(VALU_DEP_1)
	v_exp_f32_e32 v26, v26
	s_waitcnt_depctr 0xfff
	v_ldexp_f32 v26, v26, v29
	v_cndmask_b32_e64 v26, 0, v26, s1
	v_cmp_nlt_f32_e64 s1, 0x42b17218, v25
	s_delay_alu instid0(VALU_DEP_1) | instskip(NEXT) | instid1(VALU_DEP_1)
	v_cndmask_b32_e64 v25, 0x7f800000, v26, s1
	v_mul_f32_e32 v26, v27, v25
	ds_bpermute_b32 v26, v80, v26
	s_waitcnt lgkmcnt(0)
	v_fmac_f32_e32 v26, v27, v25
	ds_store_b64 v28, v[25:26] offset:192
	s_and_saveexec_b32 s1, vcc_lo
	s_cbranch_execz .LBB14_445
; %bb.444:
	v_or_b32_e32 v25, v215, v104
	s_add_i32 s2, s14, s15
	s_delay_alu instid0(SALU_CYCLE_1) | instskip(NEXT) | instid1(SALU_CYCLE_1)
	s_lshl_b32 s2, s2, 4
	s_lshl_b64 s[2:3], s[2:3], 3
	s_delay_alu instid0(VALU_DEP_1)
	v_lshlrev_b32_e32 v27, 3, v25
	v_mov_b32_e32 v25, v26
	s_add_u32 s2, s30, s2
	s_addc_u32 s3, s31, s3
	global_store_b64 v27, v[24:25], s[2:3]
.LBB14_445:
	s_or_b32 exec_lo, exec_lo, s1
.LBB14_446:
	s_delay_alu instid0(SALU_CYCLE_1) | instskip(SKIP_2) | instid1(VALU_DEP_1)
	s_or_b32 exec_lo, exec_lo, s4
	v_or_b32_e32 v24, v214, v129
	s_mov_b32 s1, 0
	v_mad_u32_u24 v24, v24, 52, v130
	s_delay_alu instid0(VALU_DEP_1)
	v_lshl_add_u32 v24, v24, 2, 0
	ds_store_2addr_b32 v24, v0, v1 offset1:2
	ds_store_2addr_b32 v24, v2, v3 offset0:4 offset1:6
	ds_store_2addr_b32 v24, v4, v5 offset0:8 offset1:10
	;; [unrolled: 1-line block ×11, first 2 shown]
	s_waitcnt lgkmcnt(0)
	s_waitcnt_vscnt null, 0x0
	s_barrier
	buffer_gl0_inv
	s_and_saveexec_b32 s2, s0
	s_cbranch_execz .LBB14_448
; %bb.447:
	v_lshrrev_b32_e32 v20, 1, v149
	v_bfe_u32 v0, v149, 1, 4
	v_lshlrev_b32_e32 v21, 2, v104
	s_mul_i32 s0, s15, 0x300
	s_delay_alu instid0(SALU_CYCLE_1)
	s_lshl_b64 s[4:5], s[0:1], 3
	v_add_nc_u32_e32 v1, 1, v20
	v_add_nc_u32_e32 v3, 2, v20
	v_and_or_b32 v0, 0x3e0, v149, v0
	v_add_nc_u32_e32 v4, 3, v20
	v_mul_u32_u24_e32 v12, 48, v20
	v_lshlrev_b32_e32 v2, 1, v1
	v_and_b32_e32 v1, 15, v1
	v_mad_u32_u24 v0, 0xd0, v0, 0
	v_lshlrev_b32_e32 v5, 1, v4
	v_and_b32_e32 v4, 15, v4
	v_add_nc_u32_e32 v16, 4, v20
	v_and_or_b32 v1, 0x7e0, v2, v1
	v_lshlrev_b32_e32 v2, 1, v3
	v_and_b32_e32 v3, 15, v3
	v_add_nc_u32_e32 v6, 0xc0, v0
	v_add_nc_u32_e32 v7, v0, v21
	v_mad_u32_u24 v1, 0xd0, v1, 0
	v_and_or_b32 v8, 0x7e0, v5, v4
	v_and_or_b32 v2, 0x7e0, v2, v3
	v_add_lshl_u32 v22, v12, v104, 3
	v_lshlrev_b32_e32 v17, 1, v16
	v_add_nc_u32_e32 v4, 0xc0, v1
	v_add_nc_u32_e32 v9, v1, v21
	v_mad_u32_u24 v10, 0xd0, v2, 0
	ds_load_2addr_stride64_b32 v[0:1], v6 offset1:13
	ds_load_2addr_stride64_b32 v[2:3], v7 offset1:13
	;; [unrolled: 1-line block ×4, first 2 shown]
	v_mad_u32_u24 v13, 0xd0, v8, 0
	v_and_b32_e32 v16, 15, v16
	v_add_nc_u32_e32 v9, 0xc0, v10
	v_add_nc_u32_e32 v10, v10, v21
	ds_load_2addr_stride64_b32 v[8:9], v9 offset1:13
	ds_load_2addr_stride64_b32 v[10:11], v10 offset1:13
	v_add_nc_u32_e32 v14, 0xc0, v13
	v_add_nc_u32_e32 v15, v13, v21
	ds_load_2addr_stride64_b32 v[12:13], v14 offset1:13
	ds_load_2addr_stride64_b32 v[14:15], v15 offset1:13
	v_add_nc_u32_e32 v24, 7, v20
	s_add_u32 s3, s30, s4
	s_addc_u32 s4, s31, s5
	s_lshl_b32 s0, s14, 5
	s_waitcnt lgkmcnt(6)
	v_fma_mix_f32 v18, v0, v2, 0 op_sel_hi:[0,1,0]
	v_fma_mix_f32 v2, v0, v2, 0 op_sel:[0,1,0] op_sel_hi:[0,1,0]
	s_waitcnt lgkmcnt(4)
	v_fma_mix_f32 v19, v4, v6, 0 op_sel_hi:[0,1,0]
	v_fma_mix_f32 v4, v4, v6, 0 op_sel:[0,1,0] op_sel_hi:[0,1,0]
	v_add_nc_u32_e32 v6, 5, v20
	v_fma_mix_f32 v0, v1, v3, v18 op_sel_hi:[0,1,0]
	v_fma_mix_f32 v1, v1, v3, v2 op_sel:[0,1,0] op_sel_hi:[0,1,0]
	v_fma_mix_f32 v2, v5, v7, v19 op_sel_hi:[0,1,0]
	v_fma_mix_f32 v3, v5, v7, v4 op_sel:[0,1,0] op_sel_hi:[0,1,0]
	s_waitcnt lgkmcnt(2)
	v_fma_mix_f32 v4, v8, v10, 0 op_sel_hi:[0,1,0]
	v_fma_mix_f32 v5, v8, v10, 0 op_sel:[0,1,0] op_sel_hi:[0,1,0]
	v_and_or_b32 v7, 0x7e0, v17, v16
	v_lshlrev_b32_e32 v8, 1, v6
	v_and_b32_e32 v6, 15, v6
	v_fma_mix_f32 v4, v9, v11, v4 op_sel_hi:[0,1,0]
	v_fma_mix_f32 v5, v9, v11, v5 op_sel:[0,1,0] op_sel_hi:[0,1,0]
	v_mad_u32_u24 v7, 0xd0, v7, 0
	s_waitcnt lgkmcnt(0)
	v_fma_mix_f32 v10, v12, v14, 0 op_sel_hi:[0,1,0]
	v_and_or_b32 v6, 0x7e0, v8, v6
	v_add_nc_u32_e32 v8, 6, v20
	v_fma_mix_f32 v11, v12, v14, 0 op_sel:[0,1,0] op_sel_hi:[0,1,0]
	v_add_nc_u32_e32 v9, 0xc0, v7
	v_add_nc_u32_e32 v12, v7, v21
	v_mad_u32_u24 v14, 0xd0, v6, 0
	v_lshlrev_b32_e32 v16, 1, v8
	v_and_b32_e32 v17, 15, v8
	ds_load_2addr_stride64_b32 v[6:7], v9 offset1:13
	ds_load_2addr_stride64_b32 v[8:9], v12 offset1:13
	s_lshl_b64 s[0:1], s[0:1], 3
	v_add_nc_u32_e32 v12, 0xc0, v14
	v_add_nc_u32_e32 v14, v14, v21
	v_and_or_b32 v23, 0x7e0, v16, v17
	ds_load_2addr_stride64_b32 v[16:17], v12 offset1:13
	ds_load_2addr_stride64_b32 v[18:19], v14 offset1:13
	v_lshlrev_b32_e32 v14, 1, v24
	v_mad_u32_u24 v12, 0xd0, v23, 0
	v_and_b32_e32 v23, 15, v24
	v_fma_mix_f32 v10, v13, v15, v10 op_sel_hi:[0,1,0]
	v_fma_mix_f32 v11, v13, v15, v11 op_sel:[0,1,0] op_sel_hi:[0,1,0]
	s_add_u32 s0, s3, s0
	v_add_nc_u32_e32 v15, 0xc0, v12
	v_and_or_b32 v14, 0x7e0, v14, v23
	v_add_nc_u32_e32 v12, v12, v21
	s_addc_u32 s1, s4, s1
	v_add_nc_u32_e32 v13, 0x480, v22
	s_clause 0x3
	global_store_b64 v22, v[0:1], s[0:1]
	global_store_b64 v22, v[2:3], s[0:1] offset:384
	global_store_b64 v22, v[4:5], s[0:1] offset:768
	global_store_b64 v13, v[10:11], s[0:1]
	v_mad_u32_u24 v4, 0xd0, v14, 0
	ds_load_2addr_stride64_b32 v[0:1], v15 offset1:13
	ds_load_2addr_stride64_b32 v[2:3], v12 offset1:13
	s_waitcnt lgkmcnt(4)
	v_fma_mix_f32 v5, v6, v8, 0 op_sel_hi:[0,1,0]
	v_fma_mix_f32 v6, v6, v8, 0 op_sel:[0,1,0] op_sel_hi:[0,1,0]
	v_add_nc_u32_e32 v14, 8, v20
	v_add_nc_u32_e32 v8, 0xc0, v4
	;; [unrolled: 1-line block ×3, first 2 shown]
	ds_load_2addr_stride64_b32 v[10:11], v8 offset1:13
	ds_load_2addr_stride64_b32 v[12:13], v12 offset1:13
	v_lshlrev_b32_e32 v8, 1, v14
	v_and_b32_e32 v14, 15, v14
	v_fma_mix_f32 v4, v7, v9, v5 op_sel_hi:[0,1,0]
	s_waitcnt lgkmcnt(4)
	v_fma_mix_f32 v15, v16, v18, 0 op_sel_hi:[0,1,0]
	v_fma_mix_f32 v5, v7, v9, v6 op_sel:[0,1,0] op_sel_hi:[0,1,0]
	v_add_nc_u32_e32 v9, 9, v20
	v_and_or_b32 v8, 0x7e0, v8, v14
	v_fma_mix_f32 v7, v16, v18, 0 op_sel:[0,1,0] op_sel_hi:[0,1,0]
	v_fma_mix_f32 v6, v17, v19, v15 op_sel_hi:[0,1,0]
	v_add_nc_u32_e32 v16, 0x600, v22
	s_waitcnt lgkmcnt(2)
	v_fma_mix_f32 v14, v0, v2, 0 op_sel_hi:[0,1,0]
	v_mad_u32_u24 v8, 0xd0, v8, 0
	v_lshlrev_b32_e32 v15, 1, v9
	v_and_b32_e32 v9, 15, v9
	v_fma_mix_f32 v2, v0, v2, 0 op_sel:[0,1,0] op_sel_hi:[0,1,0]
	v_fma_mix_f32 v0, v1, v3, v14 op_sel_hi:[0,1,0]
	v_add_nc_u32_e32 v14, 0xc0, v8
	v_add_nc_u32_e32 v8, v8, v21
	v_and_or_b32 v15, 0x7e0, v15, v9
	v_fma_mix_f32 v1, v1, v3, v2 op_sel:[0,1,0] op_sel_hi:[0,1,0]
	s_waitcnt lgkmcnt(0)
	v_fma_mix_f32 v18, v10, v12, 0 op_sel_hi:[0,1,0]
	ds_load_2addr_stride64_b32 v[2:3], v14 offset1:13
	ds_load_2addr_stride64_b32 v[8:9], v8 offset1:13
	v_fma_mix_f32 v12, v10, v12, 0 op_sel:[0,1,0] op_sel_hi:[0,1,0]
	v_mad_u32_u24 v14, 0xd0, v15, 0
	v_add_nc_u32_e32 v15, 10, v20
	v_fma_mix_f32 v10, v11, v13, v18 op_sel_hi:[0,1,0]
	v_fma_mix_f32 v7, v17, v19, v7 op_sel:[0,1,0] op_sel_hi:[0,1,0]
	v_fma_mix_f32 v11, v11, v13, v12 op_sel:[0,1,0] op_sel_hi:[0,1,0]
	v_add_nc_u32_e32 v18, 0xc0, v14
	v_lshlrev_b32_e32 v23, 1, v15
	v_and_b32_e32 v24, 15, v15
	v_add_nc_u32_e32 v14, v14, v21
	ds_load_2addr_stride64_b32 v[12:13], v18 offset1:13
	ds_load_2addr_stride64_b32 v[14:15], v14 offset1:13
	v_and_or_b32 v23, 0x7e0, v23, v24
	v_add_nc_u32_e32 v24, 11, v20
	v_add_nc_u32_e32 v17, 0x780, v22
	;; [unrolled: 1-line block ×3, first 2 shown]
	s_clause 0x2
	global_store_b64 v16, v[4:5], s[0:1]
	global_store_b64 v17, v[6:7], s[0:1]
	global_store_b64 v19, v[0:1], s[0:1]
	v_mad_u32_u24 v0, 0xd0, v23, 0
	v_lshlrev_b32_e32 v4, 1, v24
	v_and_b32_e32 v5, 15, v24
	v_add_nc_u32_e32 v18, 0xa80, v22
	s_waitcnt lgkmcnt(2)
	v_fma_mix_f32 v1, v2, v8, 0 op_sel_hi:[0,1,0]
	v_add_nc_u32_e32 v6, 0xc0, v0
	v_fma_mix_f32 v2, v2, v8, 0 op_sel:[0,1,0] op_sel_hi:[0,1,0]
	v_and_or_b32 v8, 0x7e0, v4, v5
	v_add_nc_u32_e32 v7, v0, v21
	global_store_b64 v18, v[10:11], s[0:1]
	v_fma_mix_f32 v0, v3, v9, v1 op_sel_hi:[0,1,0]
	ds_load_2addr_stride64_b32 v[4:5], v6 offset1:13
	ds_load_2addr_stride64_b32 v[6:7], v7 offset1:13
	v_fma_mix_f32 v1, v3, v9, v2 op_sel:[0,1,0] op_sel_hi:[0,1,0]
	v_mad_u32_u24 v3, 0xd0, v8, 0
	v_add_nc_u32_e32 v8, 12, v20
	s_waitcnt lgkmcnt(2)
	v_fma_mix_f32 v2, v12, v14, 0 op_sel_hi:[0,1,0]
	v_fma_mix_f32 v9, v12, v14, 0 op_sel:[0,1,0] op_sel_hi:[0,1,0]
	v_add_nc_u32_e32 v16, 0xc00, v22
	v_add_nc_u32_e32 v10, 0xc0, v3
	v_lshlrev_b32_e32 v12, 1, v8
	v_and_b32_e32 v14, 15, v8
	v_fma_mix_f32 v2, v13, v15, v2 op_sel_hi:[0,1,0]
	v_add_nc_u32_e32 v11, v3, v21
	v_fma_mix_f32 v3, v13, v15, v9 op_sel:[0,1,0] op_sel_hi:[0,1,0]
	v_add_nc_u32_e32 v13, 0xd80, v22
	v_and_or_b32 v12, 0x7e0, v12, v14
	v_add_nc_u32_e32 v14, 13, v20
	ds_load_2addr_stride64_b32 v[8:9], v10 offset1:13
	ds_load_2addr_stride64_b32 v[10:11], v11 offset1:13
	s_clause 0x1
	global_store_b64 v16, v[0:1], s[0:1]
	global_store_b64 v13, v[2:3], s[0:1]
	v_add_nc_u32_e32 v18, 15, v20
	v_mad_u32_u24 v1, 0xd0, v12, 0
	v_lshlrev_b32_e32 v2, 1, v14
	v_and_b32_e32 v3, 15, v14
	s_waitcnt lgkmcnt(2)
	v_fma_mix_f32 v0, v4, v6, 0 op_sel_hi:[0,1,0]
	v_fma_mix_f32 v4, v4, v6, 0 op_sel:[0,1,0] op_sel_hi:[0,1,0]
	v_add_nc_u32_e32 v6, 0xc0, v1
	v_add_nc_u32_e32 v14, 14, v20
	v_and_or_b32 v13, 0x7e0, v2, v3
	v_add_nc_u32_e32 v12, v1, v21
	v_fma_mix_f32 v0, v5, v7, v0 op_sel_hi:[0,1,0]
	v_fma_mix_f32 v1, v5, v7, v4 op_sel:[0,1,0] op_sel_hi:[0,1,0]
	ds_load_2addr_stride64_b32 v[2:3], v6 offset1:13
	ds_load_2addr_stride64_b32 v[4:5], v12 offset1:13
	v_mad_u32_u24 v6, 0xd0, v13, 0
	v_lshlrev_b32_e32 v7, 1, v14
	v_and_b32_e32 v12, 15, v14
	v_add_nc_u32_e32 v14, 0xf00, v22
	s_waitcnt lgkmcnt(2)
	v_fma_mix_f32 v15, v8, v10, 0 op_sel_hi:[0,1,0]
	v_add_nc_u32_e32 v13, 0xc0, v6
	v_add_nc_u32_e32 v16, v6, v21
	v_and_or_b32 v17, 0x7e0, v7, v12
	v_fma_mix_f32 v8, v8, v10, 0 op_sel:[0,1,0] op_sel_hi:[0,1,0]
	ds_load_2addr_stride64_b32 v[6:7], v13 offset1:13
	ds_load_2addr_stride64_b32 v[12:13], v16 offset1:13
	v_lshlrev_b32_e32 v16, 1, v18
	v_mad_u32_u24 v10, 0xd0, v17, 0
	v_and_b32_e32 v17, 15, v18
	global_store_b64 v14, v[0:1], s[0:1]
	v_fma_mix_f32 v0, v9, v11, v15 op_sel_hi:[0,1,0]
	v_fma_mix_f32 v1, v9, v11, v8 op_sel:[0,1,0] op_sel_hi:[0,1,0]
	v_add_nc_u32_e32 v8, 0xc0, v10
	v_and_or_b32 v11, 0x7e0, v16, v17
	v_add_nc_u32_e32 v10, v10, v21
	v_add_nc_u32_e32 v14, 0x1080, v22
	s_waitcnt lgkmcnt(2)
	v_fma_mix_f32 v15, v2, v4, 0 op_sel_hi:[0,1,0]
	ds_load_2addr_stride64_b32 v[8:9], v8 offset1:13
	v_mad_u32_u24 v16, 0xd0, v11, 0
	ds_load_2addr_stride64_b32 v[10:11], v10 offset1:13
	global_store_b64 v14, v[0:1], s[0:1]
	v_fma_mix_f32 v1, v2, v4, 0 op_sel:[0,1,0] op_sel_hi:[0,1,0]
	v_add_nc_u32_e32 v18, v130, v149
	v_add_nc_u32_e32 v2, 0xc0, v16
	;; [unrolled: 1-line block ×3, first 2 shown]
	v_fma_mix_f32 v0, v3, v5, v15 op_sel_hi:[0,1,0]
	s_waitcnt lgkmcnt(2)
	v_fma_mix_f32 v19, v6, v12, 0 op_sel_hi:[0,1,0]
	v_fma_mix_f32 v6, v6, v12, 0 op_sel:[0,1,0] op_sel_hi:[0,1,0]
	ds_load_2addr_stride64_b32 v[14:15], v2 offset1:13
	ds_load_2addr_stride64_b32 v[16:17], v4 offset1:13
	v_lshlrev_b32_e32 v4, 1, v18
	v_and_b32_e32 v12, 15, v18
	v_fma_mix_f32 v1, v3, v5, v1 op_sel:[0,1,0] op_sel_hi:[0,1,0]
	v_add_nc_u32_e32 v5, 2, v18
	v_fma_mix_f32 v2, v7, v13, v19 op_sel_hi:[0,1,0]
	v_fma_mix_f32 v3, v7, v13, v6 op_sel:[0,1,0] op_sel_hi:[0,1,0]
	v_and_or_b32 v4, 0xfe0, v4, v12
	v_lshlrev_b32_e32 v21, 2, v129
	v_and_b32_e32 v12, 15, v5
	v_add_nc_u32_e32 v20, 0x1200, v22
	s_waitcnt lgkmcnt(2)
	v_fma_mix_f32 v6, v8, v10, 0 op_sel_hi:[0,1,0]
	v_fma_mix_f32 v7, v8, v10, 0 op_sel:[0,1,0] op_sel_hi:[0,1,0]
	v_lshlrev_b32_e32 v10, 1, v5
	v_mad_u32_u24 v8, 0xd0, v4, 0
	v_add_nc_u32_e32 v19, 0x1380, v22
	v_fma_mix_f32 v4, v9, v11, v6 op_sel_hi:[0,1,0]
	v_fma_mix_f32 v5, v9, v11, v7 op_sel:[0,1,0] op_sel_hi:[0,1,0]
	v_and_or_b32 v6, 0x1fe0, v10, v12
	v_add_nc_u32_e32 v7, v8, v21
	v_add_nc_u32_e32 v9, 4, v18
	;; [unrolled: 1-line block ×3, first 2 shown]
	s_waitcnt lgkmcnt(0)
	v_fma_mix_f32 v10, v14, v16, 0 op_sel_hi:[0,1,0]
	v_mad_u32_u24 v11, 0xd0, v6, 0
	v_add_nc_u32_e32 v12, 0x80, v7
	v_lshlrev_b32_e32 v13, 1, v9
	v_and_b32_e32 v24, 15, v9
	ds_load_2addr_stride64_b32 v[6:7], v8 offset1:13
	v_add_nc_u32_e32 v25, v11, v21
	ds_load_2addr_stride64_b32 v[8:9], v12 offset1:13
	v_fma_mix_f32 v12, v14, v16, 0 op_sel:[0,1,0] op_sel_hi:[0,1,0]
	v_and_or_b32 v13, 0x1fe0, v13, v24
	v_add_nc_u32_e32 v14, 0xc0, v11
	v_add_nc_u32_e32 v16, 0x80, v25
	v_fma_mix_f32 v10, v15, v17, v10 op_sel_hi:[0,1,0]
	v_fma_mix_f32 v11, v15, v17, v12 op_sel:[0,1,0] op_sel_hi:[0,1,0]
	v_mad_u32_u24 v17, 0xd0, v13, 0
	ds_load_2addr_stride64_b32 v[12:13], v14 offset1:13
	ds_load_2addr_stride64_b32 v[14:15], v16 offset1:13
	v_add_nc_u32_e32 v23, 0x1500, v22
	v_add_nc_u32_e32 v16, 0x1680, v22
	s_clause 0x3
	global_store_b64 v20, v[0:1], s[0:1]
	global_store_b64 v19, v[2:3], s[0:1]
	;; [unrolled: 1-line block ×4, first 2 shown]
	v_add_nc_u32_e32 v4, 6, v18
	v_mul_u32_u24_e32 v5, 48, v18
	v_add_nc_u32_e32 v0, v17, v21
	v_add_nc_u32_e32 v1, 0xc0, v17
	s_delay_alu instid0(VALU_DEP_4)
	v_and_b32_e32 v11, 15, v4
	s_waitcnt lgkmcnt(2)
	v_fma_mix_f32 v10, v6, v8, 0 op_sel_hi:[0,1,0]
	v_fma_mix_f32 v6, v6, v8, 0 op_sel:[0,1,0] op_sel_hi:[0,1,0]
	v_lshlrev_b32_e32 v8, 1, v4
	v_add_nc_u32_e32 v2, 0x80, v0
	ds_load_2addr_stride64_b32 v[0:1], v1 offset1:13
	ds_load_2addr_stride64_b32 v[2:3], v2 offset1:13
	v_fma_mix_f32 v4, v7, v9, v10 op_sel_hi:[0,1,0]
	v_or_b32_e32 v10, v5, v129
	v_fma_mix_f32 v5, v7, v9, v6 op_sel:[0,1,0] op_sel_hi:[0,1,0]
	s_waitcnt lgkmcnt(2)
	v_fma_mix_f32 v6, v12, v14, 0 op_sel_hi:[0,1,0]
	v_and_or_b32 v7, 0x1fe0, v8, v11
	v_fma_mix_f32 v8, v12, v14, 0 op_sel:[0,1,0] op_sel_hi:[0,1,0]
	v_add_nc_u32_e32 v9, 8, v18
	v_add_nc_u32_e32 v12, 10, v18
	v_lshlrev_b32_e32 v28, 3, v10
	v_mad_u32_u24 v10, 0xd0, v7, 0
	v_fma_mix_f32 v7, v13, v15, v8 op_sel:[0,1,0] op_sel_hi:[0,1,0]
	v_lshlrev_b32_e32 v8, 1, v9
	v_and_b32_e32 v9, 15, v9
	v_lshlrev_b32_e32 v14, 1, v12
	v_and_b32_e32 v12, 15, v12
	v_fma_mix_f32 v6, v13, v15, v6 op_sel_hi:[0,1,0]
	v_add_nc_u32_e32 v15, 12, v18
	v_and_or_b32 v13, 0x1fe0, v8, v9
	v_add_nc_u32_e32 v11, v10, v21
	v_and_or_b32 v12, 0x1fe0, v14, v12
	v_add_nc_u32_e32 v14, 14, v18
	v_lshlrev_b32_e32 v17, 1, v15
	v_mad_u32_u24 v13, 0xd0, v13, 0
	v_and_b32_e32 v15, 15, v15
	v_add_nc_u32_e32 v10, 0xc0, v10
	v_lshlrev_b32_e32 v19, 1, v14
	v_and_b32_e32 v14, 15, v14
	v_add_nc_u32_e32 v20, v13, v21
	v_and_or_b32 v15, 0x1fe0, v17, v15
	v_add_nc_u32_e32 v11, 0x80, v11
	v_add_nc_u32_e32 v16, 0xc0, v13
	v_and_or_b32 v14, 0x1fe0, v19, v14
	v_mad_u32_u24 v18, 0xd0, v12, 0
	v_add_nc_u32_e32 v17, 0x80, v20
	v_mad_u32_u24 v20, 0xd0, v15, 0
	ds_load_2addr_stride64_b32 v[8:9], v10 offset1:13
	v_mad_u32_u24 v22, 0xd0, v14, 0
	ds_load_2addr_stride64_b32 v[10:11], v11 offset1:13
	ds_load_2addr_stride64_b32 v[12:13], v16 offset1:13
	v_add_nc_u32_e32 v16, v18, v21
	v_add_nc_u32_e32 v23, v20, v21
	;; [unrolled: 1-line block ×3, first 2 shown]
	s_waitcnt lgkmcnt(3)
	v_fma_mix_f32 v30, v0, v2, 0 op_sel_hi:[0,1,0]
	v_add_nc_u32_e32 v18, 0xc0, v18
	ds_load_2addr_stride64_b32 v[14:15], v17 offset1:13
	v_add_nc_u32_e32 v20, 0xc0, v20
	v_fma_mix_f32 v2, v0, v2, 0 op_sel:[0,1,0] op_sel_hi:[0,1,0]
	v_add_nc_u32_e32 v0, 0xc0, v22
	v_add_nc_u32_e32 v19, 0x80, v16
	;; [unrolled: 1-line block ×4, first 2 shown]
	ds_load_2addr_stride64_b32 v[16:17], v18 offset1:13
	ds_load_2addr_stride64_b32 v[18:19], v19 offset1:13
	;; [unrolled: 1-line block ×6, first 2 shown]
	v_fma_mix_f32 v0, v1, v3, v30 op_sel_hi:[0,1,0]
	v_fma_mix_f32 v1, v1, v3, v2 op_sel:[0,1,0] op_sel_hi:[0,1,0]
	s_waitcnt lgkmcnt(8)
	v_fma_mix_f32 v31, v8, v10, 0 op_sel_hi:[0,1,0]
	v_fma_mix_f32 v8, v8, v10, 0 op_sel:[0,1,0] op_sel_hi:[0,1,0]
	v_add_nc_u32_e32 v29, 0x300, v28
	v_add_nc_u32_e32 v30, 0x600, v28
	s_delay_alu instid0(VALU_DEP_4) | instskip(NEXT) | instid1(VALU_DEP_4)
	v_fma_mix_f32 v2, v9, v11, v31 op_sel_hi:[0,1,0]
	v_fma_mix_f32 v3, v9, v11, v8 op_sel:[0,1,0] op_sel_hi:[0,1,0]
	s_waitcnt lgkmcnt(6)
	v_fma_mix_f32 v8, v12, v14, 0 op_sel_hi:[0,1,0]
	v_fma_mix_f32 v9, v12, v14, 0 op_sel:[0,1,0] op_sel_hi:[0,1,0]
	v_add_nc_u32_e32 v31, 0x900, v28
	s_delay_alu instid0(VALU_DEP_3) | instskip(NEXT) | instid1(VALU_DEP_3)
	v_fma_mix_f32 v8, v13, v15, v8 op_sel_hi:[0,1,0]
	v_fma_mix_f32 v9, v13, v15, v9 op_sel:[0,1,0] op_sel_hi:[0,1,0]
	s_waitcnt lgkmcnt(4)
	v_fma_mix_f32 v10, v16, v18, 0 op_sel_hi:[0,1,0]
	v_fma_mix_f32 v11, v16, v18, 0 op_sel:[0,1,0] op_sel_hi:[0,1,0]
	s_waitcnt lgkmcnt(2)
	v_fma_mix_f32 v12, v20, v22, 0 op_sel_hi:[0,1,0]
	v_fma_mix_f32 v13, v20, v22, 0 op_sel:[0,1,0] op_sel_hi:[0,1,0]
	s_waitcnt lgkmcnt(0)
	v_fma_mix_f32 v14, v24, v26, 0 op_sel_hi:[0,1,0]
	v_fma_mix_f32 v15, v24, v26, 0 op_sel:[0,1,0] op_sel_hi:[0,1,0]
	v_add_nc_u32_e32 v16, 0xc00, v28
	v_fma_mix_f32 v10, v17, v19, v10 op_sel_hi:[0,1,0]
	v_fma_mix_f32 v11, v17, v19, v11 op_sel:[0,1,0] op_sel_hi:[0,1,0]
	v_add_nc_u32_e32 v17, 0xf00, v28
	;; [unrolled: 3-line block ×4, first 2 shown]
	s_clause 0x7
	global_store_b64 v28, v[4:5], s[0:1] offset:256
	global_store_b64 v29, v[6:7], s[0:1] offset:256
	;; [unrolled: 1-line block ×8, first 2 shown]
.LBB14_448:
	s_or_b32 exec_lo, exec_lo, s2
	s_waitcnt_vscnt null, 0x0
	s_barrier
	buffer_gl0_inv
	s_endpgm
	.section	.rodata,"a",@progbits
	.p2align	6, 0x0
	.amdhsa_kernel _ZL18flash_attn_ext_f16ILi96ELi96ELi2ELi8ELb0ELb0EEvPKcS1_S1_S1_S1_PKiPfP15HIP_vector_typeIfLj2EEffffjfiS5_IjLj3EEiiiiiiiiiiiliiliiiiil
		.amdhsa_group_segment_fixed_size 0
		.amdhsa_private_segment_fixed_size 528
		.amdhsa_kernarg_size 464
		.amdhsa_user_sgpr_count 15
		.amdhsa_user_sgpr_dispatch_ptr 0
		.amdhsa_user_sgpr_queue_ptr 0
		.amdhsa_user_sgpr_kernarg_segment_ptr 1
		.amdhsa_user_sgpr_dispatch_id 0
		.amdhsa_user_sgpr_private_segment_size 0
		.amdhsa_wavefront_size32 1
		.amdhsa_uses_dynamic_stack 0
		.amdhsa_enable_private_segment 1
		.amdhsa_system_sgpr_workgroup_id_x 1
		.amdhsa_system_sgpr_workgroup_id_y 0
		.amdhsa_system_sgpr_workgroup_id_z 0
		.amdhsa_system_sgpr_workgroup_info 0
		.amdhsa_system_vgpr_workitem_id 1
		.amdhsa_next_free_vgpr 256
		.amdhsa_next_free_sgpr 105
		.amdhsa_reserve_vcc 1
		.amdhsa_float_round_mode_32 0
		.amdhsa_float_round_mode_16_64 0
		.amdhsa_float_denorm_mode_32 3
		.amdhsa_float_denorm_mode_16_64 3
		.amdhsa_dx10_clamp 1
		.amdhsa_ieee_mode 1
		.amdhsa_fp16_overflow 0
		.amdhsa_workgroup_processor_mode 1
		.amdhsa_memory_ordered 1
		.amdhsa_forward_progress 0
		.amdhsa_shared_vgpr_count 0
		.amdhsa_exception_fp_ieee_invalid_op 0
		.amdhsa_exception_fp_denorm_src 0
		.amdhsa_exception_fp_ieee_div_zero 0
		.amdhsa_exception_fp_ieee_overflow 0
		.amdhsa_exception_fp_ieee_underflow 0
		.amdhsa_exception_fp_ieee_inexact 0
		.amdhsa_exception_int_div_zero 0
	.end_amdhsa_kernel
	.section	.text._ZL18flash_attn_ext_f16ILi96ELi96ELi2ELi8ELb0ELb0EEvPKcS1_S1_S1_S1_PKiPfP15HIP_vector_typeIfLj2EEffffjfiS5_IjLj3EEiiiiiiiiiiiliiliiiiil,"axG",@progbits,_ZL18flash_attn_ext_f16ILi96ELi96ELi2ELi8ELb0ELb0EEvPKcS1_S1_S1_S1_PKiPfP15HIP_vector_typeIfLj2EEffffjfiS5_IjLj3EEiiiiiiiiiiiliiliiiiil,comdat
.Lfunc_end14:
	.size	_ZL18flash_attn_ext_f16ILi96ELi96ELi2ELi8ELb0ELb0EEvPKcS1_S1_S1_S1_PKiPfP15HIP_vector_typeIfLj2EEffffjfiS5_IjLj3EEiiiiiiiiiiiliiliiiiil, .Lfunc_end14-_ZL18flash_attn_ext_f16ILi96ELi96ELi2ELi8ELb0ELb0EEvPKcS1_S1_S1_S1_PKiPfP15HIP_vector_typeIfLj2EEffffjfiS5_IjLj3EEiiiiiiiiiiiliiliiiiil
                                        ; -- End function
	.section	.AMDGPU.csdata,"",@progbits
; Kernel info:
; codeLenInByte = 64188
; NumSgprs: 107
; NumVgprs: 256
; ScratchSize: 528
; MemoryBound: 0
; FloatMode: 240
; IeeeMode: 1
; LDSByteSize: 0 bytes/workgroup (compile time only)
; SGPRBlocks: 13
; VGPRBlocks: 31
; NumSGPRsForWavesPerEU: 107
; NumVGPRsForWavesPerEU: 256
; Occupancy: 5
; WaveLimiterHint : 1
; COMPUTE_PGM_RSRC2:SCRATCH_EN: 1
; COMPUTE_PGM_RSRC2:USER_SGPR: 15
; COMPUTE_PGM_RSRC2:TRAP_HANDLER: 0
; COMPUTE_PGM_RSRC2:TGID_X_EN: 1
; COMPUTE_PGM_RSRC2:TGID_Y_EN: 0
; COMPUTE_PGM_RSRC2:TGID_Z_EN: 0
; COMPUTE_PGM_RSRC2:TIDIG_COMP_CNT: 1
	.section	.text._ZL18flash_attn_ext_f16ILi96ELi96ELi2ELi8ELb1ELb0EEvPKcS1_S1_S1_S1_PKiPfP15HIP_vector_typeIfLj2EEffffjfiS5_IjLj3EEiiiiiiiiiiiliiliiiiil,"axG",@progbits,_ZL18flash_attn_ext_f16ILi96ELi96ELi2ELi8ELb1ELb0EEvPKcS1_S1_S1_S1_PKiPfP15HIP_vector_typeIfLj2EEffffjfiS5_IjLj3EEiiiiiiiiiiiliiliiiiil,comdat
	.globl	_ZL18flash_attn_ext_f16ILi96ELi96ELi2ELi8ELb1ELb0EEvPKcS1_S1_S1_S1_PKiPfP15HIP_vector_typeIfLj2EEffffjfiS5_IjLj3EEiiiiiiiiiiiliiliiiiil ; -- Begin function _ZL18flash_attn_ext_f16ILi96ELi96ELi2ELi8ELb1ELb0EEvPKcS1_S1_S1_S1_PKiPfP15HIP_vector_typeIfLj2EEffffjfiS5_IjLj3EEiiiiiiiiiiiliiliiiiil
	.p2align	8
	.type	_ZL18flash_attn_ext_f16ILi96ELi96ELi2ELi8ELb1ELb0EEvPKcS1_S1_S1_S1_PKiPfP15HIP_vector_typeIfLj2EEffffjfiS5_IjLj3EEiiiiiiiiiiiliiliiiiil,@function
_ZL18flash_attn_ext_f16ILi96ELi96ELi2ELi8ELb1ELb0EEvPKcS1_S1_S1_S1_PKiPfP15HIP_vector_typeIfLj2EEffffjfiS5_IjLj3EEiiiiiiiiiiiliiliiiiil: ; @_ZL18flash_attn_ext_f16ILi96ELi96ELi2ELi8ELb1ELb0EEvPKcS1_S1_S1_S1_PKiPfP15HIP_vector_typeIfLj2EEffffjfiS5_IjLj3EEiiiiiiiiiiiliiliiiiil
; %bb.0:
	v_mov_b32_e32 v0, 0x6cc
	s_add_u32 s8, s0, 0xd0
	s_addc_u32 s9, s1, 0
	s_mov_b32 s32, 0
	s_getpc_b64 s[0:1]
	s_add_u32 s0, s0, _ZL14no_device_codePKciS0_iS0_@rel32@lo+4
	s_addc_u32 s1, s1, _ZL14no_device_codePKciS0_iS0_@rel32@hi+12
	s_delay_alu instid0(SALU_CYCLE_1)
	s_swappc_b64 s[30:31], s[0:1]
	.section	.rodata,"a",@progbits
	.p2align	6, 0x0
	.amdhsa_kernel _ZL18flash_attn_ext_f16ILi96ELi96ELi2ELi8ELb1ELb0EEvPKcS1_S1_S1_S1_PKiPfP15HIP_vector_typeIfLj2EEffffjfiS5_IjLj3EEiiiiiiiiiiiliiliiiiil
		.amdhsa_group_segment_fixed_size 0
		.amdhsa_private_segment_fixed_size 16
		.amdhsa_kernarg_size 464
		.amdhsa_user_sgpr_count 15
		.amdhsa_user_sgpr_dispatch_ptr 0
		.amdhsa_user_sgpr_queue_ptr 0
		.amdhsa_user_sgpr_kernarg_segment_ptr 1
		.amdhsa_user_sgpr_dispatch_id 0
		.amdhsa_user_sgpr_private_segment_size 0
		.amdhsa_wavefront_size32 1
		.amdhsa_uses_dynamic_stack 0
		.amdhsa_enable_private_segment 1
		.amdhsa_system_sgpr_workgroup_id_x 1
		.amdhsa_system_sgpr_workgroup_id_y 0
		.amdhsa_system_sgpr_workgroup_id_z 0
		.amdhsa_system_sgpr_workgroup_info 0
		.amdhsa_system_vgpr_workitem_id 0
		.amdhsa_next_free_vgpr 37
		.amdhsa_next_free_sgpr 34
		.amdhsa_reserve_vcc 1
		.amdhsa_float_round_mode_32 0
		.amdhsa_float_round_mode_16_64 0
		.amdhsa_float_denorm_mode_32 3
		.amdhsa_float_denorm_mode_16_64 3
		.amdhsa_dx10_clamp 1
		.amdhsa_ieee_mode 1
		.amdhsa_fp16_overflow 0
		.amdhsa_workgroup_processor_mode 1
		.amdhsa_memory_ordered 1
		.amdhsa_forward_progress 0
		.amdhsa_shared_vgpr_count 0
		.amdhsa_exception_fp_ieee_invalid_op 0
		.amdhsa_exception_fp_denorm_src 0
		.amdhsa_exception_fp_ieee_div_zero 0
		.amdhsa_exception_fp_ieee_overflow 0
		.amdhsa_exception_fp_ieee_underflow 0
		.amdhsa_exception_fp_ieee_inexact 0
		.amdhsa_exception_int_div_zero 0
	.end_amdhsa_kernel
	.section	.text._ZL18flash_attn_ext_f16ILi96ELi96ELi2ELi8ELb1ELb0EEvPKcS1_S1_S1_S1_PKiPfP15HIP_vector_typeIfLj2EEffffjfiS5_IjLj3EEiiiiiiiiiiiliiliiiiil,"axG",@progbits,_ZL18flash_attn_ext_f16ILi96ELi96ELi2ELi8ELb1ELb0EEvPKcS1_S1_S1_S1_PKiPfP15HIP_vector_typeIfLj2EEffffjfiS5_IjLj3EEiiiiiiiiiiiliiliiiiil,comdat
.Lfunc_end15:
	.size	_ZL18flash_attn_ext_f16ILi96ELi96ELi2ELi8ELb1ELb0EEvPKcS1_S1_S1_S1_PKiPfP15HIP_vector_typeIfLj2EEffffjfiS5_IjLj3EEiiiiiiiiiiiliiliiiiil, .Lfunc_end15-_ZL18flash_attn_ext_f16ILi96ELi96ELi2ELi8ELb1ELb0EEvPKcS1_S1_S1_S1_PKiPfP15HIP_vector_typeIfLj2EEffffjfiS5_IjLj3EEiiiiiiiiiiiliiliiiiil
                                        ; -- End function
	.section	.AMDGPU.csdata,"",@progbits
; Kernel info:
; codeLenInByte = 52
; NumSgprs: 36
; NumVgprs: 37
; ScratchSize: 16
; MemoryBound: 0
; FloatMode: 240
; IeeeMode: 1
; LDSByteSize: 0 bytes/workgroup (compile time only)
; SGPRBlocks: 4
; VGPRBlocks: 4
; NumSGPRsForWavesPerEU: 36
; NumVGPRsForWavesPerEU: 37
; Occupancy: 16
; WaveLimiterHint : 1
; COMPUTE_PGM_RSRC2:SCRATCH_EN: 1
; COMPUTE_PGM_RSRC2:USER_SGPR: 15
; COMPUTE_PGM_RSRC2:TRAP_HANDLER: 0
; COMPUTE_PGM_RSRC2:TGID_X_EN: 1
; COMPUTE_PGM_RSRC2:TGID_Y_EN: 0
; COMPUTE_PGM_RSRC2:TGID_Z_EN: 0
; COMPUTE_PGM_RSRC2:TIDIG_COMP_CNT: 0
	.section	.text._ZL33flash_attn_stream_k_fixup_uniformILi96ELi2ELi8EEvPfPK15HIP_vector_typeIfLj2EEiiiiiiS1_IjLj3EES5_S5_,"axG",@progbits,_ZL33flash_attn_stream_k_fixup_uniformILi96ELi2ELi8EEvPfPK15HIP_vector_typeIfLj2EEiiiiiiS1_IjLj3EES5_S5_,comdat
	.globl	_ZL33flash_attn_stream_k_fixup_uniformILi96ELi2ELi8EEvPfPK15HIP_vector_typeIfLj2EEiiiiiiS1_IjLj3EES5_S5_ ; -- Begin function _ZL33flash_attn_stream_k_fixup_uniformILi96ELi2ELi8EEvPfPK15HIP_vector_typeIfLj2EEiiiiiiS1_IjLj3EES5_S5_
	.p2align	8
	.type	_ZL33flash_attn_stream_k_fixup_uniformILi96ELi2ELi8EEvPfPK15HIP_vector_typeIfLj2EEiiiiiiS1_IjLj3EES5_S5_,@function
_ZL33flash_attn_stream_k_fixup_uniformILi96ELi2ELi8EEvPfPK15HIP_vector_typeIfLj2EEiiiiiiS1_IjLj3EES5_S5_: ; @_ZL33flash_attn_stream_k_fixup_uniformILi96ELi2ELi8EEvPfPK15HIP_vector_typeIfLj2EEiiiiiiS1_IjLj3EES5_S5_
; %bb.0:
	s_clause 0x1
	s_load_b256 s[4:11], s[0:1], 0x1c
	s_load_b128 s[16:19], s[0:1], 0x3c
	s_waitcnt lgkmcnt(0)
	s_mul_hi_u32 s2, s7, s13
	s_delay_alu instid0(SALU_CYCLE_1) | instskip(NEXT) | instid1(SALU_CYCLE_1)
	s_add_i32 s2, s13, s2
	s_lshr_b32 s2, s2, s8
	s_delay_alu instid0(SALU_CYCLE_1) | instskip(SKIP_2) | instid1(SALU_CYCLE_1)
	s_mul_i32 s3, s2, s9
	s_load_b64 s[8:9], s[0:1], 0x10
	s_sub_i32 s3, s13, s3
	s_mul_hi_u32 s7, s3, s10
	s_delay_alu instid0(SALU_CYCLE_1) | instskip(NEXT) | instid1(SALU_CYCLE_1)
	s_add_i32 s7, s3, s7
	s_lshr_b32 s7, s7, s11
	s_delay_alu instid0(SALU_CYCLE_1) | instskip(NEXT) | instid1(SALU_CYCLE_1)
	s_mul_i32 s10, s7, s16
	s_sub_i32 s3, s3, s10
	s_delay_alu instid0(SALU_CYCLE_1) | instskip(NEXT) | instid1(SALU_CYCLE_1)
	s_mul_hi_u32 s10, s3, s17
	s_add_i32 s10, s3, s10
	s_delay_alu instid0(SALU_CYCLE_1) | instskip(NEXT) | instid1(SALU_CYCLE_1)
	s_lshr_b32 s11, s10, s18
	s_mul_i32 s10, s11, s19
	s_lshl_b32 s11, s11, 3
	s_sub_i32 s10, s3, s10
	s_delay_alu instid0(SALU_CYCLE_1) | instskip(NEXT) | instid1(SALU_CYCLE_1)
	s_lshl_b32 s3, s10, 1
	s_add_i32 s3, s3, s14
	s_waitcnt lgkmcnt(0)
	s_cmp_lt_i32 s3, s8
	s_cselect_b32 s3, -1, 0
	s_add_i32 s11, s11, s15
	s_delay_alu instid0(SALU_CYCLE_1) | instskip(SKIP_1) | instid1(SALU_CYCLE_1)
	s_cmp_lt_i32 s11, s5
	s_cselect_b32 s12, -1, 0
	s_and_b32 s3, s3, s12
	s_delay_alu instid0(SALU_CYCLE_1)
	s_and_not1_b32 vcc_lo, exec_lo, s3
	s_cbranch_vccnz .LBB16_6
; %bb.1:
	s_mul_i32 s8, s2, s8
	s_mul_i32 s7, s7, s5
	s_add_i32 s8, s8, s14
	s_add_i32 s5, s11, s7
	s_mul_i32 s8, s8, s9
	s_load_b128 s[0:3], s[0:1], 0x0
	s_mul_i32 s7, s9, s10
	s_add_i32 s5, s5, s8
	s_mulk_i32 s7, 0xc0
	s_mulk_i32 s5, 0x60
	s_lshl_b32 s9, s14, 3
	v_add3_u32 v1, s5, s7, v0
	s_mul_i32 s5, s13, s6
	s_delay_alu instid0(SALU_CYCLE_1) | instskip(NEXT) | instid1(VALU_DEP_1)
	s_add_i32 s10, s5, s6
	v_ashrrev_i32_e32 v2, 31, v1
	s_delay_alu instid0(VALU_DEP_1) | instskip(SKIP_1) | instid1(VALU_DEP_1)
	v_lshlrev_b64 v[1:2], 2, v[1:2]
	s_waitcnt lgkmcnt(0)
	v_add_co_u32 v1, vcc_lo, s0, v1
	s_delay_alu instid0(VALU_DEP_2) | instskip(SKIP_4) | instid1(SALU_CYCLE_1)
	v_add_co_ci_u32_e32 v2, vcc_lo, s1, v2, vcc_lo
	s_add_i32 s0, s9, s15
	s_lshl_b32 s1, s10, 4
	global_load_b32 v5, v[1:2], off
	s_add_i32 s0, s0, s1
	s_add_i32 s0, s0, -16
	s_delay_alu instid0(SALU_CYCLE_1) | instskip(NEXT) | instid1(SALU_CYCLE_1)
	s_ashr_i32 s1, s0, 31
	s_lshl_b64 s[0:1], s[0:1], 3
	s_delay_alu instid0(SALU_CYCLE_1)
	s_add_u32 s0, s2, s0
	s_addc_u32 s1, s3, s1
	s_add_i32 s7, s10, -2
	s_load_b32 s11, s[0:1], 0x4
	s_cmp_lt_i32 s7, s5
	s_cbranch_scc1 .LBB16_4
; %bb.2:
	s_load_b32 s12, s[0:1], 0x0
	s_lshl_b32 s16, s4, 6
	s_mulk_i32 s14, 0x300
	s_ashr_i32 s17, s16, 31
	s_waitcnt lgkmcnt(0)
	v_mov_b32_e32 v6, s11
	s_lshl_b64 s[0:1], s[16:17], 2
	s_delay_alu instid0(SALU_CYCLE_1)
	s_add_u32 s7, s2, s0
	s_addc_u32 s8, s3, s1
	s_add_i32 s13, s13, 1
	s_lshl_b32 s4, s4, 4
	s_mul_i32 s0, s6, s13
	s_mul_i32 s6, s15, 0x60
	s_lshl_b32 s1, s0, 4
	s_mulk_i32 s0, 0x600
	s_add_i32 s6, s6, s14
	s_add_i32 s1, s15, s1
	;; [unrolled: 1-line block ×4, first 2 shown]
	v_add3_u32 v3, s6, v0, 0xfffff400
	v_mov_b32_e32 v0, s12
	s_add_i32 s0, s0, s9
	s_add_i32 s4, s10, -1
	s_sub_i32 s0, s0, 32
.LBB16_3:                               ; =>This Inner Loop Header: Depth=1
	s_delay_alu instid0(VALU_DEP_2) | instskip(SKIP_1) | instid1(SALU_CYCLE_1)
	v_ashrrev_i32_e32 v4, 31, v3
	s_ashr_i32 s1, s0, 31
	s_lshl_b64 s[10:11], s[0:1], 3
	s_delay_alu instid0(SALU_CYCLE_1) | instskip(NEXT) | instid1(VALU_DEP_1)
	s_add_u32 s10, s2, s10
	v_lshlrev_b64 v[7:8], 2, v[3:4]
	s_addc_u32 s11, s3, s11
	s_add_i32 s4, s4, -1
	s_add_i32 s0, s0, -16
	s_cmp_le_i32 s4, s5
	s_load_b64 s[10:11], s[10:11], 0x0
	v_add_co_u32 v7, vcc_lo, s7, v7
	v_add_co_ci_u32_e32 v8, vcc_lo, s8, v8, vcc_lo
	global_load_b32 v4, v[7:8], off
	v_max_f32_e32 v7, v0, v0
	s_waitcnt lgkmcnt(0)
	v_max_f32_e64 v8, s10, s10
	s_delay_alu instid0(VALU_DEP_1) | instskip(NEXT) | instid1(VALU_DEP_1)
	v_max_f32_e32 v7, v7, v8
	v_sub_f32_e32 v8, s10, v7
	s_delay_alu instid0(VALU_DEP_1) | instskip(NEXT) | instid1(VALU_DEP_1)
	v_dual_sub_f32 v0, v0, v7 :: v_dual_mul_f32 v9, 0x3fb8aa3b, v8
	v_fma_f32 v10, 0x3fb8aa3b, v8, -v9
	v_rndne_f32_e32 v11, v9
	s_delay_alu instid0(VALU_DEP_3) | instskip(NEXT) | instid1(VALU_DEP_2)
	v_mul_f32_e32 v12, 0x3fb8aa3b, v0
	v_dual_fmac_f32 v10, 0x32a5705f, v8 :: v_dual_sub_f32 v9, v9, v11
	v_cvt_i32_f32_e32 v11, v11
	s_delay_alu instid0(VALU_DEP_3) | instskip(SKIP_1) | instid1(VALU_DEP_4)
	v_fma_f32 v13, 0x3fb8aa3b, v0, -v12
	v_rndne_f32_e32 v14, v12
	v_add_f32_e32 v9, v9, v10
	v_cmp_ngt_f32_e32 vcc_lo, 0xc2ce8ed0, v8
	s_delay_alu instid0(VALU_DEP_3) | instskip(NEXT) | instid1(VALU_DEP_3)
	v_sub_f32_e32 v10, v12, v14
	v_exp_f32_e32 v9, v9
	s_waitcnt_depctr 0xfff
	v_ldexp_f32 v9, v9, v11
	v_cvt_i32_f32_e32 v11, v14
	s_delay_alu instid0(VALU_DEP_2) | instskip(SKIP_1) | instid1(VALU_DEP_2)
	v_cndmask_b32_e32 v9, 0, v9, vcc_lo
	v_cmp_nlt_f32_e32 vcc_lo, 0x42b17218, v8
	v_cndmask_b32_e32 v9, 0x7f800000, v9, vcc_lo
	v_cmp_ngt_f32_e32 vcc_lo, 0xc2ce8ed0, v0
	v_fmac_f32_e32 v13, 0x32a5705f, v0
	s_delay_alu instid0(VALU_DEP_1) | instskip(NEXT) | instid1(VALU_DEP_1)
	v_add_f32_e32 v10, v10, v13
	v_exp_f32_e32 v10, v10
	s_waitcnt_depctr 0xfff
	v_ldexp_f32 v10, v10, v11
	s_delay_alu instid0(VALU_DEP_1)
	v_dual_mov_b32 v11, v6 :: v_dual_cndmask_b32 v10, 0, v10
	v_cmp_le_f32_e32 vcc_lo, 0xc1a00000, v8
	s_waitcnt vmcnt(1)
	v_dual_cndmask_b32 v8, 0, v9 :: v_dual_mov_b32 v9, v5
	v_cmp_nlt_f32_e32 vcc_lo, 0x42b17218, v0
	v_cndmask_b32_e32 v5, 0x7f800000, v10, vcc_lo
	s_delay_alu instid0(VALU_DEP_3) | instskip(SKIP_2) | instid1(VALU_DEP_3)
	v_mul_f32_e32 v10, s11, v8
	v_cmp_le_f32_e32 vcc_lo, 0xc1a00000, v0
	v_mov_b32_e32 v0, v7
	v_mov_b32_e32 v6, v10
	s_waitcnt vmcnt(0)
	v_dual_cndmask_b32 v12, 0, v5 :: v_dual_mul_f32 v5, v4, v8
	s_delay_alu instid0(VALU_DEP_1) | instskip(NEXT) | instid1(VALU_DEP_2)
	v_dual_fmac_f32 v6, v11, v12 :: v_dual_add_nc_u32 v3, 0xfffffa00, v3
	v_fmac_f32_e32 v5, v9, v12
	s_cbranch_scc0 .LBB16_3
	s_branch .LBB16_5
.LBB16_4:
	s_waitcnt lgkmcnt(0)
	v_mov_b32_e32 v6, s11
.LBB16_5:
	s_waitcnt vmcnt(0)
	s_delay_alu instid0(VALU_DEP_1) | instskip(NEXT) | instid1(VALU_DEP_1)
	v_div_scale_f32 v0, null, v6, v6, v5
	v_rcp_f32_e32 v3, v0
	s_waitcnt_depctr 0xfff
	v_fma_f32 v4, -v0, v3, 1.0
	s_delay_alu instid0(VALU_DEP_1) | instskip(SKIP_1) | instid1(VALU_DEP_1)
	v_fmac_f32_e32 v3, v4, v3
	v_div_scale_f32 v4, vcc_lo, v5, v6, v5
	v_mul_f32_e32 v7, v4, v3
	s_delay_alu instid0(VALU_DEP_1) | instskip(NEXT) | instid1(VALU_DEP_1)
	v_fma_f32 v8, -v0, v7, v4
	v_fmac_f32_e32 v7, v8, v3
	s_delay_alu instid0(VALU_DEP_1) | instskip(NEXT) | instid1(VALU_DEP_1)
	v_fma_f32 v0, -v0, v7, v4
	v_div_fmas_f32 v0, v0, v3, v7
	s_delay_alu instid0(VALU_DEP_1)
	v_div_fixup_f32 v0, v0, v6, v5
	global_store_b32 v[1:2], v0, off
.LBB16_6:
	s_nop 0
	s_sendmsg sendmsg(MSG_DEALLOC_VGPRS)
	s_endpgm
	.section	.rodata,"a",@progbits
	.p2align	6, 0x0
	.amdhsa_kernel _ZL33flash_attn_stream_k_fixup_uniformILi96ELi2ELi8EEvPfPK15HIP_vector_typeIfLj2EEiiiiiiS1_IjLj3EES5_S5_
		.amdhsa_group_segment_fixed_size 0
		.amdhsa_private_segment_fixed_size 0
		.amdhsa_kernarg_size 76
		.amdhsa_user_sgpr_count 13
		.amdhsa_user_sgpr_dispatch_ptr 0
		.amdhsa_user_sgpr_queue_ptr 0
		.amdhsa_user_sgpr_kernarg_segment_ptr 1
		.amdhsa_user_sgpr_dispatch_id 0
		.amdhsa_user_sgpr_private_segment_size 0
		.amdhsa_wavefront_size32 1
		.amdhsa_uses_dynamic_stack 0
		.amdhsa_enable_private_segment 0
		.amdhsa_system_sgpr_workgroup_id_x 1
		.amdhsa_system_sgpr_workgroup_id_y 1
		.amdhsa_system_sgpr_workgroup_id_z 1
		.amdhsa_system_sgpr_workgroup_info 0
		.amdhsa_system_vgpr_workitem_id 0
		.amdhsa_next_free_vgpr 15
		.amdhsa_next_free_sgpr 20
		.amdhsa_reserve_vcc 1
		.amdhsa_float_round_mode_32 0
		.amdhsa_float_round_mode_16_64 0
		.amdhsa_float_denorm_mode_32 3
		.amdhsa_float_denorm_mode_16_64 3
		.amdhsa_dx10_clamp 1
		.amdhsa_ieee_mode 1
		.amdhsa_fp16_overflow 0
		.amdhsa_workgroup_processor_mode 1
		.amdhsa_memory_ordered 1
		.amdhsa_forward_progress 0
		.amdhsa_shared_vgpr_count 0
		.amdhsa_exception_fp_ieee_invalid_op 0
		.amdhsa_exception_fp_denorm_src 0
		.amdhsa_exception_fp_ieee_div_zero 0
		.amdhsa_exception_fp_ieee_overflow 0
		.amdhsa_exception_fp_ieee_underflow 0
		.amdhsa_exception_fp_ieee_inexact 0
		.amdhsa_exception_int_div_zero 0
	.end_amdhsa_kernel
	.section	.text._ZL33flash_attn_stream_k_fixup_uniformILi96ELi2ELi8EEvPfPK15HIP_vector_typeIfLj2EEiiiiiiS1_IjLj3EES5_S5_,"axG",@progbits,_ZL33flash_attn_stream_k_fixup_uniformILi96ELi2ELi8EEvPfPK15HIP_vector_typeIfLj2EEiiiiiiS1_IjLj3EES5_S5_,comdat
.Lfunc_end16:
	.size	_ZL33flash_attn_stream_k_fixup_uniformILi96ELi2ELi8EEvPfPK15HIP_vector_typeIfLj2EEiiiiiiS1_IjLj3EES5_S5_, .Lfunc_end16-_ZL33flash_attn_stream_k_fixup_uniformILi96ELi2ELi8EEvPfPK15HIP_vector_typeIfLj2EEiiiiiiS1_IjLj3EES5_S5_
                                        ; -- End function
	.section	.AMDGPU.csdata,"",@progbits
; Kernel info:
; codeLenInByte = 992
; NumSgprs: 22
; NumVgprs: 15
; ScratchSize: 0
; MemoryBound: 0
; FloatMode: 240
; IeeeMode: 1
; LDSByteSize: 0 bytes/workgroup (compile time only)
; SGPRBlocks: 2
; VGPRBlocks: 1
; NumSGPRsForWavesPerEU: 22
; NumVGPRsForWavesPerEU: 15
; Occupancy: 16
; WaveLimiterHint : 0
; COMPUTE_PGM_RSRC2:SCRATCH_EN: 0
; COMPUTE_PGM_RSRC2:USER_SGPR: 13
; COMPUTE_PGM_RSRC2:TRAP_HANDLER: 0
; COMPUTE_PGM_RSRC2:TGID_X_EN: 1
; COMPUTE_PGM_RSRC2:TGID_Y_EN: 1
; COMPUTE_PGM_RSRC2:TGID_Z_EN: 1
; COMPUTE_PGM_RSRC2:TIDIG_COMP_CNT: 0
	.section	.text._ZL33flash_attn_stream_k_fixup_generalILi96ELi2ELi8EEvPfPK15HIP_vector_typeIfLj2EEiiiiS1_IjLj3EES5_S5_S5_,"axG",@progbits,_ZL33flash_attn_stream_k_fixup_generalILi96ELi2ELi8EEvPfPK15HIP_vector_typeIfLj2EEiiiiS1_IjLj3EES5_S5_S5_,comdat
	.globl	_ZL33flash_attn_stream_k_fixup_generalILi96ELi2ELi8EEvPfPK15HIP_vector_typeIfLj2EEiiiiS1_IjLj3EES5_S5_S5_ ; -- Begin function _ZL33flash_attn_stream_k_fixup_generalILi96ELi2ELi8EEvPfPK15HIP_vector_typeIfLj2EEiiiiS1_IjLj3EES5_S5_S5_
	.p2align	8
	.type	_ZL33flash_attn_stream_k_fixup_generalILi96ELi2ELi8EEvPfPK15HIP_vector_typeIfLj2EEiiiiS1_IjLj3EES5_S5_S5_,@function
_ZL33flash_attn_stream_k_fixup_generalILi96ELi2ELi8EEvPfPK15HIP_vector_typeIfLj2EEiiiiS1_IjLj3EES5_S5_S5_: ; @_ZL33flash_attn_stream_k_fixup_generalILi96ELi2ELi8EEvPfPK15HIP_vector_typeIfLj2EEiiiiS1_IjLj3EES5_S5_S5_
; %bb.0:
	s_clause 0x1
	s_load_b128 s[4:7], s[0:1], 0x10
	s_load_b32 s20, s[0:1], 0x50
	s_mov_b32 s2, 0
	s_waitcnt lgkmcnt(0)
	s_mul_hi_i32 s3, s7, s13
	s_mul_i32 s12, s7, s13
	s_cmp_lg_u64 s[2:3], 0
	s_cbranch_scc0 .LBB17_21
; %bb.1:
	v_cvt_f32_ubyte0_e32 v1, 0
	v_cvt_f32_u32_e32 v2, s20
	s_sub_u32 s10, 0, s20
	s_subb_u32 s11, 0, 0
	s_delay_alu instid0(VALU_DEP_1) | instskip(NEXT) | instid1(VALU_DEP_1)
	v_fmamk_f32 v1, v1, 0x4f800000, v2
	v_rcp_f32_e32 v1, v1
	s_waitcnt_depctr 0xfff
	v_mul_f32_e32 v1, 0x5f7ffffc, v1
	s_delay_alu instid0(VALU_DEP_1) | instskip(NEXT) | instid1(VALU_DEP_1)
	v_mul_f32_e32 v2, 0x2f800000, v1
	v_trunc_f32_e32 v2, v2
	s_delay_alu instid0(VALU_DEP_1) | instskip(SKIP_1) | instid1(VALU_DEP_2)
	v_fmamk_f32 v1, v2, 0xcf800000, v1
	v_cvt_u32_f32_e32 v2, v2
	v_cvt_u32_f32_e32 v1, v1
	s_delay_alu instid0(VALU_DEP_2) | instskip(NEXT) | instid1(VALU_DEP_2)
	v_readfirstlane_b32 s8, v2
	v_readfirstlane_b32 s9, v1
	s_delay_alu instid0(VALU_DEP_2) | instskip(NEXT) | instid1(VALU_DEP_1)
	s_mul_i32 s16, s10, s8
	s_mul_hi_u32 s18, s10, s9
	s_mul_i32 s17, s11, s9
	s_add_i32 s16, s18, s16
	s_mul_i32 s19, s10, s9
	s_add_i32 s16, s16, s17
	s_mul_hi_u32 s18, s9, s19
	s_mul_hi_u32 s21, s8, s19
	s_mul_i32 s17, s8, s19
	s_mul_hi_u32 s19, s9, s16
	s_mul_i32 s9, s9, s16
	s_mul_hi_u32 s22, s8, s16
	s_add_u32 s9, s18, s9
	s_addc_u32 s18, 0, s19
	s_add_u32 s9, s9, s17
	s_mul_i32 s16, s8, s16
	s_addc_u32 s9, s18, s21
	s_addc_u32 s17, s22, 0
	s_add_u32 s9, s9, s16
	s_addc_u32 s16, 0, s17
	v_add_co_u32 v1, s9, v1, s9
	s_delay_alu instid0(VALU_DEP_1) | instskip(SKIP_1) | instid1(VALU_DEP_1)
	s_cmp_lg_u32 s9, 0
	s_addc_u32 s8, s8, s16
	v_readfirstlane_b32 s9, v1
	s_mul_i32 s16, s10, s8
	s_delay_alu instid0(VALU_DEP_1)
	s_mul_hi_u32 s17, s10, s9
	s_mul_i32 s11, s11, s9
	s_add_i32 s16, s17, s16
	s_mul_i32 s10, s10, s9
	s_add_i32 s16, s16, s11
	s_mul_hi_u32 s17, s8, s10
	s_mul_i32 s18, s8, s10
	s_mul_hi_u32 s10, s9, s10
	s_mul_hi_u32 s19, s9, s16
	s_mul_i32 s9, s9, s16
	s_mul_hi_u32 s11, s8, s16
	s_add_u32 s9, s10, s9
	s_addc_u32 s10, 0, s19
	s_add_u32 s9, s9, s18
	s_mul_i32 s16, s8, s16
	s_addc_u32 s9, s10, s17
	s_addc_u32 s10, s11, 0
	s_add_u32 s9, s9, s16
	s_addc_u32 s10, 0, s10
	v_add_co_u32 v1, s9, v1, s9
	s_delay_alu instid0(VALU_DEP_1) | instskip(SKIP_2) | instid1(SALU_CYCLE_1)
	s_cmp_lg_u32 s9, 0
	s_addc_u32 s16, s8, s10
	s_ashr_i32 s8, s3, 31
	s_add_u32 s10, s12, s8
	s_addc_u32 s11, s3, s8
	v_readfirstlane_b32 s3, v1
	s_mov_b32 s9, s8
	s_delay_alu instid0(SALU_CYCLE_1) | instskip(NEXT) | instid1(SALU_CYCLE_1)
	s_xor_b64 s[10:11], s[10:11], s[8:9]
	s_mul_i32 s18, s10, s16
	s_delay_alu instid0(VALU_DEP_1)
	s_mul_hi_u32 s19, s10, s3
	s_mul_hi_u32 s17, s10, s16
	;; [unrolled: 1-line block ×3, first 2 shown]
	s_mul_i32 s3, s11, s3
	s_add_u32 s18, s19, s18
	s_addc_u32 s17, 0, s17
	s_mul_hi_u32 s21, s11, s16
	s_add_u32 s3, s18, s3
	s_mul_i32 s16, s11, s16
	s_addc_u32 s3, s17, s22
	s_addc_u32 s17, s21, 0
	s_add_u32 s3, s3, s16
	s_addc_u32 s16, 0, s17
	s_mul_i32 s18, s20, s3
	s_add_u32 s17, s3, 1
	v_sub_co_u32 v1, s10, s10, s18
	s_mul_hi_u32 s18, s20, s3
	s_addc_u32 s19, s16, 0
	s_mul_i32 s21, s20, s16
	s_delay_alu instid0(VALU_DEP_1)
	v_sub_co_u32 v2, s22, v1, s20
	s_add_u32 s23, s3, 2
	s_addc_u32 s24, s16, 0
	s_add_i32 s18, s18, s21
	s_cmp_lg_u32 s10, 0
	v_readfirstlane_b32 s10, v2
	s_subb_u32 s11, s11, s18
	s_cmp_lg_u32 s22, 0
	s_subb_u32 s18, s11, 0
	s_delay_alu instid0(VALU_DEP_1) | instskip(SKIP_4) | instid1(SALU_CYCLE_1)
	s_cmp_ge_u32 s10, s20
	s_cselect_b32 s10, -1, 0
	s_cmp_eq_u32 s18, 0
	v_readfirstlane_b32 s18, v1
	s_cselect_b32 s10, s10, -1
	s_cmp_lg_u32 s10, 0
	s_cselect_b32 s10, s23, s17
	s_cselect_b32 s17, s24, s19
	s_cmp_ge_u32 s18, s20
	s_cselect_b32 s18, -1, 0
	s_cmp_eq_u32 s11, 0
	s_cselect_b32 s11, s18, -1
	s_delay_alu instid0(SALU_CYCLE_1) | instskip(SKIP_2) | instid1(SALU_CYCLE_1)
	s_cmp_lg_u32 s11, 0
	s_cselect_b32 s11, s17, s16
	s_cselect_b32 s10, s10, s3
	s_xor_b64 s[10:11], s[10:11], s[8:9]
	s_delay_alu instid0(SALU_CYCLE_1)
	s_sub_u32 s16, s10, s8
	s_load_b128 s[8:11], s[0:1], 0x44
	s_and_not1_b32 vcc_lo, exec_lo, s2
	s_cbranch_vccnz .LBB17_3
.LBB17_2:
	v_cvt_f32_u32_e32 v1, s20
	s_sub_i32 s3, 0, s20
	s_delay_alu instid0(VALU_DEP_1) | instskip(SKIP_2) | instid1(VALU_DEP_1)
	v_rcp_iflag_f32_e32 v1, v1
	s_waitcnt_depctr 0xfff
	v_mul_f32_e32 v1, 0x4f7ffffe, v1
	v_cvt_u32_f32_e32 v1, v1
	s_delay_alu instid0(VALU_DEP_1) | instskip(NEXT) | instid1(VALU_DEP_1)
	v_readfirstlane_b32 s2, v1
	s_mul_i32 s3, s3, s2
	s_delay_alu instid0(SALU_CYCLE_1) | instskip(NEXT) | instid1(SALU_CYCLE_1)
	s_mul_hi_u32 s3, s2, s3
	s_add_i32 s2, s2, s3
	s_delay_alu instid0(SALU_CYCLE_1) | instskip(NEXT) | instid1(SALU_CYCLE_1)
	s_mul_hi_u32 s2, s12, s2
	s_mul_i32 s3, s2, s20
	s_waitcnt lgkmcnt(0)
	s_add_i32 s11, s2, 1
	s_sub_i32 s3, s12, s3
	s_delay_alu instid0(SALU_CYCLE_1)
	s_sub_i32 s12, s3, s20
	s_cmp_ge_u32 s3, s20
	s_cselect_b32 s2, s11, s2
	s_cselect_b32 s3, s12, s3
	s_add_i32 s11, s2, 1
	s_cmp_ge_u32 s3, s20
	s_cselect_b32 s16, s11, s2
.LBB17_3:
	s_waitcnt lgkmcnt(0)
	s_add_i32 s11, s13, 1
	s_mov_b32 s2, 0
	s_mul_hi_i32 s3, s7, s11
	s_mul_i32 s11, s7, s11
	s_cmp_lg_u64 s[2:3], 0
	s_cbranch_scc0 .LBB17_22
; %bb.4:
	v_cvt_f32_ubyte0_e32 v1, 0
	v_cvt_f32_u32_e32 v2, s20
	s_sub_u32 s18, 0, s20
	s_subb_u32 s19, 0, 0
	s_delay_alu instid0(VALU_DEP_1) | instskip(NEXT) | instid1(VALU_DEP_1)
	v_fmamk_f32 v1, v1, 0x4f800000, v2
	v_rcp_f32_e32 v1, v1
	s_waitcnt_depctr 0xfff
	v_mul_f32_e32 v1, 0x5f7ffffc, v1
	s_delay_alu instid0(VALU_DEP_1) | instskip(NEXT) | instid1(VALU_DEP_1)
	v_mul_f32_e32 v2, 0x2f800000, v1
	v_trunc_f32_e32 v2, v2
	s_delay_alu instid0(VALU_DEP_1) | instskip(SKIP_1) | instid1(VALU_DEP_2)
	v_fmamk_f32 v1, v2, 0xcf800000, v1
	v_cvt_u32_f32_e32 v2, v2
	v_cvt_u32_f32_e32 v1, v1
	s_delay_alu instid0(VALU_DEP_2) | instskip(NEXT) | instid1(VALU_DEP_2)
	v_readfirstlane_b32 s12, v2
	v_readfirstlane_b32 s17, v1
	s_delay_alu instid0(VALU_DEP_2) | instskip(NEXT) | instid1(VALU_DEP_1)
	s_mul_i32 s21, s18, s12
	s_mul_hi_u32 s23, s18, s17
	s_mul_i32 s22, s19, s17
	s_add_i32 s21, s23, s21
	s_mul_i32 s24, s18, s17
	s_add_i32 s21, s21, s22
	s_mul_hi_u32 s23, s17, s24
	s_mul_hi_u32 s25, s12, s24
	s_mul_i32 s22, s12, s24
	s_mul_hi_u32 s24, s17, s21
	s_mul_i32 s17, s17, s21
	s_mul_hi_u32 s26, s12, s21
	s_add_u32 s17, s23, s17
	s_addc_u32 s23, 0, s24
	s_add_u32 s17, s17, s22
	s_mul_i32 s21, s12, s21
	s_addc_u32 s17, s23, s25
	s_addc_u32 s22, s26, 0
	s_add_u32 s17, s17, s21
	s_addc_u32 s21, 0, s22
	v_add_co_u32 v1, s17, v1, s17
	s_delay_alu instid0(VALU_DEP_1) | instskip(SKIP_1) | instid1(VALU_DEP_1)
	s_cmp_lg_u32 s17, 0
	s_addc_u32 s12, s12, s21
	v_readfirstlane_b32 s17, v1
	s_mul_i32 s21, s18, s12
	s_delay_alu instid0(VALU_DEP_1)
	s_mul_hi_u32 s22, s18, s17
	s_mul_i32 s19, s19, s17
	s_add_i32 s21, s22, s21
	s_mul_i32 s18, s18, s17
	s_add_i32 s21, s21, s19
	s_mul_hi_u32 s22, s12, s18
	s_mul_i32 s23, s12, s18
	s_mul_hi_u32 s18, s17, s18
	s_mul_hi_u32 s24, s17, s21
	s_mul_i32 s17, s17, s21
	s_mul_hi_u32 s19, s12, s21
	s_add_u32 s17, s18, s17
	s_addc_u32 s18, 0, s24
	s_add_u32 s17, s17, s23
	s_mul_i32 s21, s12, s21
	s_addc_u32 s17, s18, s22
	s_addc_u32 s18, s19, 0
	s_add_u32 s17, s17, s21
	s_addc_u32 s18, 0, s18
	v_add_co_u32 v1, s17, v1, s17
	s_delay_alu instid0(VALU_DEP_1) | instskip(SKIP_2) | instid1(SALU_CYCLE_1)
	s_cmp_lg_u32 s17, 0
	s_addc_u32 s12, s12, s18
	s_ashr_i32 s18, s3, 31
	s_add_u32 s22, s11, s18
	s_addc_u32 s23, s3, s18
	v_readfirstlane_b32 s3, v1
	s_mov_b32 s19, s18
	s_delay_alu instid0(SALU_CYCLE_1) | instskip(NEXT) | instid1(SALU_CYCLE_1)
	s_xor_b64 s[22:23], s[22:23], s[18:19]
	s_mul_i32 s21, s22, s12
	s_delay_alu instid0(VALU_DEP_1)
	s_mul_hi_u32 s24, s22, s3
	s_mul_hi_u32 s17, s22, s12
	;; [unrolled: 1-line block ×3, first 2 shown]
	s_mul_i32 s3, s23, s3
	s_add_u32 s21, s24, s21
	s_addc_u32 s17, 0, s17
	s_mul_hi_u32 s25, s23, s12
	s_add_u32 s3, s21, s3
	s_mul_i32 s12, s23, s12
	s_addc_u32 s3, s17, s26
	s_addc_u32 s17, s25, 0
	s_add_u32 s3, s3, s12
	s_addc_u32 s12, 0, s17
	s_mul_i32 s21, s20, s3
	s_add_u32 s17, s3, 1
	v_sub_co_u32 v1, s21, s22, s21
	s_mul_hi_u32 s22, s20, s3
	s_addc_u32 s24, s12, 0
	s_mul_i32 s25, s20, s12
	s_delay_alu instid0(VALU_DEP_1)
	v_sub_co_u32 v2, s26, v1, s20
	s_add_u32 s27, s3, 2
	s_addc_u32 s28, s12, 0
	s_add_i32 s22, s22, s25
	s_cmp_lg_u32 s21, 0
	v_readfirstlane_b32 s21, v2
	s_subb_u32 s22, s23, s22
	s_cmp_lg_u32 s26, 0
	s_subb_u32 s23, s22, 0
	s_delay_alu instid0(VALU_DEP_1) | instskip(SKIP_4) | instid1(SALU_CYCLE_1)
	s_cmp_ge_u32 s21, s20
	s_cselect_b32 s21, -1, 0
	s_cmp_eq_u32 s23, 0
	v_readfirstlane_b32 s23, v1
	s_cselect_b32 s21, s21, -1
	s_cmp_lg_u32 s21, 0
	s_cselect_b32 s17, s27, s17
	s_cselect_b32 s21, s28, s24
	s_cmp_ge_u32 s23, s20
	s_cselect_b32 s23, -1, 0
	s_cmp_eq_u32 s22, 0
	s_cselect_b32 s22, s23, -1
	s_delay_alu instid0(SALU_CYCLE_1) | instskip(SKIP_2) | instid1(SALU_CYCLE_1)
	s_cmp_lg_u32 s22, 0
	s_cselect_b32 s23, s21, s12
	s_cselect_b32 s22, s17, s3
	s_xor_b64 s[22:23], s[22:23], s[18:19]
	s_delay_alu instid0(SALU_CYCLE_1)
	s_sub_u32 s18, s22, s18
	s_and_not1_b32 vcc_lo, exec_lo, s2
	s_cbranch_vccnz .LBB17_6
.LBB17_5:
	v_cvt_f32_u32_e32 v1, s20
	s_sub_i32 s3, 0, s20
	s_delay_alu instid0(VALU_DEP_1) | instskip(SKIP_2) | instid1(VALU_DEP_1)
	v_rcp_iflag_f32_e32 v1, v1
	s_waitcnt_depctr 0xfff
	v_mul_f32_e32 v1, 0x4f7ffffe, v1
	v_cvt_u32_f32_e32 v1, v1
	s_delay_alu instid0(VALU_DEP_1) | instskip(NEXT) | instid1(VALU_DEP_1)
	v_readfirstlane_b32 s2, v1
	s_mul_i32 s3, s3, s2
	s_delay_alu instid0(SALU_CYCLE_1) | instskip(NEXT) | instid1(SALU_CYCLE_1)
	s_mul_hi_u32 s3, s2, s3
	s_add_i32 s2, s2, s3
	s_delay_alu instid0(SALU_CYCLE_1) | instskip(NEXT) | instid1(SALU_CYCLE_1)
	s_mul_hi_u32 s2, s11, s2
	s_mul_i32 s3, s2, s20
	s_delay_alu instid0(SALU_CYCLE_1)
	s_sub_i32 s3, s11, s3
	s_add_i32 s11, s2, 1
	s_sub_i32 s12, s3, s20
	s_cmp_ge_u32 s3, s20
	s_cselect_b32 s2, s11, s2
	s_cselect_b32 s3, s12, s3
	s_add_i32 s11, s2, 1
	s_cmp_ge_u32 s3, s20
	s_cselect_b32 s18, s11, s2
.LBB17_6:
	s_delay_alu instid0(SALU_CYCLE_1) | instskip(SKIP_3) | instid1(SALU_CYCLE_1)
	s_cmp_eq_u32 s16, s18
	s_mul_hi_u32 s2, s16, s8
	s_cselect_b32 s3, -1, 0
	s_add_i32 s2, s2, s16
	s_lshr_b32 s11, s2, s9
	s_delay_alu instid0(SALU_CYCLE_1) | instskip(NEXT) | instid1(SALU_CYCLE_1)
	s_mul_i32 s2, s11, s10
	s_cmp_eq_u32 s2, s16
	s_mul_hi_u32 s2, s18, s8
	s_cselect_b32 s12, -1, 0
	s_add_i32 s2, s2, s18
	s_delay_alu instid0(SALU_CYCLE_1) | instskip(NEXT) | instid1(SALU_CYCLE_1)
	s_lshr_b32 s2, s2, s9
	s_cmp_eq_u32 s11, s2
	s_mul_i32 s2, s2, s10
	s_cselect_b32 s17, -1, 0
	s_cmp_lg_u32 s2, s18
	s_cselect_b32 s2, -1, 0
	s_or_b32 s3, s3, s12
	s_and_b32 s2, s17, s2
	s_delay_alu instid0(SALU_CYCLE_1) | instskip(NEXT) | instid1(SALU_CYCLE_1)
	s_or_b32 s2, s3, s2
	s_and_b32 vcc_lo, exec_lo, s2
	s_cbranch_vccnz .LBB17_24
; %bb.7:
	s_load_b256 s[24:31], s[0:1], 0x20
	s_waitcnt lgkmcnt(0)
	s_mul_hi_u32 s2, s16, s24
	s_delay_alu instid0(SALU_CYCLE_1) | instskip(NEXT) | instid1(SALU_CYCLE_1)
	s_add_i32 s2, s2, s16
	s_lshr_b32 s17, s2, s25
	s_load_b32 s2, s[0:1], 0x40
	s_mul_i32 s3, s17, s26
	s_delay_alu instid0(SALU_CYCLE_1) | instskip(NEXT) | instid1(SALU_CYCLE_1)
	s_sub_i32 s3, s16, s3
	s_mul_hi_u32 s12, s3, s27
	s_delay_alu instid0(SALU_CYCLE_1) | instskip(NEXT) | instid1(SALU_CYCLE_1)
	s_add_i32 s12, s3, s12
	s_lshr_b32 s19, s12, s28
	s_delay_alu instid0(SALU_CYCLE_1) | instskip(NEXT) | instid1(SALU_CYCLE_1)
	s_mul_i32 s12, s19, s29
	s_sub_i32 s3, s3, s12
	s_delay_alu instid0(SALU_CYCLE_1) | instskip(NEXT) | instid1(SALU_CYCLE_1)
	s_mul_hi_u32 s12, s3, s30
	s_add_i32 s12, s3, s12
	s_delay_alu instid0(SALU_CYCLE_1)
	s_lshr_b32 s12, s12, s31
	s_waitcnt lgkmcnt(0)
	s_mul_i32 s2, s12, s2
	s_lshl_b32 s21, s12, 3
	s_sub_i32 s2, s3, s2
	s_mov_b32 s12, 0
	s_mul_hi_u32 s3, s2, s8
	s_delay_alu instid0(SALU_CYCLE_1) | instskip(NEXT) | instid1(SALU_CYCLE_1)
	s_add_i32 s2, s2, s3
	s_lshr_b32 s18, s2, s9
	s_delay_alu instid0(SALU_CYCLE_1) | instskip(NEXT) | instid1(SALU_CYCLE_1)
	s_lshl_b32 s2, s18, 1
	s_add_i32 s2, s2, s14
	s_delay_alu instid0(SALU_CYCLE_1) | instskip(SKIP_2) | instid1(SALU_CYCLE_1)
	s_cmp_lt_i32 s2, s4
	s_cselect_b32 s2, -1, 0
	s_add_i32 s21, s21, s15
	s_cmp_lt_i32 s21, s6
	s_cselect_b32 s3, -1, 0
	s_delay_alu instid0(SALU_CYCLE_1) | instskip(NEXT) | instid1(SALU_CYCLE_1)
	s_and_b32 s2, s2, s3
	s_and_not1_b32 vcc_lo, exec_lo, s2
	s_cbranch_vccnz .LBB17_24
; %bb.8:
	s_load_b128 s[0:3], s[0:1], 0x0
	s_lshl_b32 s22, s20, 6
	s_mov_b32 s23, s12
	s_lshl_b32 s24, s14, 3
	s_lshl_b64 s[22:23], s[22:23], 2
	s_mul_i32 s19, s19, s6
	s_mul_i32 s4, s17, s4
	s_add_i32 s6, s24, s15
	v_cvt_f32_ubyte0_e32 v3, 0
	v_cvt_f32_u32_e32 v4, s20
	s_waitcnt lgkmcnt(0)
	s_add_u32 s15, s2, s22
	s_addc_u32 s17, s3, s23
	s_add_i32 s4, s4, s14
	s_add_i32 s14, s21, s19
	s_mul_i32 s4, s4, s5
	s_mul_i32 s5, s5, s18
	s_add_i32 s4, s14, s4
	s_mulk_i32 s5, 0xc0
	s_mulk_i32 s4, 0x60
	s_delay_alu instid0(SALU_CYCLE_1) | instskip(NEXT) | instid1(VALU_DEP_1)
	v_add3_u32 v1, s5, s4, v0
	v_ashrrev_i32_e32 v2, 31, v1
	s_delay_alu instid0(VALU_DEP_1) | instskip(NEXT) | instid1(VALU_DEP_1)
	v_lshlrev_b64 v[1:2], 2, v[1:2]
	v_add_co_u32 v1, vcc_lo, s0, v1
	s_delay_alu instid0(VALU_DEP_2) | instskip(SKIP_1) | instid1(SALU_CYCLE_1)
	v_add_co_ci_u32_e32 v2, vcc_lo, s1, v2, vcc_lo
	s_lshl_b32 s0, s13, 4
	s_add_i32 s0, s6, s0
	global_load_b32 v5, v[1:2], off
	s_ashr_i32 s1, s0, 31
	s_delay_alu instid0(SALU_CYCLE_1) | instskip(NEXT) | instid1(SALU_CYCLE_1)
	s_lshl_b64 s[0:1], s[0:1], 3
	s_add_u32 s0, s2, s0
	s_addc_u32 s1, s3, s1
	s_add_i32 s18, s13, -1
	s_load_b64 s[0:1], s[0:1], 0x0
	v_fmac_f32_e32 v4, 0x4f800000, v3
	s_sub_i32 s14, 0, s20
	s_delay_alu instid0(VALU_DEP_1)
	v_rcp_f32_e32 v3, v4
	s_waitcnt_depctr 0xfff
	v_mul_f32_e32 v6, 0x5f7ffffc, v3
	v_cvt_f32_u32_e32 v3, s20
	s_waitcnt lgkmcnt(0)
	v_mov_b32_e32 v8, s0
	s_delay_alu instid0(VALU_DEP_3) | instskip(NEXT) | instid1(VALU_DEP_3)
	v_mul_f32_e32 v4, 0x2f800000, v6
	v_rcp_iflag_f32_e32 v7, v3
	s_delay_alu instid0(VALU_DEP_1) | instskip(SKIP_1) | instid1(VALU_DEP_2)
	v_trunc_f32_e32 v9, v4
	v_mad_u64_u32 v[3:4], null, 0x60, s6, v[0:1]
	v_fmac_f32_e32 v6, 0xcf800000, v9
	s_waitcnt_depctr 0xfff
	v_dual_mul_f32 v10, 0x4f7ffffe, v7 :: v_dual_mov_b32 v7, s1
	v_cvt_u32_f32_e32 v4, v9
	v_cvt_u32_f32_e32 v0, v6
	s_delay_alu instid0(VALU_DEP_3)
	v_cvt_u32_f32_e32 v6, v10
.LBB17_9:                               ; =>This Inner Loop Header: Depth=1
	s_mul_hi_i32 s13, s18, s7
	s_mul_i32 s4, s18, s7
	s_cmp_lg_u64 s[12:13], 0
	s_mov_b32 s5, -1
                                        ; implicit-def: $sgpr0_sgpr1
	s_cbranch_scc0 .LBB17_11
; %bb.10:                               ;   in Loop: Header=BB17_9 Depth=1
	v_readfirstlane_b32 s0, v0
	v_readfirstlane_b32 s1, v4
	s_sub_u32 s5, 0, s20
	s_subb_u32 s19, 0, 0
	s_delay_alu instid0(VALU_DEP_2) | instskip(NEXT) | instid1(VALU_DEP_1)
	s_mul_hi_u32 s21, s5, s0
	s_mul_i32 s22, s5, s1
	s_mul_i32 s23, s19, s0
	s_add_i32 s21, s21, s22
	s_mul_i32 s22, s5, s0
	s_add_i32 s21, s21, s23
	s_mul_hi_u32 s23, s0, s22
	s_mul_i32 s24, s0, s21
	s_mul_hi_u32 s0, s0, s21
	s_add_u32 s23, s23, s24
	s_mul_i32 s25, s1, s22
	s_addc_u32 s0, 0, s0
	s_mul_hi_u32 s22, s1, s22
	s_mul_hi_u32 s24, s1, s21
	s_add_u32 s23, s23, s25
	s_addc_u32 s0, s0, s22
	s_mul_i32 s21, s1, s21
	s_addc_u32 s22, s24, 0
	s_add_u32 s0, s0, s21
	s_addc_u32 s21, 0, s22
	v_add_co_u32 v9, s0, v0, s0
	s_delay_alu instid0(VALU_DEP_1) | instskip(SKIP_1) | instid1(VALU_DEP_1)
	s_cmp_lg_u32 s0, 0
	s_addc_u32 s1, s1, s21
	v_readfirstlane_b32 s0, v9
	s_mul_i32 s21, s5, s1
	s_delay_alu instid0(VALU_DEP_1)
	s_mul_hi_u32 s22, s5, s0
	s_mul_i32 s19, s19, s0
	s_add_i32 s21, s22, s21
	s_mul_i32 s5, s5, s0
	s_add_i32 s21, s21, s19
	s_mul_hi_u32 s19, s1, s5
	s_mul_i32 s23, s1, s5
	s_mul_i32 s24, s0, s21
	s_mul_hi_u32 s5, s0, s5
	s_mul_hi_u32 s0, s0, s21
	s_add_u32 s5, s5, s24
	s_addc_u32 s0, 0, s0
	s_mul_hi_u32 s22, s1, s21
	s_add_u32 s5, s5, s23
	s_addc_u32 s0, s0, s19
	s_mul_i32 s5, s1, s21
	s_addc_u32 s19, s22, 0
	s_add_u32 s0, s0, s5
	s_addc_u32 s5, 0, s19
	v_add_co_u32 v9, s0, v9, s0
	s_delay_alu instid0(VALU_DEP_1) | instskip(SKIP_2) | instid1(SALU_CYCLE_1)
	s_cmp_lg_u32 s0, 0
	s_addc_u32 s5, s1, s5
	s_ashr_i32 s0, s13, 31
	s_add_u32 s22, s4, s0
	s_addc_u32 s23, s13, s0
	v_readfirstlane_b32 s13, v9
	s_mov_b32 s1, s0
	s_delay_alu instid0(SALU_CYCLE_1) | instskip(NEXT) | instid1(SALU_CYCLE_1)
	s_xor_b64 s[22:23], s[22:23], s[0:1]
	s_mul_i32 s19, s22, s5
	s_delay_alu instid0(VALU_DEP_1)
	s_mul_hi_u32 s21, s22, s13
	s_mul_hi_u32 s24, s22, s5
	s_add_u32 s19, s21, s19
	s_mul_i32 s25, s23, s13
	s_addc_u32 s21, 0, s24
	s_mul_hi_u32 s13, s23, s13
	s_mul_hi_u32 s24, s23, s5
	s_add_u32 s19, s19, s25
	s_addc_u32 s13, s21, s13
	s_mul_i32 s5, s23, s5
	s_addc_u32 s19, s24, 0
	s_add_u32 s5, s13, s5
	s_addc_u32 s13, 0, s19
	s_mul_i32 s21, s20, s5
	s_add_u32 s19, s5, 1
	v_sub_co_u32 v9, s21, s22, s21
	s_addc_u32 s22, s13, 0
	s_mul_i32 s25, s20, s13
	s_mul_hi_u32 s27, s20, s5
	s_delay_alu instid0(VALU_DEP_1)
	v_sub_co_u32 v10, s26, v9, s20
	s_add_u32 s24, s5, 2
	s_addc_u32 s28, s13, 0
	s_add_i32 s27, s27, s25
	s_cmp_lg_u32 s21, 0
	v_readfirstlane_b32 s21, v10
	s_subb_u32 s23, s23, s27
	s_cmp_lg_u32 s26, 0
	s_subb_u32 s25, s23, 0
	s_delay_alu instid0(VALU_DEP_1) | instskip(SKIP_4) | instid1(SALU_CYCLE_1)
	s_cmp_ge_u32 s21, s20
	s_cselect_b32 s21, -1, 0
	s_cmp_eq_u32 s25, 0
	v_readfirstlane_b32 s25, v9
	s_cselect_b32 s21, s21, -1
	s_cmp_lg_u32 s21, 0
	s_cselect_b32 s19, s24, s19
	s_cselect_b32 s21, s28, s22
	s_cmp_ge_u32 s25, s20
	s_cselect_b32 s22, -1, 0
	s_cmp_eq_u32 s23, 0
	s_cselect_b32 s22, s22, -1
	s_delay_alu instid0(SALU_CYCLE_1) | instskip(SKIP_4) | instid1(SALU_CYCLE_1)
	s_cmp_lg_u32 s22, 0
	s_cselect_b32 s23, s21, s13
	s_cselect_b32 s22, s19, s5
	s_mov_b32 s5, 0
	s_xor_b64 s[22:23], s[22:23], s[0:1]
	s_sub_u32 s0, s22, s0
.LBB17_11:                              ;   in Loop: Header=BB17_9 Depth=1
	s_and_not1_b32 vcc_lo, exec_lo, s5
	s_cbranch_vccnz .LBB17_13
; %bb.12:                               ;   in Loop: Header=BB17_9 Depth=1
	v_readfirstlane_b32 s0, v6
	s_delay_alu instid0(VALU_DEP_1) | instskip(NEXT) | instid1(SALU_CYCLE_1)
	s_mul_i32 s1, s14, s0
	s_mul_hi_u32 s1, s0, s1
	s_delay_alu instid0(SALU_CYCLE_1) | instskip(NEXT) | instid1(SALU_CYCLE_1)
	s_add_i32 s0, s0, s1
	s_mul_hi_u32 s0, s4, s0
	s_delay_alu instid0(SALU_CYCLE_1) | instskip(NEXT) | instid1(SALU_CYCLE_1)
	s_mul_i32 s1, s0, s20
	s_sub_i32 s1, s4, s1
	s_add_i32 s4, s0, 1
	s_sub_i32 s5, s1, s20
	s_cmp_ge_u32 s1, s20
	s_cselect_b32 s0, s4, s0
	s_cselect_b32 s1, s5, s1
	s_add_i32 s4, s0, 1
	s_cmp_ge_u32 s1, s20
	s_cselect_b32 s0, s4, s0
.LBB17_13:                              ;   in Loop: Header=BB17_9 Depth=1
	s_delay_alu instid0(SALU_CYCLE_1)
	s_cmp_lg_u32 s16, s0
	s_cbranch_scc0 .LBB17_17
; %bb.14:                               ;   in Loop: Header=BB17_9 Depth=1
	s_add_i32 s1, s18, s20
	s_mov_b32 s5, s12
	s_lshl_b32 s1, s1, 4
	s_mov_b32 s19, s16
	s_add_i32 s4, s1, s6
	s_mul_hi_u32 s1, s0, s8
	s_lshl_b64 s[4:5], s[4:5], 3
	s_delay_alu instid0(SALU_CYCLE_1) | instskip(SKIP_2) | instid1(SALU_CYCLE_1)
	s_add_u32 s4, s2, s4
	s_addc_u32 s5, s3, s5
	s_add_i32 s1, s1, s0
	s_lshr_b32 s1, s1, s9
	s_delay_alu instid0(SALU_CYCLE_1) | instskip(NEXT) | instid1(SALU_CYCLE_1)
	s_mul_i32 s13, s1, s10
	s_cmp_eq_u32 s13, s0
	s_cselect_b32 s13, -1, 0
	s_cmp_lt_u32 s1, s11
	s_cselect_b32 s1, -1, 0
	s_delay_alu instid0(SALU_CYCLE_1)
	s_or_b32 s1, s1, s13
	s_mov_b32 s13, -1
	s_and_b32 vcc_lo, exec_lo, s1
	s_mov_b32 s1, s18
	s_cbranch_vccnz .LBB17_16
; %bb.15:                               ;   in Loop: Header=BB17_9 Depth=1
	s_add_i32 s1, s18, -1
	s_mov_b32 s13, 0
	s_mov_b32 s19, s0
.LBB17_16:                              ;   in Loop: Header=BB17_9 Depth=1
	v_mad_u64_u32 v[9:10], null, 0x600, s18, v[3:4]
	s_load_b64 s[4:5], s[4:5], 0x0
	s_delay_alu instid0(VALU_DEP_1) | instskip(NEXT) | instid1(VALU_DEP_1)
	v_ashrrev_i32_e32 v10, 31, v9
	v_lshlrev_b64 v[9:10], 2, v[9:10]
	s_delay_alu instid0(VALU_DEP_1) | instskip(NEXT) | instid1(VALU_DEP_2)
	v_add_co_u32 v9, vcc_lo, s15, v9
	v_add_co_ci_u32_e32 v10, vcc_lo, s17, v10, vcc_lo
	s_waitcnt lgkmcnt(0)
	v_max_f32_e64 v11, s4, s4
	global_load_b32 v10, v[9:10], off
	v_max_f32_e32 v9, v8, v8
	s_delay_alu instid0(VALU_DEP_1) | instskip(NEXT) | instid1(VALU_DEP_1)
	v_max_f32_e32 v9, v9, v11
	v_sub_f32_e32 v12, v8, v9
	s_delay_alu instid0(VALU_DEP_1) | instskip(NEXT) | instid1(VALU_DEP_1)
	v_dual_mul_f32 v14, 0x3fb8aa3b, v12 :: v_dual_sub_f32 v11, s4, v9
	v_rndne_f32_e32 v18, v14
	s_delay_alu instid0(VALU_DEP_2) | instskip(SKIP_2) | instid1(VALU_DEP_4)
	v_mul_f32_e32 v13, 0x3fb8aa3b, v11
	v_fma_f32 v17, 0x3fb8aa3b, v12, -v14
	v_cmp_ngt_f32_e32 vcc_lo, 0xc2ce8ed0, v11
	v_sub_f32_e32 v14, v14, v18
	s_delay_alu instid0(VALU_DEP_4) | instskip(SKIP_2) | instid1(VALU_DEP_3)
	v_fma_f32 v15, 0x3fb8aa3b, v11, -v13
	v_rndne_f32_e32 v16, v13
	v_fmac_f32_e32 v17, 0x32a5705f, v12
	v_fmac_f32_e32 v15, 0x32a5705f, v11
	s_delay_alu instid0(VALU_DEP_2) | instskip(NEXT) | instid1(VALU_DEP_1)
	v_dual_sub_f32 v13, v13, v16 :: v_dual_add_f32 v14, v14, v17
	v_add_f32_e32 v13, v13, v15
	s_delay_alu instid0(VALU_DEP_2) | instskip(SKIP_2) | instid1(VALU_DEP_3)
	v_exp_f32_e32 v14, v14
	v_cvt_i32_f32_e32 v15, v16
	v_cvt_i32_f32_e32 v16, v18
	v_exp_f32_e32 v13, v13
	s_waitcnt_depctr 0xfff
	v_ldexp_f32 v14, v14, v16
	v_ldexp_f32 v13, v13, v15
	s_delay_alu instid0(VALU_DEP_1) | instskip(SKIP_1) | instid1(VALU_DEP_4)
	v_cndmask_b32_e32 v13, 0, v13, vcc_lo
	v_cmp_ngt_f32_e32 vcc_lo, 0xc2ce8ed0, v12
	v_cndmask_b32_e32 v14, 0, v14, vcc_lo
	v_cmp_nlt_f32_e32 vcc_lo, 0x42b17218, v11
	s_delay_alu instid0(VALU_DEP_4) | instskip(SKIP_1) | instid1(VALU_DEP_4)
	v_cndmask_b32_e32 v13, 0x7f800000, v13, vcc_lo
	v_cmp_nlt_f32_e32 vcc_lo, 0x42b17218, v12
	v_cndmask_b32_e32 v14, 0x7f800000, v14, vcc_lo
	v_cmp_le_f32_e32 vcc_lo, 0xc1a00000, v11
	s_delay_alu instid0(VALU_DEP_4) | instskip(SKIP_1) | instid1(VALU_DEP_4)
	v_cndmask_b32_e32 v11, 0, v13, vcc_lo
	v_cmp_le_f32_e32 vcc_lo, 0xc1a00000, v12
	v_cndmask_b32_e32 v12, 0, v14, vcc_lo
	s_waitcnt vmcnt(0)
	s_delay_alu instid0(VALU_DEP_3) | instskip(NEXT) | instid1(VALU_DEP_1)
	v_mul_f32_e32 v10, v10, v11
	v_dual_mul_f32 v11, s5, v11 :: v_dual_fmac_f32 v10, v5, v12
	s_delay_alu instid0(VALU_DEP_1)
	v_fmac_f32_e32 v11, v7, v12
	s_cbranch_execz .LBB17_18
	s_branch .LBB17_19
.LBB17_17:                              ;   in Loop: Header=BB17_9 Depth=1
                                        ; implicit-def: $sgpr13
                                        ; implicit-def: $vgpr10
                                        ; implicit-def: $vgpr9
                                        ; implicit-def: $vgpr11
                                        ; implicit-def: $sgpr1
                                        ; implicit-def: $sgpr19
.LBB17_18:                              ;   in Loop: Header=BB17_9 Depth=1
	s_waitcnt vmcnt(0)
	v_dual_mov_b32 v11, v7 :: v_dual_mov_b32 v10, v5
	v_mov_b32_e32 v9, v8
	s_add_i32 s1, s18, -1
	s_mov_b32 s13, 0
	s_mov_b32 s19, s16
.LBB17_19:                              ;   in Loop: Header=BB17_9 Depth=1
	s_and_not1_b32 vcc_lo, exec_lo, s13
	s_cbranch_vccz .LBB17_23
; %bb.20:                               ;   in Loop: Header=BB17_9 Depth=1
	v_dual_mov_b32 v7, v11 :: v_dual_mov_b32 v8, v9
	s_waitcnt vmcnt(0)
	v_mov_b32_e32 v5, v10
	s_mov_b32 s16, s19
	s_mov_b32 s18, s1
	s_branch .LBB17_9
.LBB17_21:
                                        ; implicit-def: $sgpr16_sgpr17
	s_load_b128 s[8:11], s[0:1], 0x44
	s_branch .LBB17_2
.LBB17_22:
                                        ; implicit-def: $sgpr18_sgpr19
	s_branch .LBB17_5
.LBB17_23:
	v_div_scale_f32 v0, null, v11, v11, v10
	s_delay_alu instid0(VALU_DEP_1) | instskip(SKIP_2) | instid1(VALU_DEP_1)
	v_rcp_f32_e32 v3, v0
	s_waitcnt_depctr 0xfff
	v_fma_f32 v4, -v0, v3, 1.0
	v_fmac_f32_e32 v3, v4, v3
	v_div_scale_f32 v4, vcc_lo, v10, v11, v10
	s_waitcnt vmcnt(0)
	s_delay_alu instid0(VALU_DEP_1) | instskip(NEXT) | instid1(VALU_DEP_1)
	v_mul_f32_e32 v5, v4, v3
	v_fma_f32 v6, -v0, v5, v4
	s_delay_alu instid0(VALU_DEP_1) | instskip(NEXT) | instid1(VALU_DEP_1)
	v_fmac_f32_e32 v5, v6, v3
	v_fma_f32 v0, -v0, v5, v4
	s_delay_alu instid0(VALU_DEP_1) | instskip(NEXT) | instid1(VALU_DEP_1)
	v_div_fmas_f32 v0, v0, v3, v5
	v_div_fixup_f32 v0, v0, v11, v10
	global_store_b32 v[1:2], v0, off
.LBB17_24:
	s_nop 0
	s_sendmsg sendmsg(MSG_DEALLOC_VGPRS)
	s_endpgm
	.section	.rodata,"a",@progbits
	.p2align	6, 0x0
	.amdhsa_kernel _ZL33flash_attn_stream_k_fixup_generalILi96ELi2ELi8EEvPfPK15HIP_vector_typeIfLj2EEiiiiS1_IjLj3EES5_S5_S5_
		.amdhsa_group_segment_fixed_size 0
		.amdhsa_private_segment_fixed_size 0
		.amdhsa_kernarg_size 336
		.amdhsa_user_sgpr_count 13
		.amdhsa_user_sgpr_dispatch_ptr 0
		.amdhsa_user_sgpr_queue_ptr 0
		.amdhsa_user_sgpr_kernarg_segment_ptr 1
		.amdhsa_user_sgpr_dispatch_id 0
		.amdhsa_user_sgpr_private_segment_size 0
		.amdhsa_wavefront_size32 1
		.amdhsa_uses_dynamic_stack 0
		.amdhsa_enable_private_segment 0
		.amdhsa_system_sgpr_workgroup_id_x 1
		.amdhsa_system_sgpr_workgroup_id_y 1
		.amdhsa_system_sgpr_workgroup_id_z 1
		.amdhsa_system_sgpr_workgroup_info 0
		.amdhsa_system_vgpr_workitem_id 0
		.amdhsa_next_free_vgpr 19
		.amdhsa_next_free_sgpr 32
		.amdhsa_reserve_vcc 1
		.amdhsa_float_round_mode_32 0
		.amdhsa_float_round_mode_16_64 0
		.amdhsa_float_denorm_mode_32 3
		.amdhsa_float_denorm_mode_16_64 3
		.amdhsa_dx10_clamp 1
		.amdhsa_ieee_mode 1
		.amdhsa_fp16_overflow 0
		.amdhsa_workgroup_processor_mode 1
		.amdhsa_memory_ordered 1
		.amdhsa_forward_progress 0
		.amdhsa_shared_vgpr_count 0
		.amdhsa_exception_fp_ieee_invalid_op 0
		.amdhsa_exception_fp_denorm_src 0
		.amdhsa_exception_fp_ieee_div_zero 0
		.amdhsa_exception_fp_ieee_overflow 0
		.amdhsa_exception_fp_ieee_underflow 0
		.amdhsa_exception_fp_ieee_inexact 0
		.amdhsa_exception_int_div_zero 0
	.end_amdhsa_kernel
	.section	.text._ZL33flash_attn_stream_k_fixup_generalILi96ELi2ELi8EEvPfPK15HIP_vector_typeIfLj2EEiiiiS1_IjLj3EES5_S5_S5_,"axG",@progbits,_ZL33flash_attn_stream_k_fixup_generalILi96ELi2ELi8EEvPfPK15HIP_vector_typeIfLj2EEiiiiS1_IjLj3EES5_S5_S5_,comdat
.Lfunc_end17:
	.size	_ZL33flash_attn_stream_k_fixup_generalILi96ELi2ELi8EEvPfPK15HIP_vector_typeIfLj2EEiiiiS1_IjLj3EES5_S5_S5_, .Lfunc_end17-_ZL33flash_attn_stream_k_fixup_generalILi96ELi2ELi8EEvPfPK15HIP_vector_typeIfLj2EEiiiiS1_IjLj3EES5_S5_S5_
                                        ; -- End function
	.section	.AMDGPU.csdata,"",@progbits
; Kernel info:
; codeLenInByte = 3224
; NumSgprs: 34
; NumVgprs: 19
; ScratchSize: 0
; MemoryBound: 0
; FloatMode: 240
; IeeeMode: 1
; LDSByteSize: 0 bytes/workgroup (compile time only)
; SGPRBlocks: 4
; VGPRBlocks: 2
; NumSGPRsForWavesPerEU: 34
; NumVGPRsForWavesPerEU: 19
; Occupancy: 16
; WaveLimiterHint : 0
; COMPUTE_PGM_RSRC2:SCRATCH_EN: 0
; COMPUTE_PGM_RSRC2:USER_SGPR: 13
; COMPUTE_PGM_RSRC2:TRAP_HANDLER: 0
; COMPUTE_PGM_RSRC2:TGID_X_EN: 1
; COMPUTE_PGM_RSRC2:TGID_Y_EN: 1
; COMPUTE_PGM_RSRC2:TGID_Z_EN: 1
; COMPUTE_PGM_RSRC2:TIDIG_COMP_CNT: 0
	.section	.text._ZL26flash_attn_combine_resultsILi96EEvPKfPK15HIP_vector_typeIfLj2EEPfi,"axG",@progbits,_ZL26flash_attn_combine_resultsILi96EEvPKfPK15HIP_vector_typeIfLj2EEPfi,comdat
	.globl	_ZL26flash_attn_combine_resultsILi96EEvPKfPK15HIP_vector_typeIfLj2EEPfi ; -- Begin function _ZL26flash_attn_combine_resultsILi96EEvPKfPK15HIP_vector_typeIfLj2EEPfi
	.p2align	8
	.type	_ZL26flash_attn_combine_resultsILi96EEvPKfPK15HIP_vector_typeIfLj2EEPfi,@function
_ZL26flash_attn_combine_resultsILi96EEvPKfPK15HIP_vector_typeIfLj2EEPfi: ; @_ZL26flash_attn_combine_resultsILi96EEvPKfPK15HIP_vector_typeIfLj2EEPfi
; %bb.0:
	s_clause 0x3
	s_load_b64 s[2:3], s[0:1], 0x20
	s_load_b32 s12, s[0:1], 0x18
	s_load_b128 s[8:11], s[0:1], 0x0
	s_load_b64 s[16:17], s[0:1], 0x10
	v_lshlrev_b32_e32 v7, 2, v0
	s_mov_b32 s4, exec_lo
	s_waitcnt lgkmcnt(0)
	s_mul_i32 s0, s2, s15
	s_lshl_b32 s1, s12, 1
	s_add_i32 s0, s0, s13
	s_delay_alu instid0(SALU_CYCLE_1) | instskip(NEXT) | instid1(SALU_CYCLE_1)
	s_mul_i32 s7, s0, s3
	s_add_i32 s7, s7, s14
	s_delay_alu instid0(SALU_CYCLE_1)
	s_mul_i32 s2, s7, s12
	v_cmpx_gt_i32_e64 s1, v0
	s_cbranch_execz .LBB18_3
; %bb.1:
	s_ashr_i32 s3, s2, 31
	v_dual_mov_b32 v4, v0 :: v_dual_add_nc_u32 v3, 0, v7
	s_lshl_b64 s[14:15], s[2:3], 3
	s_delay_alu instid0(SALU_CYCLE_1) | instskip(SKIP_2) | instid1(VALU_DEP_1)
	s_add_u32 s0, s10, s14
	s_addc_u32 s3, s11, s15
	v_add_co_u32 v1, s0, s0, v7
	v_add_co_ci_u32_e64 v2, null, s3, 0, s0
	s_mov_b32 s3, 0
	.p2align	6
.LBB18_2:                               ; =>This Inner Loop Header: Depth=1
	global_load_b32 v5, v[1:2], off
	v_add_nc_u32_e32 v4, 0x60, v4
	v_add_co_u32 v1, vcc_lo, 0x180, v1
	v_add_co_ci_u32_e32 v2, vcc_lo, 0, v2, vcc_lo
	s_delay_alu instid0(VALU_DEP_3) | instskip(NEXT) | instid1(VALU_DEP_1)
	v_cmp_le_i32_e64 s0, s1, v4
	s_or_b32 s3, s0, s3
	s_waitcnt vmcnt(0)
	ds_store_b32 v3, v5
	v_add_nc_u32_e32 v3, 0x180, v3
	s_and_not1_b32 exec_lo, exec_lo, s3
	s_cbranch_execnz .LBB18_2
.LBB18_3:
	s_or_b32 exec_lo, exec_lo, s4
	v_mov_b32_e32 v1, 0
	s_waitcnt lgkmcnt(0)
	s_barrier
	buffer_gl0_inv
	s_cmp_lt_i32 s12, 2
	ds_load_b32 v8, v1
	s_cbranch_scc1 .LBB18_11
; %bb.4:
	s_add_i32 s1, s12, -2
	s_add_i32 s0, s12, -1
	s_cmp_lt_u32 s1, 7
	s_cbranch_scc1 .LBB18_8
; %bb.5:
	s_mov_b32 s3, 0
	s_add_i32 s1, 0, 8
	s_and_b32 s4, s0, -8
	.p2align	6
.LBB18_6:                               ; =>This Inner Loop Header: Depth=1
	v_mov_b32_e32 v9, s1
	s_mov_b32 s5, s3
	s_add_i32 s3, s3, 8
	s_add_i32 s1, s1, 64
	s_cmp_eq_u32 s4, s3
	ds_load_2addr_b32 v[1:2], v9 offset1:2
	ds_load_2addr_b32 v[3:4], v9 offset0:4 offset1:6
	ds_load_2addr_b32 v[5:6], v9 offset0:8 offset1:10
	;; [unrolled: 1-line block ×3, first 2 shown]
	s_waitcnt lgkmcnt(3)
	v_max3_f32 v1, v8, v1, v2
	s_waitcnt lgkmcnt(2)
	s_delay_alu instid0(VALU_DEP_1) | instskip(SKIP_1) | instid1(VALU_DEP_1)
	v_max3_f32 v1, v1, v3, v4
	s_waitcnt lgkmcnt(1)
	v_max3_f32 v1, v1, v5, v6
	s_waitcnt lgkmcnt(0)
	s_delay_alu instid0(VALU_DEP_1)
	v_max3_f32 v8, v1, v9, v10
	s_cbranch_scc0 .LBB18_6
; %bb.7:
	s_add_i32 s1, s5, 9
	s_and_b32 s0, s0, 7
	s_delay_alu instid0(SALU_CYCLE_1)
	s_cmp_eq_u32 s0, 0
	s_cbranch_scc0 .LBB18_9
	s_branch .LBB18_11
.LBB18_8:
	s_mov_b32 s1, 1
	s_and_b32 s0, s0, 7
	s_delay_alu instid0(SALU_CYCLE_1)
	s_cmp_eq_u32 s0, 0
	s_cbranch_scc1 .LBB18_11
.LBB18_9:
	s_lshl_b32 s1, s1, 3
	s_delay_alu instid0(SALU_CYCLE_1)
	s_add_i32 s1, s1, 0
.LBB18_10:                              ; =>This Inner Loop Header: Depth=1
	s_waitcnt lgkmcnt(0)
	s_delay_alu instid0(VALU_DEP_1)
	v_dual_mov_b32 v1, s1 :: v_dual_max_f32 v2, v8, v8
	s_add_i32 s0, s0, -1
	s_add_i32 s1, s1, 8
	s_cmp_lg_u32 s0, 0
	ds_load_b32 v1, v1
	s_waitcnt lgkmcnt(0)
	v_max_f32_e32 v1, v1, v1
	s_delay_alu instid0(VALU_DEP_1)
	v_max_f32_e32 v8, v2, v1
	s_cbranch_scc1 .LBB18_10
.LBB18_11:
	s_cmp_lt_i32 s12, 1
	s_cbranch_scc1 .LBB18_16
; %bb.12:
	s_mul_i32 s10, s2, 0x60
	v_mov_b32_e32 v9, 0
	s_ashr_i32 s11, s10, 31
	s_cmp_lt_u32 s12, 8
	s_mov_b32 s14, 0
	s_cbranch_scc1 .LBB18_17
; %bb.13:
	s_lshl_b64 s[0:1], s[10:11], 2
	v_or_b32_e32 v3, 0x180, v0
	s_add_u32 s15, s8, s0
	s_addc_u32 s18, s9, s1
	v_add_co_u32 v1, s0, s15, v7
	s_delay_alu instid0(VALU_DEP_1) | instskip(SKIP_1) | instid1(VALU_DEP_3)
	v_add_co_ci_u32_e64 v2, null, s18, 0, s0
	v_dual_mov_b32 v6, 0 :: v_dual_mov_b32 v9, 0
	v_add_co_u32 v1, vcc_lo, 0x180, v1
	s_delay_alu instid0(VALU_DEP_3)
	v_add_co_ci_u32_e32 v2, vcc_lo, 0, v2, vcc_lo
	v_mov_b32_e32 v10, 0
	s_and_b32 s13, s12, 0x7ffffff8
	s_mov_b32 s19, 0
.LBB18_14:                              ; =>This Inner Loop Header: Depth=1
	v_dual_mov_b32 v4, v6 :: v_dual_add_nc_u32 v5, 0xfffffe80, v3
	global_load_b32 v27, v[1:2], off
	s_add_i32 s19, s19, 8
	v_lshlrev_b64 v[11:12], 2, v[5:6]
	v_lshlrev_b64 v[13:14], 2, v[3:4]
	v_add_nc_u32_e32 v5, 0xffffff40, v3
	s_delay_alu instid0(VALU_DEP_3) | instskip(NEXT) | instid1(VALU_DEP_4)
	v_add_co_u32 v11, vcc_lo, s15, v11
	v_add_co_ci_u32_e32 v12, vcc_lo, s18, v12, vcc_lo
	s_delay_alu instid0(VALU_DEP_4) | instskip(NEXT) | instid1(VALU_DEP_4)
	v_add_co_u32 v13, vcc_lo, s15, v13
	v_lshlrev_b64 v[15:16], 2, v[5:6]
	global_load_b32 v28, v[11:12], off
	v_add_co_ci_u32_e32 v14, vcc_lo, s18, v14, vcc_lo
	v_add_nc_u32_e32 v5, 0xffffffa0, v3
	global_load_b32 v31, v[13:14], off
	v_add_co_u32 v11, vcc_lo, s15, v15
	v_add_co_ci_u32_e32 v12, vcc_lo, s18, v16, vcc_lo
	v_lshlrev_b64 v[17:18], 2, v[5:6]
	v_add_nc_u32_e32 v5, 0x60, v3
	global_load_b32 v29, v[11:12], off
	v_lshlrev_b64 v[15:16], 2, v[5:6]
	v_add_co_u32 v17, vcc_lo, s15, v17
	v_add_co_ci_u32_e32 v18, vcc_lo, s18, v18, vcc_lo
	v_add_nc_u32_e32 v5, 0xc0, v3
	s_delay_alu instid0(VALU_DEP_4)
	v_add_co_u32 v15, vcc_lo, s15, v15
	v_add_co_ci_u32_e32 v16, vcc_lo, s18, v16, vcc_lo
	s_clause 0x1
	global_load_b32 v30, v[17:18], off
	global_load_b32 v32, v[15:16], off
	v_lshlrev_b64 v[11:12], 2, v[5:6]
	v_add_nc_u32_e32 v5, 0x120, v3
	v_add_nc_u32_e32 v3, 0x300, v3
	s_delay_alu instid0(VALU_DEP_2) | instskip(NEXT) | instid1(VALU_DEP_4)
	v_lshlrev_b64 v[4:5], 2, v[5:6]
	v_add_co_u32 v11, vcc_lo, s15, v11
	v_add_co_ci_u32_e32 v12, vcc_lo, s18, v12, vcc_lo
	s_delay_alu instid0(VALU_DEP_3) | instskip(NEXT) | instid1(VALU_DEP_4)
	v_add_co_u32 v4, vcc_lo, s15, v4
	v_add_co_ci_u32_e32 v5, vcc_lo, s18, v5, vcc_lo
	s_clause 0x1
	global_load_b32 v33, v[11:12], off
	global_load_b32 v4, v[4:5], off
	v_mov_b32_e32 v5, s14
	ds_load_2addr_b64 v[11:14], v5 offset1:1
	ds_load_2addr_b64 v[15:18], v5 offset0:2 offset1:3
	ds_load_2addr_b64 v[19:22], v5 offset0:4 offset1:5
	;; [unrolled: 1-line block ×3, first 2 shown]
	s_add_i32 s14, s14, 64
	s_cmp_eq_u32 s13, s19
	s_waitcnt lgkmcnt(3)
	v_sub_f32_e32 v5, v11, v8
	v_sub_f32_e32 v11, v13, v8
	s_waitcnt lgkmcnt(2)
	v_sub_f32_e32 v13, v15, v8
	v_sub_f32_e32 v15, v17, v8
	;; [unrolled: 3-line block ×3, first 2 shown]
	s_waitcnt lgkmcnt(0)
	v_sub_f32_e32 v21, v23, v8
	s_delay_alu instid0(VALU_DEP_2) | instskip(SKIP_2) | instid1(VALU_DEP_3)
	v_dual_sub_f32 v23, v25, v8 :: v_dual_mul_f32 v38, 0x3fb8aa3b, v19
	v_mul_f32_e32 v34, 0x3fb8aa3b, v11
	v_cmp_ngt_f32_e32 vcc_lo, 0xc2ce8ed0, v11
	v_fma_f32 v51, 0x3fb8aa3b, v19, -v38
	s_delay_alu instid0(VALU_DEP_3) | instskip(SKIP_2) | instid1(VALU_DEP_4)
	v_fma_f32 v43, 0x3fb8aa3b, v11, -v34
	v_rndne_f32_e32 v44, v34
	v_rndne_f32_e32 v52, v38
	v_fmac_f32_e32 v51, 0x32a5705f, v19
	s_delay_alu instid0(VALU_DEP_3) | instskip(SKIP_1) | instid1(VALU_DEP_4)
	v_dual_fmac_f32 v43, 0x32a5705f, v11 :: v_dual_sub_f32 v34, v34, v44
	v_cvt_i32_f32_e32 v44, v44
	v_sub_f32_e32 v38, v38, v52
	v_cvt_i32_f32_e32 v52, v52
	s_delay_alu instid0(VALU_DEP_4) | instskip(SKIP_3) | instid1(VALU_DEP_4)
	v_add_f32_e32 v34, v34, v43
	v_dual_mul_f32 v36, 0x3fb8aa3b, v15 :: v_dual_mul_f32 v25, 0x3fb8aa3b, v5
	v_cmp_ngt_f32_e64 s6, 0xc2ce8ed0, v5
	v_cmp_ngt_f32_e64 s1, 0xc2ce8ed0, v15
	v_exp_f32_e32 v34, v34
	s_delay_alu instid0(VALU_DEP_3)
	v_fma_f32 v47, 0x3fb8aa3b, v15, -v36
	v_fma_f32 v41, 0x3fb8aa3b, v5, -v25
	v_rndne_f32_e32 v42, v25
	v_rndne_f32_e32 v48, v36
	v_add_f32_e32 v38, v38, v51
	v_fmac_f32_e32 v47, 0x32a5705f, v15
	v_fmac_f32_e32 v41, 0x32a5705f, v5
	v_sub_f32_e32 v25, v25, v42
	v_cvt_i32_f32_e32 v42, v42
	v_ldexp_f32 v34, v34, v44
	v_sub_f32_e32 v36, v36, v48
	v_cvt_i32_f32_e32 v48, v48
	v_add_f32_e32 v25, v25, v41
	v_exp_f32_e32 v38, v38
	v_cndmask_b32_e32 v34, 0, v34, vcc_lo
	v_cmp_nlt_f32_e32 vcc_lo, 0x42b17218, v5
	v_add_f32_e32 v36, v36, v47
	v_exp_f32_e32 v25, v25
	v_cmp_ngt_f32_e64 s2, 0xc2ce8ed0, v17
	v_cmp_ngt_f32_e64 s3, 0xc2ce8ed0, v19
	s_delay_alu instid0(VALU_DEP_3) | instskip(NEXT) | instid1(TRANS32_DEP_3)
	v_exp_f32_e32 v36, v36
	v_ldexp_f32 v38, v38, v52
	s_waitcnt_depctr 0xfff
	v_ldexp_f32 v25, v25, v42
	v_cndmask_b32_e64 v38, 0, v38, s3
	v_ldexp_f32 v36, v36, v48
	s_delay_alu instid0(VALU_DEP_3) | instskip(NEXT) | instid1(VALU_DEP_2)
	v_cndmask_b32_e64 v25, 0, v25, s6
	v_cndmask_b32_e64 v36, 0, v36, s1
	s_delay_alu instid0(VALU_DEP_2) | instskip(SKIP_1) | instid1(VALU_DEP_2)
	v_cndmask_b32_e32 v5, 0x7f800000, v25, vcc_lo
	v_cmp_nlt_f32_e32 vcc_lo, 0x42b17218, v11
	v_dual_fmac_f32 v10, v5, v12 :: v_dual_cndmask_b32 v11, 0x7f800000, v34
	s_delay_alu instid0(VALU_DEP_1) | instskip(SKIP_4) | instid1(VALU_DEP_4)
	v_fmac_f32_e32 v10, v11, v14
	v_dual_mul_f32 v40, 0x3fb8aa3b, v23 :: v_dual_mul_f32 v35, 0x3fb8aa3b, v13
	v_cmp_ngt_f32_e64 s0, 0xc2ce8ed0, v13
	v_cmp_nlt_f32_e32 vcc_lo, 0x42b17218, v13
	v_cmp_ngt_f32_e64 s5, 0xc2ce8ed0, v23
	v_fma_f32 v55, 0x3fb8aa3b, v23, -v40
	v_fma_f32 v45, 0x3fb8aa3b, v13, -v35
	v_rndne_f32_e32 v46, v35
	v_rndne_f32_e32 v56, v40
	s_delay_alu instid0(VALU_DEP_4) | instskip(NEXT) | instid1(VALU_DEP_4)
	v_fmac_f32_e32 v55, 0x32a5705f, v23
	v_fmac_f32_e32 v45, 0x32a5705f, v13
	s_delay_alu instid0(VALU_DEP_4) | instskip(SKIP_3) | instid1(VALU_DEP_2)
	v_sub_f32_e32 v35, v35, v46
	v_cvt_i32_f32_e32 v46, v46
	v_sub_f32_e32 v40, v40, v56
	v_cvt_i32_f32_e32 v56, v56
	v_dual_add_f32 v35, v35, v45 :: v_dual_add_f32 v40, v40, v55
	v_cmp_ngt_f32_e64 s4, 0xc2ce8ed0, v21
	s_delay_alu instid0(VALU_DEP_2) | instskip(NEXT) | instid1(VALU_DEP_2)
	v_exp_f32_e32 v35, v35
	v_exp_f32_e32 v40, v40
	s_waitcnt_depctr 0xfff
	v_ldexp_f32 v35, v35, v46
	v_ldexp_f32 v40, v40, v56
	s_delay_alu instid0(VALU_DEP_2) | instskip(SKIP_1) | instid1(VALU_DEP_3)
	v_cndmask_b32_e64 v35, 0, v35, s0
	v_cmp_nlt_f32_e64 s0, 0x42b17218, v23
	v_cndmask_b32_e64 v40, 0, v40, s5
	s_waitcnt vmcnt(6)
	v_fmac_f32_e32 v9, v28, v5
	v_cndmask_b32_e32 v5, 0x7f800000, v35, vcc_lo
	v_cmp_nlt_f32_e32 vcc_lo, 0x42b17218, v15
	s_delay_alu instid0(VALU_DEP_2) | instskip(SKIP_3) | instid1(VALU_DEP_3)
	v_dual_fmac_f32 v9, v27, v11 :: v_dual_fmac_f32 v10, v5, v16
	v_cndmask_b32_e32 v11, 0x7f800000, v36, vcc_lo
	v_mul_f32_e32 v37, 0x3fb8aa3b, v17
	v_cmp_nlt_f32_e32 vcc_lo, 0x42b17218, v17
	v_fmac_f32_e32 v10, v11, v18
	s_delay_alu instid0(VALU_DEP_3) | instskip(SKIP_3) | instid1(VALU_DEP_3)
	v_fma_f32 v49, 0x3fb8aa3b, v17, -v37
	v_rndne_f32_e32 v50, v37
	s_waitcnt vmcnt(4)
	v_fmac_f32_e32 v9, v29, v5
	v_fmac_f32_e32 v49, 0x32a5705f, v17
	s_delay_alu instid0(VALU_DEP_3) | instskip(SKIP_1) | instid1(VALU_DEP_2)
	v_sub_f32_e32 v37, v37, v50
	v_cvt_i32_f32_e32 v50, v50
	v_add_f32_e32 v37, v37, v49
	s_waitcnt vmcnt(3)
	v_fmac_f32_e32 v9, v30, v11
	s_delay_alu instid0(VALU_DEP_2) | instskip(SKIP_2) | instid1(VALU_DEP_1)
	v_exp_f32_e32 v37, v37
	s_waitcnt_depctr 0xfff
	v_ldexp_f32 v37, v37, v50
	v_cndmask_b32_e64 v37, 0, v37, s2
	s_delay_alu instid0(VALU_DEP_1) | instskip(SKIP_2) | instid1(VALU_DEP_3)
	v_cndmask_b32_e32 v5, 0x7f800000, v37, vcc_lo
	v_mul_f32_e32 v39, 0x3fb8aa3b, v21
	v_cmp_nlt_f32_e32 vcc_lo, 0x42b17218, v19
	v_fmac_f32_e32 v10, v5, v20
	s_delay_alu instid0(VALU_DEP_3)
	v_fma_f32 v53, 0x3fb8aa3b, v21, -v39
	v_rndne_f32_e32 v54, v39
	v_cndmask_b32_e32 v11, 0x7f800000, v38, vcc_lo
	v_fmac_f32_e32 v9, v31, v5
	v_cmp_nlt_f32_e32 vcc_lo, 0x42b17218, v21
	v_fmac_f32_e32 v53, 0x32a5705f, v21
	v_sub_f32_e32 v39, v39, v54
	v_cvt_i32_f32_e32 v54, v54
	s_waitcnt vmcnt(2)
	v_dual_fmac_f32 v10, v11, v22 :: v_dual_fmac_f32 v9, v32, v11
	v_cndmask_b32_e64 v11, 0x7f800000, v40, s0
	v_add_f32_e32 v39, v39, v53
	s_delay_alu instid0(VALU_DEP_1) | instskip(SKIP_2) | instid1(VALU_DEP_1)
	v_exp_f32_e32 v39, v39
	s_waitcnt_depctr 0xfff
	v_ldexp_f32 v39, v39, v54
	v_cndmask_b32_e64 v39, 0, v39, s4
	s_delay_alu instid0(VALU_DEP_1) | instskip(SKIP_2) | instid1(VALU_DEP_3)
	v_cndmask_b32_e32 v5, 0x7f800000, v39, vcc_lo
	v_add_co_u32 v1, vcc_lo, 0xc00, v1
	v_add_co_ci_u32_e32 v2, vcc_lo, 0, v2, vcc_lo
	v_fmac_f32_e32 v10, v5, v24
	s_waitcnt vmcnt(1)
	s_delay_alu instid0(VALU_DEP_1) | instskip(SKIP_1) | instid1(VALU_DEP_1)
	v_dual_fmac_f32 v9, v33, v5 :: v_dual_fmac_f32 v10, v11, v26
	s_waitcnt vmcnt(0)
	v_fmac_f32_e32 v9, v4, v11
	s_cbranch_scc0 .LBB18_14
; %bb.15:
	s_and_b32 s1, s12, 7
	s_delay_alu instid0(SALU_CYCLE_1)
	s_cmp_eq_u32 s1, 0
	s_cbranch_scc0 .LBB18_18
	s_branch .LBB18_20
.LBB18_16:
	v_mov_b32_e32 v0, 0x7fc00000
	s_branch .LBB18_21
.LBB18_17:
	v_mov_b32_e32 v10, 0
	s_mov_b32 s13, 0
	s_and_b32 s1, s12, 7
	s_delay_alu instid0(SALU_CYCLE_1)
	s_cmp_eq_u32 s1, 0
	s_cbranch_scc1 .LBB18_20
.LBB18_18:
	v_mad_u64_u32 v[1:2], null, 0x60, s13, v[0:1]
	v_mov_b32_e32 v2, 0
	s_lshl_b64 s[2:3], s[10:11], 2
	s_delay_alu instid0(SALU_CYCLE_1) | instskip(SKIP_1) | instid1(VALU_DEP_1)
	s_add_u32 s0, s8, s2
	s_addc_u32 s2, s9, s3
	v_lshlrev_b64 v[0:1], 2, v[1:2]
	s_delay_alu instid0(VALU_DEP_1) | instskip(NEXT) | instid1(VALU_DEP_2)
	v_add_co_u32 v0, vcc_lo, s0, v0
	v_add_co_ci_u32_e32 v1, vcc_lo, s2, v1, vcc_lo
	s_lshl_b32 s0, s13, 3
	s_delay_alu instid0(SALU_CYCLE_1)
	s_add_i32 s2, s0, 0
	s_set_inst_prefetch_distance 0x1
	.p2align	6
.LBB18_19:                              ; =>This Inner Loop Header: Depth=1
	global_load_b32 v4, v[0:1], off
	v_mov_b32_e32 v2, s2
	s_add_i32 s1, s1, -1
	s_add_i32 s2, s2, 8
	s_cmp_lg_u32 s1, 0
	ds_load_b64 v[2:3], v2
	s_waitcnt lgkmcnt(0)
	v_sub_f32_e32 v2, v2, v8
	s_delay_alu instid0(VALU_DEP_1) | instskip(NEXT) | instid1(VALU_DEP_1)
	v_mul_f32_e32 v5, 0x3fb8aa3b, v2
	v_fma_f32 v6, 0x3fb8aa3b, v2, -v5
	v_rndne_f32_e32 v11, v5
	s_delay_alu instid0(VALU_DEP_1) | instskip(NEXT) | instid1(VALU_DEP_1)
	v_dual_fmac_f32 v6, 0x32a5705f, v2 :: v_dual_sub_f32 v5, v5, v11
	v_add_f32_e32 v5, v5, v6
	v_cvt_i32_f32_e32 v6, v11
	v_cmp_ngt_f32_e32 vcc_lo, 0xc2ce8ed0, v2
	v_cmp_nlt_f32_e64 s0, 0x42b17218, v2
	s_delay_alu instid0(VALU_DEP_4) | instskip(SKIP_2) | instid1(VALU_DEP_1)
	v_exp_f32_e32 v5, v5
	s_waitcnt_depctr 0xfff
	v_ldexp_f32 v5, v5, v6
	v_cndmask_b32_e32 v5, 0, v5, vcc_lo
	v_add_co_u32 v0, vcc_lo, 0x180, v0
	v_add_co_ci_u32_e32 v1, vcc_lo, 0, v1, vcc_lo
	s_delay_alu instid0(VALU_DEP_3) | instskip(SKIP_1) | instid1(VALU_DEP_1)
	v_cndmask_b32_e64 v2, 0x7f800000, v5, s0
	s_waitcnt vmcnt(0)
	v_dual_fmac_f32 v10, v2, v3 :: v_dual_fmac_f32 v9, v4, v2
	s_cbranch_scc1 .LBB18_19
.LBB18_20:
	s_set_inst_prefetch_distance 0x2
	s_delay_alu instid0(VALU_DEP_1) | instskip(NEXT) | instid1(VALU_DEP_1)
	v_div_scale_f32 v0, null, v10, v10, v9
	v_rcp_f32_e32 v1, v0
	s_waitcnt_depctr 0xfff
	v_fma_f32 v2, -v0, v1, 1.0
	s_delay_alu instid0(VALU_DEP_1) | instskip(SKIP_1) | instid1(VALU_DEP_1)
	v_fmac_f32_e32 v1, v2, v1
	v_div_scale_f32 v2, vcc_lo, v9, v10, v9
	v_mul_f32_e32 v3, v2, v1
	s_delay_alu instid0(VALU_DEP_1) | instskip(NEXT) | instid1(VALU_DEP_1)
	v_fma_f32 v4, -v0, v3, v2
	v_fmac_f32_e32 v3, v4, v1
	s_delay_alu instid0(VALU_DEP_1) | instskip(NEXT) | instid1(VALU_DEP_1)
	v_fma_f32 v0, -v0, v3, v2
	v_div_fmas_f32 v0, v0, v1, v3
	s_delay_alu instid0(VALU_DEP_1)
	v_div_fixup_f32 v0, v0, v10, v9
.LBB18_21:
	s_mul_i32 s0, s7, 0x60
	s_delay_alu instid0(SALU_CYCLE_1) | instskip(NEXT) | instid1(SALU_CYCLE_1)
	s_ashr_i32 s1, s0, 31
	s_lshl_b64 s[0:1], s[0:1], 2
	s_delay_alu instid0(SALU_CYCLE_1)
	s_add_u32 s0, s16, s0
	s_addc_u32 s1, s17, s1
	global_store_b32 v7, v0, s[0:1]
	s_nop 0
	s_sendmsg sendmsg(MSG_DEALLOC_VGPRS)
	s_endpgm
	.section	.rodata,"a",@progbits
	.p2align	6, 0x0
	.amdhsa_kernel _ZL26flash_attn_combine_resultsILi96EEvPKfPK15HIP_vector_typeIfLj2EEPfi
		.amdhsa_group_segment_fixed_size 0
		.amdhsa_private_segment_fixed_size 0
		.amdhsa_kernarg_size 288
		.amdhsa_user_sgpr_count 13
		.amdhsa_user_sgpr_dispatch_ptr 0
		.amdhsa_user_sgpr_queue_ptr 0
		.amdhsa_user_sgpr_kernarg_segment_ptr 1
		.amdhsa_user_sgpr_dispatch_id 0
		.amdhsa_user_sgpr_private_segment_size 0
		.amdhsa_wavefront_size32 1
		.amdhsa_uses_dynamic_stack 0
		.amdhsa_enable_private_segment 0
		.amdhsa_system_sgpr_workgroup_id_x 1
		.amdhsa_system_sgpr_workgroup_id_y 1
		.amdhsa_system_sgpr_workgroup_id_z 1
		.amdhsa_system_sgpr_workgroup_info 0
		.amdhsa_system_vgpr_workitem_id 0
		.amdhsa_next_free_vgpr 57
		.amdhsa_next_free_sgpr 20
		.amdhsa_reserve_vcc 1
		.amdhsa_float_round_mode_32 0
		.amdhsa_float_round_mode_16_64 0
		.amdhsa_float_denorm_mode_32 3
		.amdhsa_float_denorm_mode_16_64 3
		.amdhsa_dx10_clamp 1
		.amdhsa_ieee_mode 1
		.amdhsa_fp16_overflow 0
		.amdhsa_workgroup_processor_mode 1
		.amdhsa_memory_ordered 1
		.amdhsa_forward_progress 0
		.amdhsa_shared_vgpr_count 0
		.amdhsa_exception_fp_ieee_invalid_op 0
		.amdhsa_exception_fp_denorm_src 0
		.amdhsa_exception_fp_ieee_div_zero 0
		.amdhsa_exception_fp_ieee_overflow 0
		.amdhsa_exception_fp_ieee_underflow 0
		.amdhsa_exception_fp_ieee_inexact 0
		.amdhsa_exception_int_div_zero 0
	.end_amdhsa_kernel
	.section	.text._ZL26flash_attn_combine_resultsILi96EEvPKfPK15HIP_vector_typeIfLj2EEPfi,"axG",@progbits,_ZL26flash_attn_combine_resultsILi96EEvPKfPK15HIP_vector_typeIfLj2EEPfi,comdat
.Lfunc_end18:
	.size	_ZL26flash_attn_combine_resultsILi96EEvPKfPK15HIP_vector_typeIfLj2EEPfi, .Lfunc_end18-_ZL26flash_attn_combine_resultsILi96EEvPKfPK15HIP_vector_typeIfLj2EEPfi
                                        ; -- End function
	.section	.AMDGPU.csdata,"",@progbits
; Kernel info:
; codeLenInByte = 2420
; NumSgprs: 22
; NumVgprs: 57
; ScratchSize: 0
; MemoryBound: 0
; FloatMode: 240
; IeeeMode: 1
; LDSByteSize: 0 bytes/workgroup (compile time only)
; SGPRBlocks: 2
; VGPRBlocks: 7
; NumSGPRsForWavesPerEU: 22
; NumVGPRsForWavesPerEU: 57
; Occupancy: 16
; WaveLimiterHint : 0
; COMPUTE_PGM_RSRC2:SCRATCH_EN: 0
; COMPUTE_PGM_RSRC2:USER_SGPR: 13
; COMPUTE_PGM_RSRC2:TRAP_HANDLER: 0
; COMPUTE_PGM_RSRC2:TGID_X_EN: 1
; COMPUTE_PGM_RSRC2:TGID_Y_EN: 1
; COMPUTE_PGM_RSRC2:TGID_Z_EN: 1
; COMPUTE_PGM_RSRC2:TIDIG_COMP_CNT: 0
	.section	.text._ZL18flash_attn_ext_f16ILi112ELi112ELi2ELi8ELb0ELb0EEvPKcS1_S1_S1_S1_PKiPfP15HIP_vector_typeIfLj2EEffffjfiS5_IjLj3EEiiiiiiiiiiiliiliiiiil,"axG",@progbits,_ZL18flash_attn_ext_f16ILi112ELi112ELi2ELi8ELb0ELb0EEvPKcS1_S1_S1_S1_PKiPfP15HIP_vector_typeIfLj2EEffffjfiS5_IjLj3EEiiiiiiiiiiiliiliiiiil,comdat
	.globl	_ZL18flash_attn_ext_f16ILi112ELi112ELi2ELi8ELb0ELb0EEvPKcS1_S1_S1_S1_PKiPfP15HIP_vector_typeIfLj2EEffffjfiS5_IjLj3EEiiiiiiiiiiiliiliiiiil ; -- Begin function _ZL18flash_attn_ext_f16ILi112ELi112ELi2ELi8ELb0ELb0EEvPKcS1_S1_S1_S1_PKiPfP15HIP_vector_typeIfLj2EEffffjfiS5_IjLj3EEiiiiiiiiiiiliiliiiiil
	.p2align	8
	.type	_ZL18flash_attn_ext_f16ILi112ELi112ELi2ELi8ELb0ELb0EEvPKcS1_S1_S1_S1_PKiPfP15HIP_vector_typeIfLj2EEffffjfiS5_IjLj3EEiiiiiiiiiiiliiliiiiil,@function
_ZL18flash_attn_ext_f16ILi112ELi112ELi2ELi8ELb0ELb0EEvPKcS1_S1_S1_S1_PKiPfP15HIP_vector_typeIfLj2EEffffjfiS5_IjLj3EEiiiiiiiiiiiliiliiiiil: ; @_ZL18flash_attn_ext_f16ILi112ELi112ELi2ELi8ELb0ELb0EEvPKcS1_S1_S1_S1_PKiPfP15HIP_vector_typeIfLj2EEffffjfiS5_IjLj3EEiiiiiiiiiiiliiliiiiil
; %bb.0:
	s_clause 0x2
	s_load_b64 s[2:3], s[0:1], 0x80
	s_load_b128 s[8:11], s[0:1], 0x64
	s_load_b32 s14, s[0:1], 0xd0
	s_waitcnt lgkmcnt(0)
	s_abs_i32 s4, s3
	s_abs_i32 s7, s9
	v_cvt_f32_u32_e32 v1, s4
	s_sub_i32 s6, 0, s4
	v_cvt_f32_u32_e32 v3, s14
	s_delay_alu instid0(VALU_DEP_2) | instskip(SKIP_2) | instid1(VALU_DEP_1)
	v_rcp_iflag_f32_e32 v1, v1
	s_waitcnt_depctr 0xfff
	v_mul_f32_e32 v1, 0x4f7ffffe, v1
	v_cvt_u32_f32_e32 v1, v1
	s_delay_alu instid0(VALU_DEP_1) | instskip(SKIP_1) | instid1(VALU_DEP_2)
	v_readfirstlane_b32 s5, v1
	v_cvt_f32_ubyte0_e32 v1, 0
	s_mul_i32 s6, s6, s5
	s_delay_alu instid0(SALU_CYCLE_1) | instskip(NEXT) | instid1(SALU_CYCLE_1)
	s_mul_hi_u32 s6, s5, s6
	s_add_i32 s5, s5, s6
	s_xor_b32 s6, s9, s3
	s_mul_hi_u32 s5, s7, s5
	s_ashr_i32 s6, s6, 31
	s_mul_i32 s12, s5, s4
	s_delay_alu instid0(SALU_CYCLE_1)
	s_sub_i32 s7, s7, s12
	s_add_i32 s12, s5, 1
	s_sub_i32 s13, s7, s4
	s_cmp_ge_u32 s7, s4
	s_cselect_b32 s5, s12, s5
	s_cselect_b32 s7, s13, s7
	s_add_i32 s12, s5, 1
	s_cmp_ge_u32 s7, s4
	s_cselect_b32 s4, s12, s5
	s_add_i32 s2, s2, 31
	s_xor_b32 s4, s4, s6
	s_add_i32 s5, s8, 1
	s_sub_i32 s33, s4, s6
	s_ashr_i32 s7, s2, 31
	s_add_i32 s4, s33, 7
	s_lshr_b32 s68, s5, 1
	s_lshr_b32 s5, s7, 27
	s_ashr_i32 s6, s4, 31
	s_add_i32 s2, s2, s5
	s_lshr_b32 s5, s6, 29
	s_ashr_i32 s72, s2, 5
	s_add_i32 s4, s4, s5
	s_mul_i32 s69, s68, s72
	s_ashr_i32 s2, s4, 3
	s_delay_alu instid0(SALU_CYCLE_1) | instskip(SKIP_2) | instid1(SALU_CYCLE_1)
	s_mul_i32 s70, s69, s2
	s_mov_b32 s2, 0
	s_mul_i32 s71, s70, s3
	s_mul_i32 s4, s71, s10
	s_delay_alu instid0(SALU_CYCLE_1) | instskip(SKIP_2) | instid1(SALU_CYCLE_1)
	s_ashr_i32 s5, s4, 31
	s_mul_hi_u32 s3, s4, s15
	s_mul_i32 s6, s5, s15
	s_add_i32 s3, s3, s6
	s_mul_i32 s6, s4, s15
	s_cmp_lg_u64 s[2:3], 0
	s_cbranch_scc0 .LBB19_492
; %bb.1:
	v_fmamk_f32 v2, v1, 0x4f800000, v3
	s_sub_u32 s12, 0, s14
	s_subb_u32 s13, 0, 0
	s_delay_alu instid0(VALU_DEP_1) | instskip(SKIP_2) | instid1(VALU_DEP_1)
	v_rcp_f32_e32 v2, v2
	s_waitcnt_depctr 0xfff
	v_mul_f32_e32 v2, 0x5f7ffffc, v2
	v_mul_f32_e32 v4, 0x2f800000, v2
	s_delay_alu instid0(VALU_DEP_1) | instskip(NEXT) | instid1(VALU_DEP_1)
	v_trunc_f32_e32 v4, v4
	v_fmamk_f32 v2, v4, 0xcf800000, v2
	v_cvt_u32_f32_e32 v4, v4
	s_delay_alu instid0(VALU_DEP_2) | instskip(NEXT) | instid1(VALU_DEP_2)
	v_cvt_u32_f32_e32 v2, v2
	v_readfirstlane_b32 s7, v4
	s_delay_alu instid0(VALU_DEP_2) | instskip(NEXT) | instid1(VALU_DEP_2)
	v_readfirstlane_b32 s10, v2
	s_mul_i32 s16, s12, s7
	s_delay_alu instid0(VALU_DEP_1)
	s_mul_hi_u32 s18, s12, s10
	s_mul_i32 s17, s13, s10
	s_add_i32 s16, s18, s16
	s_mul_i32 s19, s12, s10
	s_add_i32 s16, s16, s17
	s_mul_hi_u32 s18, s10, s19
	s_mul_hi_u32 s20, s7, s19
	s_mul_i32 s17, s7, s19
	s_mul_hi_u32 s19, s10, s16
	s_mul_i32 s10, s10, s16
	s_mul_hi_u32 s21, s7, s16
	s_add_u32 s10, s18, s10
	s_addc_u32 s18, 0, s19
	s_add_u32 s10, s10, s17
	s_mul_i32 s16, s7, s16
	s_addc_u32 s10, s18, s20
	s_addc_u32 s17, s21, 0
	s_add_u32 s10, s10, s16
	s_addc_u32 s16, 0, s17
	v_add_co_u32 v2, s10, v2, s10
	s_delay_alu instid0(VALU_DEP_1) | instskip(SKIP_1) | instid1(VALU_DEP_1)
	s_cmp_lg_u32 s10, 0
	s_addc_u32 s7, s7, s16
	v_readfirstlane_b32 s10, v2
	s_mul_i32 s16, s12, s7
	s_delay_alu instid0(VALU_DEP_1)
	s_mul_hi_u32 s17, s12, s10
	s_mul_i32 s13, s13, s10
	s_add_i32 s16, s17, s16
	s_mul_i32 s12, s12, s10
	s_add_i32 s16, s16, s13
	s_mul_hi_u32 s17, s7, s12
	s_mul_i32 s18, s7, s12
	s_mul_hi_u32 s12, s10, s12
	s_mul_hi_u32 s19, s10, s16
	s_mul_i32 s10, s10, s16
	s_mul_hi_u32 s13, s7, s16
	s_add_u32 s10, s12, s10
	s_addc_u32 s12, 0, s19
	s_add_u32 s10, s10, s18
	s_mul_i32 s16, s7, s16
	s_addc_u32 s10, s12, s17
	s_addc_u32 s12, s13, 0
	s_add_u32 s10, s10, s16
	s_addc_u32 s12, 0, s12
	v_add_co_u32 v2, s10, v2, s10
	s_delay_alu instid0(VALU_DEP_1) | instskip(SKIP_2) | instid1(SALU_CYCLE_1)
	s_cmp_lg_u32 s10, 0
	s_addc_u32 s7, s7, s12
	s_ashr_i32 s12, s3, 31
	s_add_u32 s16, s6, s12
	s_addc_u32 s17, s3, s12
	v_readfirstlane_b32 s3, v2
	s_mov_b32 s13, s12
	s_delay_alu instid0(SALU_CYCLE_1) | instskip(NEXT) | instid1(SALU_CYCLE_1)
	s_xor_b64 s[16:17], s[16:17], s[12:13]
	s_mul_i32 s18, s16, s7
	s_delay_alu instid0(VALU_DEP_1)
	s_mul_hi_u32 s19, s16, s3
	s_mul_hi_u32 s10, s16, s7
	;; [unrolled: 1-line block ×3, first 2 shown]
	s_mul_i32 s3, s17, s3
	s_add_u32 s18, s19, s18
	s_addc_u32 s10, 0, s10
	s_mul_hi_u32 s20, s17, s7
	s_add_u32 s3, s18, s3
	s_mul_i32 s7, s17, s7
	s_addc_u32 s3, s10, s21
	s_addc_u32 s10, s20, 0
	s_add_u32 s3, s3, s7
	s_addc_u32 s7, 0, s10
	s_mul_i32 s18, s14, s3
	s_add_u32 s10, s3, 1
	v_sub_co_u32 v2, s16, s16, s18
	s_mul_hi_u32 s18, s14, s3
	s_addc_u32 s19, s7, 0
	s_mul_i32 s20, s14, s7
	s_delay_alu instid0(VALU_DEP_1)
	v_sub_co_u32 v4, s21, v2, s14
	s_add_u32 s22, s3, 2
	s_addc_u32 s23, s7, 0
	s_add_i32 s18, s18, s20
	s_cmp_lg_u32 s16, 0
	v_readfirstlane_b32 s16, v4
	s_subb_u32 s17, s17, s18
	s_cmp_lg_u32 s21, 0
	s_subb_u32 s18, s17, 0
	s_delay_alu instid0(VALU_DEP_1) | instskip(SKIP_4) | instid1(SALU_CYCLE_1)
	s_cmp_ge_u32 s16, s14
	s_cselect_b32 s16, -1, 0
	s_cmp_eq_u32 s18, 0
	v_readfirstlane_b32 s18, v2
	s_cselect_b32 s16, s16, -1
	s_cmp_lg_u32 s16, 0
	s_cselect_b32 s10, s22, s10
	s_cselect_b32 s16, s23, s19
	s_cmp_ge_u32 s18, s14
	s_cselect_b32 s18, -1, 0
	s_cmp_eq_u32 s17, 0
	s_cselect_b32 s17, s18, -1
	s_delay_alu instid0(SALU_CYCLE_1) | instskip(SKIP_2) | instid1(SALU_CYCLE_1)
	s_cmp_lg_u32 s17, 0
	s_cselect_b32 s17, s16, s7
	s_cselect_b32 s16, s10, s3
	s_xor_b64 s[16:17], s[16:17], s[12:13]
	s_delay_alu instid0(SALU_CYCLE_1)
	s_sub_u32 s50, s16, s12
	s_load_b64 s[48:49], s[0:1], 0x74
	v_cvt_f32_u32_e32 v2, s14
	s_and_not1_b32 vcc_lo, exec_lo, s2
	s_cbranch_vccnz .LBB19_3
.LBB19_2:
	s_delay_alu instid0(VALU_DEP_1) | instskip(SKIP_3) | instid1(VALU_DEP_1)
	v_rcp_iflag_f32_e32 v4, v2
	s_sub_i32 s3, 0, s14
	s_waitcnt_depctr 0xfff
	v_mul_f32_e32 v4, 0x4f7ffffe, v4
	v_cvt_u32_f32_e32 v4, v4
	s_delay_alu instid0(VALU_DEP_1) | instskip(NEXT) | instid1(VALU_DEP_1)
	v_readfirstlane_b32 s2, v4
	s_mul_i32 s3, s3, s2
	s_delay_alu instid0(SALU_CYCLE_1) | instskip(NEXT) | instid1(SALU_CYCLE_1)
	s_mul_hi_u32 s3, s2, s3
	s_add_i32 s2, s2, s3
	s_delay_alu instid0(SALU_CYCLE_1) | instskip(NEXT) | instid1(SALU_CYCLE_1)
	s_mul_hi_u32 s2, s6, s2
	s_mul_i32 s3, s2, s14
	s_delay_alu instid0(SALU_CYCLE_1)
	s_sub_i32 s3, s6, s3
	s_add_i32 s6, s2, 1
	s_sub_i32 s7, s3, s14
	s_cmp_ge_u32 s3, s14
	s_cselect_b32 s2, s6, s2
	s_cselect_b32 s3, s7, s3
	s_add_i32 s6, s2, 1
	s_cmp_ge_u32 s3, s14
	s_cselect_b32 s50, s6, s2
.LBB19_3:
	s_add_i32 s6, s15, 1
	s_delay_alu instid0(SALU_CYCLE_1) | instskip(SKIP_4) | instid1(SALU_CYCLE_1)
	s_mul_i32 s2, s5, s6
	s_mul_hi_u32 s3, s4, s6
	s_mul_i32 s4, s4, s6
	s_add_i32 s3, s3, s2
	s_mov_b32 s2, 0
	s_cmp_lg_u64 s[2:3], 0
	s_cbranch_scc0 .LBB19_493
; %bb.4:
	v_fmamk_f32 v1, v1, 0x4f800000, v3
	s_sub_u32 s7, 0, s14
	s_subb_u32 s10, 0, 0
	s_delay_alu instid0(VALU_DEP_1) | instskip(SKIP_2) | instid1(VALU_DEP_1)
	v_rcp_f32_e32 v1, v1
	s_waitcnt_depctr 0xfff
	v_mul_f32_e32 v1, 0x5f7ffffc, v1
	v_mul_f32_e32 v3, 0x2f800000, v1
	s_delay_alu instid0(VALU_DEP_1) | instskip(NEXT) | instid1(VALU_DEP_1)
	v_trunc_f32_e32 v3, v3
	v_fmamk_f32 v1, v3, 0xcf800000, v1
	v_cvt_u32_f32_e32 v3, v3
	s_delay_alu instid0(VALU_DEP_2) | instskip(NEXT) | instid1(VALU_DEP_2)
	v_cvt_u32_f32_e32 v1, v1
	v_readfirstlane_b32 s5, v3
	s_delay_alu instid0(VALU_DEP_2) | instskip(NEXT) | instid1(VALU_DEP_2)
	v_readfirstlane_b32 s6, v1
	s_mul_i32 s12, s7, s5
	s_delay_alu instid0(VALU_DEP_1)
	s_mul_hi_u32 s16, s7, s6
	s_mul_i32 s13, s10, s6
	s_add_i32 s12, s16, s12
	s_mul_i32 s17, s7, s6
	s_add_i32 s12, s12, s13
	s_mul_hi_u32 s16, s6, s17
	s_mul_hi_u32 s18, s5, s17
	s_mul_i32 s13, s5, s17
	s_mul_hi_u32 s17, s6, s12
	s_mul_i32 s6, s6, s12
	s_mul_hi_u32 s19, s5, s12
	s_add_u32 s6, s16, s6
	s_addc_u32 s16, 0, s17
	s_add_u32 s6, s6, s13
	s_mul_i32 s12, s5, s12
	s_addc_u32 s6, s16, s18
	s_addc_u32 s13, s19, 0
	s_add_u32 s6, s6, s12
	s_addc_u32 s12, 0, s13
	v_add_co_u32 v1, s6, v1, s6
	s_delay_alu instid0(VALU_DEP_1) | instskip(SKIP_1) | instid1(VALU_DEP_1)
	s_cmp_lg_u32 s6, 0
	s_addc_u32 s5, s5, s12
	v_readfirstlane_b32 s6, v1
	s_mul_i32 s12, s7, s5
	s_delay_alu instid0(VALU_DEP_1)
	s_mul_hi_u32 s13, s7, s6
	s_mul_i32 s10, s10, s6
	s_add_i32 s12, s13, s12
	s_mul_i32 s7, s7, s6
	s_add_i32 s12, s12, s10
	s_mul_hi_u32 s13, s5, s7
	s_mul_i32 s16, s5, s7
	s_mul_hi_u32 s7, s6, s7
	s_mul_hi_u32 s17, s6, s12
	s_mul_i32 s6, s6, s12
	s_mul_hi_u32 s10, s5, s12
	s_add_u32 s6, s7, s6
	s_addc_u32 s7, 0, s17
	s_add_u32 s6, s6, s16
	s_mul_i32 s12, s5, s12
	s_addc_u32 s6, s7, s13
	s_addc_u32 s7, s10, 0
	s_add_u32 s6, s6, s12
	s_addc_u32 s7, 0, s7
	v_add_co_u32 v1, s6, v1, s6
	s_delay_alu instid0(VALU_DEP_1) | instskip(SKIP_2) | instid1(SALU_CYCLE_1)
	s_cmp_lg_u32 s6, 0
	s_addc_u32 s5, s5, s7
	s_ashr_i32 s6, s3, 31
	s_add_u32 s12, s4, s6
	s_addc_u32 s13, s3, s6
	v_readfirstlane_b32 s3, v1
	s_mov_b32 s7, s6
	s_delay_alu instid0(SALU_CYCLE_1) | instskip(NEXT) | instid1(SALU_CYCLE_1)
	s_xor_b64 s[12:13], s[12:13], s[6:7]
	s_mul_i32 s16, s12, s5
	s_delay_alu instid0(VALU_DEP_1)
	s_mul_hi_u32 s17, s12, s3
	s_mul_hi_u32 s10, s12, s5
	;; [unrolled: 1-line block ×3, first 2 shown]
	s_mul_i32 s3, s13, s3
	s_add_u32 s16, s17, s16
	s_addc_u32 s10, 0, s10
	s_mul_hi_u32 s18, s13, s5
	s_add_u32 s3, s16, s3
	s_mul_i32 s5, s13, s5
	s_addc_u32 s3, s10, s19
	s_addc_u32 s10, s18, 0
	s_add_u32 s3, s3, s5
	s_addc_u32 s5, 0, s10
	s_mul_i32 s16, s14, s3
	s_add_u32 s10, s3, 1
	v_sub_co_u32 v1, s12, s12, s16
	s_mul_hi_u32 s16, s14, s3
	s_addc_u32 s17, s5, 0
	s_mul_i32 s18, s14, s5
	s_delay_alu instid0(VALU_DEP_1)
	v_sub_co_u32 v3, s19, v1, s14
	s_add_u32 s20, s3, 2
	s_addc_u32 s21, s5, 0
	s_add_i32 s16, s16, s18
	s_cmp_lg_u32 s12, 0
	v_readfirstlane_b32 s12, v3
	s_subb_u32 s13, s13, s16
	s_cmp_lg_u32 s19, 0
	s_subb_u32 s16, s13, 0
	s_delay_alu instid0(VALU_DEP_1) | instskip(SKIP_4) | instid1(SALU_CYCLE_1)
	s_cmp_ge_u32 s12, s14
	s_cselect_b32 s12, -1, 0
	s_cmp_eq_u32 s16, 0
	v_readfirstlane_b32 s16, v1
	s_cselect_b32 s12, s12, -1
	s_cmp_lg_u32 s12, 0
	s_cselect_b32 s10, s20, s10
	s_cselect_b32 s12, s21, s17
	s_cmp_ge_u32 s16, s14
	s_cselect_b32 s16, -1, 0
	s_cmp_eq_u32 s13, 0
	s_cselect_b32 s13, s16, -1
	s_delay_alu instid0(SALU_CYCLE_1) | instskip(SKIP_2) | instid1(SALU_CYCLE_1)
	s_cmp_lg_u32 s13, 0
	s_cselect_b32 s13, s12, s5
	s_cselect_b32 s12, s10, s3
	s_xor_b64 s[12:13], s[12:13], s[6:7]
	s_delay_alu instid0(SALU_CYCLE_1)
	s_sub_u32 s54, s12, s6
	s_load_b64 s[34:35], s[0:1], 0x5c
	s_and_not1_b32 vcc_lo, exec_lo, s2
	s_cbranch_vccnz .LBB19_6
.LBB19_5:
	v_rcp_iflag_f32_e32 v1, v2
	s_sub_i32 s3, 0, s14
	s_waitcnt_depctr 0xfff
	v_mul_f32_e32 v1, 0x4f7ffffe, v1
	s_delay_alu instid0(VALU_DEP_1) | instskip(NEXT) | instid1(VALU_DEP_1)
	v_cvt_u32_f32_e32 v1, v1
	v_readfirstlane_b32 s2, v1
	s_delay_alu instid0(VALU_DEP_1) | instskip(NEXT) | instid1(SALU_CYCLE_1)
	s_mul_i32 s3, s3, s2
	s_mul_hi_u32 s3, s2, s3
	s_delay_alu instid0(SALU_CYCLE_1) | instskip(NEXT) | instid1(SALU_CYCLE_1)
	s_add_i32 s2, s2, s3
	s_mul_hi_u32 s2, s4, s2
	s_delay_alu instid0(SALU_CYCLE_1) | instskip(NEXT) | instid1(SALU_CYCLE_1)
	s_mul_i32 s3, s2, s14
	s_sub_i32 s3, s4, s3
	s_add_i32 s4, s2, 1
	s_sub_i32 s5, s3, s14
	s_cmp_ge_u32 s3, s14
	s_cselect_b32 s2, s4, s2
	s_cselect_b32 s3, s5, s3
	s_add_i32 s4, s2, 1
	s_cmp_ge_u32 s3, s14
	s_cselect_b32 s54, s4, s2
.LBB19_6:
	s_abs_i32 s73, s72
	v_bfe_u32 v88, v0, 10, 10
	v_cvt_f32_u32_e32 v1, s73
	s_clause 0x6
	s_load_b512 s[16:31], s[0:1], 0x0
	s_load_b32 s2, s[0:1], 0x40
	s_load_b64 s[46:47], s[0:1], 0x8c
	s_load_b128 s[36:39], s[0:1], 0x98
	s_load_b64 s[42:43], s[0:1], 0xa8
	s_load_b64 s[52:53], s[0:1], 0xb8
	;; [unrolled: 1-line block ×3, first 2 shown]
	s_sub_i32 s3, 0, s73
	s_abs_i32 s1, s50
	v_rcp_iflag_f32_e32 v1, v1
	s_ashr_i32 s51, s11, 3
	s_waitcnt lgkmcnt(0)
	s_ashr_i32 s55, s48, 3
	s_ashr_i32 s0, s50, 31
	;; [unrolled: 1-line block ×3, first 2 shown]
	v_and_b32_e32 v89, 0x3ff, v0
	v_lshrrev_b32_e32 v0, 3, v88
	v_lshlrev_b32_e32 v7, 1, v88
	v_lshlrev_b32_e32 v91, 3, v88
	s_waitcnt_depctr 0xfff
	v_dual_mul_f32 v1, 0x4f7ffffe, v1 :: v_dual_and_b32 v86, 1, v88
	v_lshlrev_b32_e32 v90, 4, v88
	scratch_store_b32 off, v0, off offset:160 ; 4-byte Folded Spill
	v_and_b32_e32 v96, 7, v88
	s_ashr_i32 s10, s38, 2
	v_cvt_u32_f32_e32 v1, v1
	s_ashr_i32 s12, s46, 2
	s_ashr_i32 s40, s53, 1
	v_cvt_f16_f32_e32 v0, s2
	v_add_nc_u32_e32 v99, 2, v88
	v_readfirstlane_b32 s75, v1
	v_add_nc_u32_e32 v98, 4, v88
	v_add_nc_u32_e32 v97, 6, v88
	;; [unrolled: 1-line block ×4, first 2 shown]
	s_mul_i32 s3, s3, s75
	v_add_nc_u32_e32 v93, 12, v88
	s_mul_hi_u32 s3, s75, s3
	v_pack_b32_f16 v167, v0, v0
	s_add_i32 s75, s75, s3
	v_add_nc_u32_e32 v92, 14, v88
	s_mul_hi_u32 s3, s1, s75
	s_mov_b32 s57, 0
	s_mul_i32 s3, s3, s73
	s_clause 0x2
	scratch_store_b32 off, v7, off offset:720
	scratch_store_b32 off, v88, off offset:156
	;; [unrolled: 1-line block ×3, first 2 shown]
	s_sub_i32 s1, s1, s3
	s_delay_alu instid0(SALU_CYCLE_1) | instskip(SKIP_2) | instid1(SALU_CYCLE_1)
	s_sub_i32 s3, s1, s73
	s_cmp_ge_u32 s1, s73
	s_cselect_b32 s1, s3, s1
	s_sub_i32 s3, s1, s73
	s_cmp_ge_u32 s1, s73
	s_cselect_b32 s1, s3, s1
	s_sub_i32 s3, s54, s50
	s_xor_b32 s1, s1, s0
	s_delay_alu instid0(SALU_CYCLE_1) | instskip(NEXT) | instid1(SALU_CYCLE_1)
	s_sub_i32 s102, s1, s0
	s_add_i32 s3, s3, s102
	s_delay_alu instid0(SALU_CYCLE_1)
	s_min_i32 s92, s72, s3
	s_cmp_gt_i32 s54, s50
	s_cselect_b32 s4, -1, 0
	s_cmp_le_i32 s54, s50
	s_cselect_b32 s0, -1, 0
	s_cmp_gt_i32 s72, s3
	s_cselect_b32 s1, -1, 0
	s_delay_alu instid0(SALU_CYCLE_1) | instskip(NEXT) | instid1(SALU_CYCLE_1)
	s_or_b32 s0, s1, s0
	s_and_b32 vcc_lo, exec_lo, s0
	s_cbranch_vccz .LBB19_9
; %bb.7:
	s_and_not1_b32 vcc_lo, exec_lo, s4
	s_cbranch_vccz .LBB19_429
.LBB19_8:
	s_endpgm
.LBB19_9:
	s_cmp_eq_u64 s[24:25], 0
	v_lshrrev_b32_e32 v216, 4, v89
	s_cselect_b32 s38, -1, 0
	s_cmp_lg_u64 s[26:27], 0
	v_lshlrev_b32_e32 v0, 1, v89
	s_cselect_b32 s46, -1, 0
	s_lshl_b32 s56, s15, 4
	s_ashr_i32 s41, s40, 31
	s_lshl_b64 s[4:5], s[56:57], 3
	s_ashr_i32 s13, s12, 31
	s_lshl_b32 s1, s12, 3
	s_ashr_i32 s11, s10, 31
	s_lshl_b32 s2, s10, 3
	s_add_u32 s4, s30, s4
	s_addc_u32 s5, s31, s5
	s_abs_i32 s78, s69
	v_add_nc_u32_e32 v12, v216, v7
	v_cvt_f32_u32_e32 v39, s78
	v_and_b32_e32 v24, 0x1f0, v91
	s_abs_i32 s77, s70
	v_lshlrev_b32_e32 v21, 2, v89
	v_mul_u32_u24_e32 v1, 0x50, v12
	v_rcp_iflag_f32_e32 v39, v39
	v_and_b32_e32 v2, 30, v0
	v_lshrrev_b32_e32 v0, 1, v89
	v_and_b32_e32 v28, 16, v90
	v_cvt_f32_u32_e32 v38, s77
	v_and_b32_e32 v204, 4, v21
	s_clause 0x1
	scratch_store_b32 off, v2, off offset:300
	scratch_store_b32 off, v90, off offset:756
	v_lshlrev_b32_e32 v2, 1, v2
	v_add_nc_u32_e32 v20, v90, v0
	v_lshrrev_b32_e32 v0, 2, v89
	v_lshlrev_b32_e32 v5, 1, v28
	v_lshlrev_b32_e32 v6, 1, v216
	v_add3_u32 v169, 0, v1, v2
	v_and_or_b32 v1, v89, 8, v24
	v_dual_mov_b32 v206, 0 :: v_dual_add_nc_u32 v29, v0, v91
	v_rcp_iflag_f32_e32 v38, v38
	v_and_b32_e32 v100, 15, v89
	s_delay_alu instid0(VALU_DEP_3)
	v_lshrrev_b32_e32 v0, 3, v1
	v_mad_u32_u24 v2, 0xf0, v20, 0
	v_and_b32_e32 v221, 12, v21
	v_lshlrev_b32_e32 v1, 2, v204
	v_lshrrev_b32_e32 v16, 1, v88
	v_mad_u32_u24 v0, 0x50, v0, 0
	v_mul_u32_u24_e32 v3, 0xf0, v29
	v_lshlrev_b32_e32 v4, 2, v221
	v_add3_u32 v222, v2, v1, 0xc0
	v_add_nc_u32_e32 v2, 1, v16
	v_add3_u32 v223, v0, v5, v6
	v_or_b32_e32 v0, v90, v100
	v_lshrrev_b32_e32 v25, 3, v89
	v_add3_u32 v30, 0, v3, v4
	v_lshlrev_b32_e32 v5, 1, v2
	v_add_nc_u32_e32 v3, 2, v16
	v_mul_u32_u24_e32 v0, 0xf0, v0
	v_add_nc_u32_e32 v4, 3, v16
	v_add_nc_u32_e32 v58, 8, v16
	;; [unrolled: 1-line block ×3, first 2 shown]
	s_abs_i32 s53, s52
	v_add3_u32 v224, 0, v0, v6
	v_and_b32_e32 v6, 15, v2
	v_add_nc_u32_e32 v0, v25, v7
	v_and_b32_e32 v7, 15, v3
	v_lshlrev_b32_e32 v8, 1, v4
	v_and_b32_e32 v9, 15, v4
	v_and_or_b32 v53, 0x60, v5, v6
	v_add_nc_u32_e32 v5, 4, v16
	v_lshlrev_b32_e32 v6, 1, v3
	v_add_nc_u32_e32 v70, 8, v1
	v_and_or_b32 v55, 0x60, v8, v9
	v_add_nc_u32_e32 v8, 7, v16
	v_lshlrev_b32_e32 v10, 1, v5
	v_and_b32_e32 v11, 15, v5
	v_and_or_b32 v54, 0x60, v6, v7
	v_add_nc_u32_e32 v6, 5, v16
	v_add_nc_u32_e32 v7, 6, v16
	v_lshlrev_b32_e32 v14, 1, v8
	v_and_or_b32 v56, 0x60, v10, v11
	v_and_b32_e32 v15, 15, v8
	v_lshlrev_b32_e32 v9, 1, v6
	v_and_b32_e32 v10, 15, v6
	v_lshlrev_b32_e32 v11, 1, v7
	v_and_b32_e32 v13, 15, v7
	v_and_or_b32 v60, 0x60, v14, v15
	v_and_b32_e32 v14, 15, v58
	v_and_or_b32 v57, 0x60, v9, v10
	v_add_nc_u32_e32 v9, 9, v16
	v_add_nc_u32_e32 v10, 10, v16
	v_and_or_b32 v59, 0x60, v11, v13
	v_lshlrev_b32_e32 v13, 1, v58
	v_add_nc_u32_e32 v11, 11, v16
	v_lshlrev_b32_e32 v15, 1, v9
	v_and_b32_e32 v17, 15, v9
	v_lshlrev_b32_e32 v18, 1, v10
	v_and_b32_e32 v19, 15, v10
	v_and_or_b32 v61, 0x60, v13, v14
	v_add_nc_u32_e32 v14, 13, v16
	v_and_or_b32 v62, 0x60, v15, v17
	v_lshlrev_b32_e32 v17, 1, v11
	v_and_or_b32 v63, 0x60, v18, v19
	v_and_b32_e32 v18, 15, v11
	v_add_nc_u32_e32 v15, 14, v16
	v_lshlrev_b32_e32 v23, 1, v14
	v_and_b32_e32 v26, 15, v14
	v_add_nc_u32_e32 v13, 12, v16
	v_and_or_b32 v64, 0x60, v17, v18
	v_lshlrev_b32_e32 v27, 1, v15
	v_and_b32_e32 v31, 15, v15
	v_add_nc_u32_e32 v17, 2, v1
	v_and_or_b32 v66, 0x60, v23, v26
	v_lshlrev_b32_e32 v19, 1, v13
	v_and_b32_e32 v22, 15, v13
	v_and_or_b32 v67, 0x60, v27, v31
	v_lshlrev_b32_e32 v26, 1, v17
	v_and_b32_e32 v27, 15, v17
	v_add_nc_u32_e32 v16, 15, v16
	v_and_or_b32 v65, 0x60, v19, v22
	v_lshlrev_b32_e32 v22, 1, v1
	v_add_nc_u32_e32 v18, 4, v1
	v_and_or_b32 v71, 0x1e0, v26, v27
	v_add_nc_u32_e32 v26, 14, v1
	v_lshlrev_b32_e32 v32, 1, v16
	v_and_b32_e32 v33, 15, v16
	v_and_b32_e32 v23, 15, v1
	v_add_nc_u32_e32 v19, 6, v1
	v_lshlrev_b32_e32 v36, 1, v26
	v_and_b32_e32 v37, 15, v26
	v_and_or_b32 v68, 0x60, v32, v33
	v_lshlrev_b32_e32 v31, 1, v18
	v_and_b32_e32 v32, 15, v18
	v_lshlrev_b32_e32 v33, 1, v19
	v_and_b32_e32 v34, 15, v19
	v_and_or_b32 v69, 0xe0, v22, v23
	v_add_nc_u32_e32 v22, 10, v1
	v_add_nc_u32_e32 v23, 12, v1
	v_and_or_b32 v77, 0x1e0, v36, v37
	v_cvt_f32_u32_e32 v36, s53
	v_and_or_b32 v72, 0x1e0, v31, v32
	v_and_or_b32 v73, 0x1e0, v33, v34
	v_lshlrev_b32_e32 v27, 1, v70
	v_and_b32_e32 v31, 15, v70
	v_lshlrev_b32_e32 v32, 1, v22
	v_and_b32_e32 v33, 15, v22
	;; [unrolled: 2-line block ×3, first 2 shown]
	v_add_nc_u32_e32 v78, 8, v0
	v_rcp_iflag_f32_e32 v36, v36
	s_abs_i32 s76, s71
	v_and_or_b32 v74, 0x1e0, v27, v31
	v_and_or_b32 v75, 0x1e0, v32, v33
	;; [unrolled: 1-line block ×3, first 2 shown]
	v_lshlrev_b32_e32 v31, 1, v0
	v_and_b32_e32 v32, 15, v0
	v_lshlrev_b32_e32 v35, 1, v78
	v_cvt_f32_u32_e32 v37, s76
	v_and_b32_e32 v40, 15, v78
	v_add_nc_u32_e32 v27, 4, v0
	v_and_or_b32 v80, 0x1e0, v31, v32
	v_mul_f32_e32 v31, 0x4f7ffffe, v36
	v_rcp_iflag_f32_e32 v37, v37
	v_and_or_b32 v82, 0x3e0, v35, v40
	v_mul_f32_e32 v35, 0x4f7ffffe, v38
	v_lshlrev_b32_e32 v33, 1, v27
	v_and_b32_e32 v34, 15, v27
	v_cvt_u32_f32_e32 v36, v31
	v_lshl_add_u32 v84, v88, 2, v25
	v_cvt_u32_f32_e32 v35, v35
	s_sub_i32 s0, 0, s53
	v_and_or_b32 v81, 0x3e0, v33, v34
	v_mul_f32_e32 v33, 0x4f7ffffe, v37
	v_mul_lo_u32 v37, s0, v36
	v_readfirstlane_b32 s6, v35
	v_mul_lo_u32 v35, s12, v84
	v_mul_lo_u32 v41, s10, v84
	v_mad_u32_u24 v28, 0xf0, v28, 0
	v_mul_f32_e32 v31, 0x4f7ffffe, v39
	v_cmp_gt_u32_e64 s0, 2, v12
	v_and_b32_e32 v229, 28, v21
	v_mul_hi_u32 v25, v36, v37
	v_lshl_add_u32 v85, v100, 1, v28
	v_add_nc_u32_e32 v37, s1, v35
	v_add_nc_u32_e32 v45, s2, v41
	v_mad_u32_u24 v230, 0xf0, v100, v28
	v_or_b32_e32 v28, v91, v89
	v_add_nc_u32_e32 v231, 32, v85
	v_add_nc_u32_e32 v232, 64, v85
	;; [unrolled: 1-line block ×9, first 2 shown]
	v_lshlrev_b32_e32 v28, 3, v28
	v_and_b32_e32 v90, 7, v12
	v_mul_u32_u24_e32 v85, 0xf0, v85
	v_add_nc_u32_e32 v43, s1, v39
	v_add_nc_u32_e32 v51, s2, v49
	v_cmp_eq_u32_e64 s1, 0, v86
	v_cmp_eq_u32_e64 s2, 1, v86
	v_add_co_u32 v86, s4, s4, v28
	s_delay_alu instid0(VALU_DEP_1)
	v_add_co_ci_u32_e64 v87, null, s5, 0, s4
	v_lshrrev_b32_e32 v28, 3, v12
	scratch_store_b32 off, v85, off offset:168 ; 4-byte Folded Spill
	v_mad_u32_u24 v85, v88, 60, v89
	scratch_store_b64 off, v[86:87], off offset:604 ; 8-byte Folded Spill
	v_add_nc_u32_e32 v86, 8, v12
	s_clause 0x1
	scratch_store_b32 off, v28, off offset:172
	scratch_store_b32 off, v100, off offset:404
	v_lshl_add_u32 v238, v85, 2, 0
	v_mad_u32_u24 v28, v12, 60, v100
	v_add_nc_u32_e32 v85, 4, v12
	v_add_nc_u32_e32 v87, 12, v12
	;; [unrolled: 1-line block ×3, first 2 shown]
	v_cvt_u32_f32_e32 v38, v31
	v_lshl_add_u32 v183, v28, 2, 0
	v_lshrrev_b32_e32 v12, 3, v85
	v_and_b32_e32 v28, 7, v85
	v_lshrrev_b32_e32 v85, 3, v86
	v_lshlrev_b32_e32 v32, 1, v79
	v_and_b32_e32 v34, 15, v79
	s_clause 0x2
	scratch_store_b32 off, v12, off offset:180
	scratch_store_b32 off, v91, off offset:760
	;; [unrolled: 1-line block ×3, first 2 shown]
	v_or_b32_e32 v12, 32, v100
	v_lshrrev_b32_e32 v85, 3, v87
	v_and_or_b32 v83, 0x3e0, v32, v34
	v_mul_lo_u32 v31, s12, v20
	v_mul_lo_u32 v20, s10, v20
	v_mad_u64_u32 v[162:163], null, v90, s55, v[12:13]
	scratch_store_b32 off, v85, off offset:192 ; 4-byte Folded Spill
	v_and_b32_e32 v85, 7, v87
	v_mad_u64_u32 v[86:87], null, v28, s55, v[12:13]
	v_cvt_u32_f32_e32 v33, v33
	v_ashrrev_i32_e32 v21, 31, v20
	v_add_nc_u32_e32 v227, 0x80, v30
	v_add_nc_u32_e32 v228, 0xf80, v30
	v_mad_u32_u24 v24, 0xf0, v24, 0
	v_readfirstlane_b32 s56, v33
	scratch_store_b64 off, v[86:87], off offset:328 ; 8-byte Folded Spill
	v_mad_u64_u32 v[86:87], null, v85, s55, v[12:13]
	v_mad_u32_u24 v12, 0xf0, v84, 0
	v_mul_lo_u32 v33, s12, v29
	v_mul_lo_u32 v29, s10, v29
	v_add_nc_u32_e32 v25, v36, v25
	v_ashrrev_i32_e32 v32, 31, v31
	v_lshl_add_u32 v250, v229, 2, v12
	scratch_store_b64 off, v[86:87], off offset:336 ; 8-byte Folded Spill
	v_and_b32_e32 v86, 7, v89
	v_lshrrev_b32_e32 v87, 3, v84
	scratch_store_b32 off, v85, off offset:196 ; 4-byte Folded Spill
	v_add_nc_u32_e32 v85, 8, v84
	v_ashrrev_i32_e32 v30, 31, v29
	v_lshl_add_u32 v12, v86, 2, v12
	scratch_store_b32 off, v28, off offset:184 ; 4-byte Folded Spill
	v_bfe_u32 v28, v88, 1, 4
	v_lshl_add_u32 v47, s10, 4, v29
	v_lshlrev_b64 v[29:30], 2, v[29:30]
	scratch_store_b32 off, v12, off offset:152 ; 4-byte Folded Spill
	v_lshrrev_b32_e32 v12, 3, v85
	v_and_or_b32 v28, v88, 32, v28
	scratch_store_b32 off, v87, off offset:200 ; 4-byte Folded Spill
	v_and_b32_e32 v87, 7, v84
	v_ashrrev_i32_e32 v48, 31, v47
	v_ashrrev_i32_e32 v34, 31, v33
	v_mad_u32_u24 v84, v28, 60, v89
	v_mul_u32_u24_e32 v28, 0xf0, v28
	scratch_store_b32 off, v12, off offset:208 ; 4-byte Folded Spill
	v_mad_u32_u24 v12, v53, 60, v89
	v_mul_u32_u24_e32 v53, 0xf0, v53
	v_lshlrev_b64 v[189:190], 2, v[33:34]
	s_sub_i32 s4, 0, s76
	v_readfirstlane_b32 s7, v38
	v_lshl_add_u32 v12, v12, 2, 0
	scratch_store_b32 off, v53, off offset:612 ; 4-byte Folded Spill
	v_mul_u32_u24_e32 v53, 0xf0, v54
	s_mul_i32 s4, s4, s56
	v_ashrrev_i32_e32 v42, 31, v41
	s_mul_hi_u32 s4, s56, s4
	v_ashrrev_i32_e32 v46, 31, v45
	scratch_store_b32 off, v53, off offset:672 ; 4-byte Folded Spill
	v_mul_u32_u24_e32 v53, 0xf0, v55
	s_add_i32 s81, s56, s4
	s_sub_i32 s4, 0, s78
	v_ashrrev_i32_e32 v50, 31, v49
	s_mul_i32 s4, s4, s7
	scratch_store_b32 off, v53, off offset:724 ; 4-byte Folded Spill
	v_mul_u32_u24_e32 v53, 0xf0, v56
	s_mul_hi_u32 s4, s7, s4
	v_ashrrev_i32_e32 v52, 31, v51
	s_add_i32 s85, s7, s4
	v_ashrrev_i32_e32 v36, 31, v35
	scratch_store_b32 off, v53, off offset:808 ; 4-byte Folded Spill
	v_mul_u32_u24_e32 v53, 0xf0, v57
	v_lshlrev_b64 v[253:254], 2, v[51:52]
	v_ashrrev_i32_e32 v38, 31, v37
	v_lshlrev_b64 v[219:220], 2, v[35:36]
	v_ashrrev_i32_e32 v40, 31, v39
	scratch_store_b32 off, v53, off offset:848 ; 4-byte Folded Spill
	v_mul_u32_u24_e32 v53, 0xf0, v59
	v_lshlrev_b64 v[187:188], 2, v[37:38]
	v_ashrrev_i32_e32 v44, 31, v43
	v_lshlrev_b64 v[240:241], 2, v[39:40]
	s_sub_i32 s5, 0, s77
	scratch_store_b32 off, v53, off offset:888 ; 4-byte Folded Spill
	v_mul_u32_u24_e32 v53, 0xf0, v61
	v_lshlrev_b64 v[201:202], 2, v[43:44]
	s_mul_i32 s5, s5, s6
	v_cmp_gt_u32_e64 s3, 16, v89
	v_add_nc_u32_e32 v173, 0x780, v250
	scratch_store_b32 off, v53, off offset:940 ; 4-byte Folded Spill
	v_mul_u32_u24_e32 v53, 0xf0, v62
	v_add_nc_u32_e32 v166, 0xf00, v250
	v_add_nc_u32_e32 v164, 0x1680, v250
	v_xor_b32_e32 v179, 1, v216
	v_mad_i32_i24 v203, 0xffffff12, v100, v230
	scratch_store_b32 off, v53, off offset:960 ; 4-byte Folded Spill
	v_mul_u32_u24_e32 v53, 0xf0, v63
	v_lshlrev_b32_e32 v129, 4, v86
	v_mbcnt_lo_u32_b32 v174, -1, 0
	s_mul_hi_u32 s5, s6, s5
	s_mul_i32 s79, s8, s9
	scratch_store_b32 off, v53, off offset:980 ; 4-byte Folded Spill
	v_mul_u32_u24_e32 v53, 0xf0, v64
	s_ashr_i32 s80, s71, 31
	s_ashr_i32 s82, s70, 31
	s_add_i32 s83, s6, s5
	s_ashr_i32 s84, s69, 31
	scratch_store_b32 off, v53, off offset:1000 ; 4-byte Folded Spill
	v_mul_u32_u24_e32 v53, 0xf0, v65
	s_lshl_b64 s[58:59], s[40:41], 1
	s_lshl_b64 s[60:61], s[10:11], 7
	s_lshl_b64 s[62:63], s[12:13], 7
	s_clause 0x1
	scratch_store_b64 off, v[29:30], off offset:8
	scratch_store_b32 off, v53, off offset:1020
	v_mul_u32_u24_e32 v53, 0xf0, v66
	s_clause 0x1
	scratch_store_b32 off, v25, off offset:288
	scratch_store_b32 off, v53, off offset:1040
	v_mul_u32_u24_e32 v53, 0xf0, v67
	scratch_store_b32 off, v53, off offset:1060 ; 4-byte Folded Spill
	v_mul_u32_u24_e32 v53, 0xf0, v68
	scratch_store_b32 off, v53, off offset:1072 ; 4-byte Folded Spill
	v_mul_u32_u24_e32 v53, 0xf0, v69
	s_clause 0x1
	scratch_store_b32 off, v28, off offset:432
	scratch_store_b32 off, v12, off offset:616
	v_mad_u32_u24 v12, v55, 60, v89
	v_lshl_add_u32 v28, v84, 2, 0
	scratch_store_b32 off, v53, off offset:440 ; 4-byte Folded Spill
	v_mul_u32_u24_e32 v53, 0xf0, v71
	v_lshl_add_u32 v12, v12, 2, 0
	scratch_store_b32 off, v53, off offset:620 ; 4-byte Folded Spill
	v_mul_u32_u24_e32 v53, 0xf0, v72
	scratch_store_b32 off, v12, off offset:728 ; 4-byte Folded Spill
	v_mad_u32_u24 v12, v57, 60, v89
	scratch_store_b32 off, v53, off offset:680 ; 4-byte Folded Spill
	v_mul_u32_u24_e32 v53, 0xf0, v74
	v_lshl_add_u32 v12, v12, 2, 0
	s_clause 0x1
	scratch_store_b32 off, v53, off offset:816
	scratch_store_b32 off, v12, off offset:852
	v_mad_u32_u24 v12, v60, 60, v89
	v_mul_u32_u24_e32 v53, 0xf0, v75
	s_delay_alu instid0(VALU_DEP_2)
	v_lshl_add_u32 v12, v12, 2, 0
	scratch_store_b32 off, v53, off offset:856 ; 4-byte Folded Spill
	v_mul_u32_u24_e32 v53, 0xf0, v76
	scratch_store_b32 off, v12, off offset:916 ; 4-byte Folded Spill
	v_lshrrev_b32_e32 v12, 3, v58
	scratch_store_b32 off, v53, off offset:896 ; 4-byte Folded Spill
	v_mul_u32_u24_e32 v53, 0xf0, v77
	scratch_store_b32 off, v12, off offset:920 ; 4-byte Folded Spill
	v_mad_u32_u24 v12, v62, 60, v89
	scratch_store_b32 off, v53, off offset:924 ; 4-byte Folded Spill
	v_mul_u32_u24_e32 v53, 0xf0, v80
	scratch_store_b32 off, v28, off offset:436 ; 4-byte Folded Spill
	v_mad_u32_u24 v28, v54, 60, v89
	v_lshl_add_u32 v12, v12, 2, 0
	scratch_store_b32 off, v53, off offset:448 ; 4-byte Folded Spill
	v_mul_u32_u24_e32 v53, 0xf0, v82
	v_lshl_add_u32 v28, v28, 2, 0
	scratch_store_b32 off, v12, off offset:964 ; 4-byte Folded Spill
	v_mad_u32_u24 v12, v64, 60, v89
	s_delay_alu instid0(VALU_DEP_1) | instskip(SKIP_2) | instid1(VALU_DEP_1)
	v_lshl_add_u32 v12, v12, 2, 0
	scratch_store_b32 off, v12, off offset:1004 ; 4-byte Folded Spill
	v_mad_u32_u24 v12, v66, 60, v89
	v_lshl_add_u32 v12, v12, 2, 0
	scratch_store_b32 off, v12, off offset:1044 ; 4-byte Folded Spill
	v_mad_u32_u24 v12, v68, 60, v89
	s_delay_alu instid0(VALU_DEP_1) | instskip(SKIP_2) | instid1(VALU_DEP_1)
	v_lshl_add_u32 v12, v12, 2, 0
	scratch_store_b32 off, v12, off offset:1076 ; 4-byte Folded Spill
	v_mad_u32_u24 v12, v71, 60, v100
	v_lshl_add_u32 v12, v12, 2, 0
	scratch_store_b32 off, v28, off offset:676 ; 4-byte Folded Spill
	v_mad_u32_u24 v28, v56, 60, v89
	scratch_store_b32 off, v12, off offset:624 ; 4-byte Folded Spill
	v_mad_u32_u24 v12, v73, 60, v100
	v_lshl_add_u32 v28, v28, 2, 0
	s_delay_alu instid0(VALU_DEP_2) | instskip(SKIP_4) | instid1(VALU_DEP_1)
	v_lshl_add_u32 v12, v12, 2, 0
	scratch_store_b32 off, v12, off offset:736 ; 4-byte Folded Spill
	v_lshrrev_b32_e32 v12, 3, v70
	scratch_store_b32 off, v12, off offset:740 ; 4-byte Folded Spill
	v_mad_u32_u24 v12, v75, 60, v100
	v_lshl_add_u32 v12, v12, 2, 0
	scratch_store_b32 off, v12, off offset:860 ; 4-byte Folded Spill
	v_mad_u32_u24 v12, v77, 60, v100
	s_delay_alu instid0(VALU_DEP_1) | instskip(SKIP_2) | instid1(VALU_DEP_1)
	v_lshl_add_u32 v12, v12, 2, 0
	scratch_store_b32 off, v12, off offset:928 ; 4-byte Folded Spill
	v_mad_u32_u24 v12, v81, 60, v86
	v_lshl_add_u32 v12, v12, 2, 0
	scratch_store_b32 off, v12, off offset:632 ; 4-byte Folded Spill
	v_lshrrev_b32_e32 v12, 3, v78
	scratch_store_b32 off, v28, off offset:812 ; 4-byte Folded Spill
	v_mad_u32_u24 v28, v59, 60, v89
	scratch_store_b32 off, v12, off offset:636 ; 4-byte Folded Spill
	v_mad_u32_u24 v12, v83, 60, v86
	v_lshl_add_u32 v28, v28, 2, 0
	s_delay_alu instid0(VALU_DEP_2)
	v_lshl_add_u32 v12, v12, 2, 0
	s_clause 0x1
	scratch_store_b32 off, v53, off offset:688
	scratch_store_b32 off, v28, off offset:892
	v_mul_u32_u24_e32 v28, 0xf0, v60
	v_lshlrev_b64 v[53:54], 2, v[20:21]
	scratch_store_b32 off, v12, off offset:748 ; 4-byte Folded Spill
	v_and_b32_e32 v12, 1, v89
	scratch_store_b32 off, v28, off offset:912 ; 4-byte Folded Spill
	v_mad_u32_u24 v28, v61, 60, v89
	scratch_store_b64 off, v[53:54], off    ; 8-byte Folded Spill
	v_lshlrev_b32_e32 v12, 4, v12
	scratch_store_b32 off, v24, off offset:164 ; 4-byte Folded Spill
	v_lshl_add_u32 v24, s12, 4, v33
	v_lshl_add_u32 v28, v28, 2, 0
	v_add_co_u32 v20, vcc_lo, v12, v53
	v_add_co_ci_u32_e32 v21, vcc_lo, 0, v54, vcc_lo
	scratch_store_b32 off, v28, off offset:944 ; 4-byte Folded Spill
	v_mad_u32_u24 v28, v63, 60, v89
	v_add_co_u32 v20, vcc_lo, v20, s20
	v_add_co_ci_u32_e32 v21, vcc_lo, s21, v21, vcc_lo
	s_delay_alu instid0(VALU_DEP_3) | instskip(NEXT) | instid1(VALU_DEP_3)
	v_lshl_add_u32 v28, v28, 2, 0
	v_add_co_u32 v20, vcc_lo, 0xc0, v20
	v_ashrrev_i32_e32 v25, 31, v24
	scratch_store_b32 off, v28, off offset:984 ; 4-byte Folded Spill
	v_mad_u32_u24 v28, v65, 60, v89
	scratch_store_b32 off, v20, off offset:468 ; 4-byte Folded Spill
	v_add_co_ci_u32_e32 v20, vcc_lo, 0, v21, vcc_lo
	v_lshlrev_b64 v[191:192], 2, v[24:25]
	v_lshl_add_u32 v28, v28, 2, 0
	v_and_b32_e32 v25, 7, v97
	scratch_store_b32 off, v20, off offset:472 ; 4-byte Folded Spill
	v_add_co_u32 v20, vcc_lo, v29, s20
	scratch_store_b32 off, v28, off offset:1024 ; 4-byte Folded Spill
	v_mad_u32_u24 v28, v67, 60, v89
	v_add_co_ci_u32_e32 v21, vcc_lo, s21, v30, vcc_lo
	v_add_co_u32 v20, vcc_lo, 0x80, v20
	s_delay_alu instid0(VALU_DEP_3)
	v_lshl_add_u32 v28, v28, 2, 0
	scratch_store_b32 off, v20, off offset:476 ; 4-byte Folded Spill
	v_add_co_ci_u32_e32 v20, vcc_lo, 0, v21, vcc_lo
	scratch_store_b32 off, v28, off offset:1064 ; 4-byte Folded Spill
	v_mad_u32_u24 v28, v69, 60, v100
	scratch_store_b32 off, v20, off offset:480 ; 4-byte Folded Spill
	v_lshl_add_u32 v28, v28, 2, 0
	scratch_store_b32 off, v28, off offset:444 ; 4-byte Folded Spill
	v_mad_u32_u24 v28, v72, 60, v100
	s_delay_alu instid0(VALU_DEP_1) | instskip(SKIP_4) | instid1(VALU_DEP_1)
	v_lshl_add_u32 v28, v28, 2, 0
	scratch_store_b32 off, v28, off offset:684 ; 4-byte Folded Spill
	v_mul_u32_u24_e32 v28, 0xf0, v73
	scratch_store_b32 off, v28, off offset:732 ; 4-byte Folded Spill
	v_mad_u32_u24 v28, v74, 60, v100
	v_lshl_add_u32 v28, v28, 2, 0
	scratch_store_b32 off, v28, off offset:820 ; 4-byte Folded Spill
	v_mad_u32_u24 v28, v76, 60, v100
	s_delay_alu instid0(VALU_DEP_1) | instskip(SKIP_2) | instid1(VALU_DEP_1)
	v_lshl_add_u32 v28, v28, 2, 0
	scratch_store_b32 off, v28, off offset:900 ; 4-byte Folded Spill
	v_mad_u32_u24 v28, v80, 60, v86
	v_lshl_add_u32 v28, v28, 2, 0
	scratch_store_b32 off, v28, off offset:452 ; 4-byte Folded Spill
	v_mul_u32_u24_e32 v28, 0xf0, v81
	scratch_store_b32 off, v28, off offset:628 ; 4-byte Folded Spill
	v_mad_u32_u24 v28, v82, 60, v86
	s_delay_alu instid0(VALU_DEP_1) | instskip(SKIP_4) | instid1(VALU_DEP_1)
	v_lshl_add_u32 v28, v28, 2, 0
	scratch_store_b32 off, v28, off offset:692 ; 4-byte Folded Spill
	v_mul_u32_u24_e32 v28, 0xf0, v83
	scratch_store_b32 off, v28, off offset:744 ; 4-byte Folded Spill
	v_and_b32_e32 v28, 3, v89
	v_lshlrev_b32_e32 v175, 4, v28
	v_lshlrev_b64 v[28:29], 2, v[47:48]
	scratch_store_b32 off, v90, off offset:176 ; 4-byte Folded Spill
	v_add_co_u32 v20, vcc_lo, v28, s20
	v_add_co_ci_u32_e32 v21, vcc_lo, s21, v29, vcc_lo
	scratch_store_b64 off, v[28:29], off offset:16 ; 8-byte Folded Spill
	v_lshlrev_b64 v[28:29], 2, v[31:32]
	v_add_co_u32 v20, vcc_lo, 0x80, v20
	v_lshrrev_b32_e32 v32, 3, v92
	v_lshlrev_b64 v[30:31], 2, v[41:42]
	v_lshlrev_b64 v[41:42], 2, v[45:46]
	scratch_store_b32 off, v20, off offset:484 ; 4-byte Folded Spill
	v_add_co_ci_u32_e32 v20, vcc_lo, 0, v21, vcc_lo
	v_add_co_u32 v12, vcc_lo, v12, v28
	v_lshlrev_b64 v[45:46], 2, v[49:50]
	scratch_store_b32 off, v20, off offset:488 ; 4-byte Folded Spill
	v_add_co_ci_u32_e32 v20, vcc_lo, 0, v29, vcc_lo
	v_add_co_u32 v12, vcc_lo, v12, s18
	s_delay_alu instid0(VALU_DEP_2) | instskip(NEXT) | instid1(VALU_DEP_2)
	v_add_co_ci_u32_e32 v20, vcc_lo, s19, v20, vcc_lo
	v_add_co_u32 v12, vcc_lo, 0xc0, v12
	scratch_store_b32 off, v12, off offset:492 ; 4-byte Folded Spill
	v_add_co_ci_u32_e32 v12, vcc_lo, 0, v20, vcc_lo
	scratch_store_b32 off, v12, off offset:496 ; 4-byte Folded Spill
	v_add_co_u32 v12, vcc_lo, v189, s18
	v_add_co_ci_u32_e32 v20, vcc_lo, s19, v190, vcc_lo
	v_add_co_u32 v21, vcc_lo, v191, s18
	v_add_co_ci_u32_e32 v24, vcc_lo, s19, v192, vcc_lo
	s_delay_alu instid0(VALU_DEP_4)
	v_add_co_u32 v12, vcc_lo, 0x80, v12
	scratch_store_b32 off, v12, off offset:500 ; 4-byte Folded Spill
	v_add_co_ci_u32_e32 v12, vcc_lo, 0, v20, vcc_lo
	v_mul_u32_u24_e32 v20, 0xf0, v100
	scratch_store_b64 off, v[28:29], off offset:24 ; 8-byte Folded Spill
	v_lshrrev_b32_e32 v28, 3, v95
	scratch_store_b32 off, v12, off offset:504 ; 4-byte Folded Spill
	v_add_co_u32 v12, vcc_lo, 0x80, v21
	scratch_store_b32 off, v20, off offset:212 ; 4-byte Folded Spill
	v_lshrrev_b32_e32 v20, 3, v99
	v_and_b32_e32 v21, 7, v99
	scratch_store_b32 off, v12, off offset:508 ; 4-byte Folded Spill
	v_add_co_ci_u32_e32 v12, vcc_lo, 0, v24, vcc_lo
	v_lshrrev_b32_e32 v29, 3, v93
	v_and_b32_e32 v24, 7, v98
	s_clause 0x2
	scratch_store_b32 off, v12, off offset:512
	scratch_store_b32 off, v20, off offset:216
	scratch_store_b32 off, v99, off offset:788
	v_lshrrev_b32_e32 v20, 3, v98
	s_clause 0x1
	scratch_store_b32 off, v20, off offset:224
	scratch_store_b32 off, v98, off offset:784
	v_lshrrev_b32_e32 v20, 3, v97
	s_clause 0x1
	scratch_store_b32 off, v20, off offset:232
	scratch_store_b32 off, v97, off offset:780
	v_mul_lo_u32 v20, v87, s55
	s_clause 0x2
	scratch_store_b32 off, v87, off offset:204
	scratch_store_b32 off, v28, off offset:240
	;; [unrolled: 1-line block ×3, first 2 shown]
	v_lshrrev_b32_e32 v28, 3, v94
	s_clause 0x1
	scratch_store_b32 off, v28, off offset:244
	scratch_store_b32 off, v94, off offset:772
	v_add3_u32 v20, v20, v86, 48
	s_clause 0x3
	scratch_store_b32 off, v29, off offset:252
	scratch_store_b32 off, v93, off offset:768
	;; [unrolled: 1-line block ×4, first 2 shown]
	v_lshlrev_b32_e32 v12, 2, v100
	v_and_b32_e32 v28, 7, v94
	scratch_store_b64 off, v[20:21], off offset:268 ; 8-byte Folded Spill
	v_lshrrev_b32_e32 v20, 4, v88
	v_and_b32_e32 v29, 7, v93
	v_and_b32_e32 v32, 7, v92
	scratch_store_b32 off, v20, off offset:344 ; 4-byte Folded Spill
	v_lshrrev_b32_e32 v20, 3, v2
	v_and_b32_e32 v2, 7, v2
	scratch_store_b64 off, v[2:3], off offset:408 ; 8-byte Folded Spill
	v_lshrrev_b32_e32 v2, 3, v3
	scratch_store_b32 off, v2, off offset:640 ; 4-byte Folded Spill
	v_and_b32_e32 v2, 7, v3
	scratch_store_b64 off, v[2:3], off offset:588 ; 8-byte Folded Spill
	v_lshrrev_b32_e32 v2, 3, v4
	scratch_store_b32 off, v2, off offset:696 ; 4-byte Folded Spill
	v_and_b32_e32 v2, 7, v4
	scratch_store_b64 off, v[2:3], off offset:648 ; 8-byte Folded Spill
	v_lshrrev_b32_e32 v2, 3, v5
	scratch_store_b32 off, v2, off offset:752 ; 4-byte Folded Spill
	v_and_b32_e32 v2, 7, v5
	scratch_store_b64 off, v[2:3], off offset:712 ; 8-byte Folded Spill
	v_lshrrev_b32_e32 v2, 3, v6
	scratch_store_b32 off, v2, off offset:824 ; 4-byte Folded Spill
	v_and_b32_e32 v2, 7, v6
	scratch_store_b64 off, v[2:3], off offset:792 ; 8-byte Folded Spill
	v_lshrrev_b32_e32 v2, 3, v7
	scratch_store_b32 off, v2, off offset:864 ; 4-byte Folded Spill
	v_and_b32_e32 v2, 7, v7
	scratch_store_b64 off, v[2:3], off offset:832 ; 8-byte Folded Spill
	v_lshrrev_b32_e32 v2, 3, v8
	scratch_store_b32 off, v2, off offset:904 ; 4-byte Folded Spill
	v_and_b32_e32 v2, 7, v8
	scratch_store_b64 off, v[2:3], off offset:872 ; 8-byte Folded Spill
	v_lshrrev_b32_e32 v2, 3, v9
	scratch_store_b32 off, v2, off offset:948 ; 4-byte Folded Spill
	v_and_b32_e32 v2, 7, v9
	scratch_store_b64 off, v[2:3], off offset:932 ; 8-byte Folded Spill
	v_lshrrev_b32_e32 v2, 3, v10
	scratch_store_b32 off, v2, off offset:968 ; 4-byte Folded Spill
	v_and_b32_e32 v2, 7, v10
	scratch_store_b64 off, v[2:3], off offset:952 ; 8-byte Folded Spill
	v_lshrrev_b32_e32 v2, 3, v11
	scratch_store_b32 off, v2, off offset:988 ; 4-byte Folded Spill
	v_and_b32_e32 v2, 7, v11
	scratch_store_b64 off, v[2:3], off offset:972 ; 8-byte Folded Spill
	v_lshrrev_b32_e32 v2, 3, v13
	scratch_store_b32 off, v2, off offset:1008 ; 4-byte Folded Spill
	v_and_b32_e32 v2, 7, v13
	scratch_store_b64 off, v[2:3], off offset:992 ; 8-byte Folded Spill
	v_lshrrev_b32_e32 v2, 3, v14
	scratch_store_b32 off, v2, off offset:1028 ; 4-byte Folded Spill
	v_and_b32_e32 v2, 7, v14
	scratch_store_b64 off, v[2:3], off offset:1012 ; 8-byte Folded Spill
	v_lshrrev_b32_e32 v2, 3, v15
	scratch_store_b32 off, v2, off offset:1048 ; 4-byte Folded Spill
	v_and_b32_e32 v2, 7, v15
	scratch_store_b64 off, v[2:3], off offset:1032 ; 8-byte Folded Spill
	v_lshrrev_b32_e32 v2, 3, v16
	scratch_store_b32 off, v2, off offset:1068 ; 4-byte Folded Spill
	v_and_b32_e32 v2, 7, v16
	scratch_store_b64 off, v[2:3], off offset:1052 ; 8-byte Folded Spill
	v_lshrrev_b32_e32 v2, 3, v1
	v_and_b32_e32 v1, 7, v1
	s_clause 0x1
	scratch_store_b32 off, v20, off offset:456
	scratch_store_b64 off, v[1:2], off offset:304
	v_lshrrev_b32_e32 v1, 3, v17
	scratch_store_b32 off, v1, off offset:460 ; 4-byte Folded Spill
	v_and_b32_e32 v1, 7, v17
	scratch_store_b64 off, v[1:2], off offset:416 ; 8-byte Folded Spill
	v_lshrrev_b32_e32 v1, 3, v18
	scratch_store_b32 off, v1, off offset:644 ; 4-byte Folded Spill
	v_and_b32_e32 v1, 7, v18
	scratch_store_b64 off, v[1:2], off offset:596 ; 8-byte Folded Spill
	;; [unrolled: 4-line block ×6, first 2 shown]
	v_lshrrev_b32_e32 v1, 3, v0
	v_and_b32_e32 v0, 7, v0
	s_clause 0x1
	scratch_store_b32 off, v2, off offset:348
	scratch_store_b64 off, v[0:1], off offset:292
	v_lshrrev_b32_e32 v0, 3, v27
	scratch_store_b32 off, v0, off offset:464 ; 4-byte Folded Spill
	v_add_co_u32 v0, s4, s22, v12
	scratch_store_b32 off, v0, off offset:516 ; 4-byte Folded Spill
	v_and_b32_e32 v0, 7, v27
	s_clause 0x1
	scratch_store_b32 off, v1, off offset:352
	scratch_store_b64 off, v[0:1], off offset:424
	v_lshrrev_b32_e32 v0, 3, v79
	scratch_store_b32 off, v0, off offset:704 ; 4-byte Folded Spill
	v_and_b32_e32 v0, 7, v79
	scratch_store_b64 off, v[0:1], off offset:664 ; 8-byte Folded Spill
	v_add_co_ci_u32_e64 v0, null, s23, 0, s4
	s_clause 0x1
	scratch_store_b32 off, v0, off offset:520
	scratch_store_b32 off, v86, off offset:284
	v_add_co_u32 v0, vcc_lo, s20, v30
	s_clause 0x1
	scratch_store_b32 off, v0, off offset:524
	scratch_store_b64 off, v[30:31], off offset:32
	v_add_co_ci_u32_e32 v0, vcc_lo, s21, v31, vcc_lo
	scratch_store_b32 off, v0, off offset:528 ; 4-byte Folded Spill
	v_add_co_u32 v0, vcc_lo, s20, v41
	s_clause 0x1
	scratch_store_b32 off, v0, off offset:532
	scratch_store_b64 off, v[41:42], off offset:40
	v_add_co_ci_u32_e32 v0, vcc_lo, s21, v42, vcc_lo
	scratch_store_b32 off, v0, off offset:536 ; 4-byte Folded Spill
	;; [unrolled: 6-line block ×3, first 2 shown]
	v_add_co_u32 v0, vcc_lo, s20, v253
	scratch_store_b32 off, v0, off offset:548 ; 4-byte Folded Spill
	v_add_co_ci_u32_e32 v0, vcc_lo, s21, v254, vcc_lo
	scratch_store_b32 off, v0, off offset:552 ; 4-byte Folded Spill
	v_add_co_u32 v0, vcc_lo, s18, v219
	scratch_store_b32 off, v0, off offset:556 ; 4-byte Folded Spill
	v_add_co_ci_u32_e32 v0, vcc_lo, s19, v220, vcc_lo
	scratch_store_b32 off, v0, off offset:560 ; 4-byte Folded Spill
	;; [unrolled: 4-line block ×5, first 2 shown]
	v_mad_u64_u32 v[0:1], null, v96, s55, v[89:90]
	s_clause 0x1
	scratch_store_b64 off, v[0:1], off offset:276
	scratch_store_b32 off, v21, off offset:220
	v_mad_u64_u32 v[0:1], null, v21, s55, v[89:90]
	s_clause 0x1
	scratch_store_b64 off, v[0:1], off offset:356
	scratch_store_b32 off, v24, off offset:228
	;; [unrolled: 4-line block ×5, first 2 shown]
	v_mad_u64_u32 v[0:1], null, v29, s55, v[89:90]
	scratch_store_b64 off, v[0:1], off offset:388 ; 8-byte Folded Spill
	v_mov_b32_e32 v0, v89
	s_clause 0x1
	scratch_store_b64 off, v[0:1], off offset:320
	scratch_store_b32 off, v32, off offset:264
	v_mad_u64_u32 v[0:1], null, v32, s55, v[89:90]
	scratch_store_b64 off, v[0:1], off offset:396 ; 8-byte Folded Spill
	v_bfe_u32 v0, v88, 1, 3
	scratch_store_b64 off, v[0:1], off offset:312 ; 8-byte Folded Spill
.LBB19_10:                              ; =>This Loop Header: Depth=1
                                        ;     Child Loop BB19_280 Depth 2
                                        ;     Child Loop BB19_72 Depth 2
	s_abs_i32 s4, s50
	s_ashr_i32 s6, s50, 31
	s_mul_hi_u32 s5, s4, s81
	s_xor_b32 s6, s6, s80
	s_mul_i32 s7, s5, s76
	s_delay_alu instid0(SALU_CYCLE_1)
	s_sub_i32 s4, s4, s7
	s_add_i32 s7, s5, 1
	s_sub_i32 s41, s4, s76
	s_cmp_ge_u32 s4, s76
	s_cselect_b32 s5, s7, s5
	s_cselect_b32 s4, s41, s4
	s_add_i32 s7, s5, 1
	s_cmp_ge_u32 s4, s76
	s_cselect_b32 s4, s7, s5
	s_delay_alu instid0(SALU_CYCLE_1) | instskip(NEXT) | instid1(SALU_CYCLE_1)
	s_xor_b32 s4, s4, s6
	s_sub_i32 s4, s4, s6
	s_delay_alu instid0(SALU_CYCLE_1) | instskip(NEXT) | instid1(SALU_CYCLE_1)
	s_mul_i32 s5, s4, s71
	s_sub_i32 s6, s50, s5
	s_delay_alu instid0(SALU_CYCLE_1) | instskip(SKIP_4) | instid1(SALU_CYCLE_1)
	s_abs_i32 s5, s6
	s_ashr_i32 s41, s6, 31
	s_mul_hi_u32 s7, s5, s83
	s_xor_b32 s41, s41, s82
	s_mul_i32 s56, s7, s77
	s_sub_i32 s5, s5, s56
	s_add_i32 s56, s7, 1
	s_sub_i32 s59, s5, s77
	s_cmp_ge_u32 s5, s77
	s_cselect_b32 s7, s56, s7
	s_cselect_b32 s5, s59, s5
	s_add_i32 s56, s7, 1
	s_cmp_ge_u32 s5, s77
	s_cselect_b32 s5, s56, s7
	s_delay_alu instid0(SALU_CYCLE_1) | instskip(NEXT) | instid1(SALU_CYCLE_1)
	s_xor_b32 s5, s5, s41
	s_sub_i32 s5, s5, s41
	s_delay_alu instid0(SALU_CYCLE_1) | instskip(NEXT) | instid1(SALU_CYCLE_1)
	s_mul_i32 s7, s5, s70
	s_sub_i32 s7, s6, s7
	s_delay_alu instid0(SALU_CYCLE_1) | instskip(SKIP_4) | instid1(SALU_CYCLE_1)
	s_abs_i32 s6, s7
	s_ashr_i32 s56, s7, 31
	s_mul_hi_u32 s41, s6, s85
	s_xor_b32 s56, s56, s84
	s_mul_i32 s59, s41, s78
	;; [unrolled: 21-line block ×3, first 2 shown]
	s_sub_i32 s41, s41, s59
	s_add_i32 s59, s56, 1
	s_sub_i32 s64, s41, s73
	s_cmp_ge_u32 s41, s73
	s_cselect_b32 s56, s59, s56
	s_cselect_b32 s41, s64, s41
	s_add_i32 s59, s56, 1
	s_cmp_ge_u32 s41, s73
	s_cselect_b32 s41, s59, s56
	s_and_not1_b32 vcc_lo, exec_lo, s46
	s_xor_b32 s41, s41, s7
	s_delay_alu instid0(SALU_CYCLE_1)
	s_sub_i32 s89, s41, s7
	s_cbranch_vccnz .LBB19_12
; %bb.11:                               ;   in Loop: Header=BB19_10 Depth=1
	s_mul_i32 s7, s4, s68
	s_delay_alu instid0(SALU_CYCLE_1) | instskip(NEXT) | instid1(SALU_CYCLE_1)
	s_add_i32 s64, s89, s7
	s_ashr_i32 s65, s64, 31
	s_delay_alu instid0(SALU_CYCLE_1) | instskip(NEXT) | instid1(SALU_CYCLE_1)
	s_lshl_b64 s[64:65], s[64:65], 2
	s_add_u32 s64, s26, s64
	s_addc_u32 s65, s27, s65
	global_load_b32 v0, v206, s[64:65]
	s_waitcnt vmcnt(0)
	v_readfirstlane_b32 s7, v0
	s_delay_alu instid0(VALU_DEP_1) | instskip(NEXT) | instid1(SALU_CYCLE_1)
	s_ashr_i32 s41, s7, 31
	s_lshr_b32 s41, s41, 27
	s_delay_alu instid0(SALU_CYCLE_1) | instskip(NEXT) | instid1(SALU_CYCLE_1)
	s_add_i32 s7, s7, s41
	s_ashr_i32 s7, s7, 5
	s_delay_alu instid0(SALU_CYCLE_1)
	s_min_i32 s92, s92, s7
.LBB19_12:                              ;   in Loop: Header=BB19_10 Depth=1
	scratch_load_b32 v0, off, off offset:288 ; 4-byte Folded Reload
	s_mul_i32 s7, s5, s33
	s_lshl_b32 s86, s6, 3
	s_mul_i32 s41, s4, s49
	s_add_i32 s6, s86, s7
	s_ashr_i32 s7, s41, 31
	s_mul_i32 s56, s6, s48
	s_add_u32 s41, s16, s41
	s_addc_u32 s7, s17, s7
	s_ashr_i32 s59, s56, 31
	s_add_u32 s100, s41, s56
	s_addc_u32 s101, s7, s59
	s_mul_i32 s7, s4, s37
	s_mul_hi_u32 s41, s4, s36
	s_ashr_i32 s66, s4, 31
	s_add_i32 s7, s41, s7
	s_mul_i32 s41, s66, s36
	s_mul_i32 s93, s4, s36
	s_add_i32 s94, s7, s41
	s_mul_i32 s95, s5, s47
	s_add_u32 s7, s18, s93
	s_addc_u32 s41, s19, s94
	s_ashr_i32 s96, s95, 31
	s_add_u32 s90, s7, s95
	s_addc_u32 s91, s41, s96
	s_abs_i32 s7, s4
	s_mul_i32 s67, s4, s43
	s_mul_hi_u32 s87, s4, s42
	s_mul_i32 s97, s4, s42
	v_or_b32_e32 v178, s86, v96
	v_mov_b32_e32 v251, v96
	s_waitcnt vmcnt(0)
	v_mul_hi_u32 v0, s7, v0
	s_delay_alu instid0(VALU_DEP_1) | instskip(NEXT) | instid1(VALU_DEP_1)
	v_mul_lo_u32 v0, v0, s53
	v_sub_nc_u32_e32 v0, s7, v0
	s_mul_i32 s7, s79, s4
	s_mul_i32 s4, s66, s42
	s_add_i32 s7, s6, s7
	s_delay_alu instid0(VALU_DEP_1) | instskip(SKIP_2) | instid1(SALU_CYCLE_1)
	v_subrev_nc_u32_e32 v1, s53, v0
	v_cmp_le_u32_e32 vcc_lo, s53, v0
	s_mul_i32 s56, s7, 56
	s_lshl_b64 s[64:65], s[56:57], 3
	s_mul_i32 s56, s5, s39
	v_cndmask_b32_e32 v0, v0, v1, vcc_lo
	s_add_u32 s41, s28, s64
	s_addc_u32 s59, s29, s65
	s_add_i32 s7, s87, s67
	s_delay_alu instid0(VALU_DEP_1)
	v_subrev_nc_u32_e32 v1, s53, v0
	v_cmp_le_u32_e32 vcc_lo, s53, v0
	s_add_i32 s98, s7, s4
	s_add_u32 s4, s20, s97
	s_addc_u32 s5, s21, s98
	s_ashr_i32 s99, s56, 31
	v_cndmask_b32_e32 v0, v0, v1, vcc_lo
	s_add_u32 s87, s4, s56
	s_addc_u32 s88, s5, s99
	s_ashr_i32 s7, s6, 31
	s_delay_alu instid0(VALU_DEP_1) | instskip(SKIP_1) | instid1(SALU_CYCLE_1)
	v_xor_b32_e32 v0, s66, v0
	s_lshl_b64 s[4:5], s[6:7], 2
	s_add_u32 s4, s24, s4
	s_addc_u32 s5, s25, s5
	s_delay_alu instid0(VALU_DEP_1)
	v_subrev_nc_u32_e32 v0, s66, v0
	s_and_b32 s6, s38, exec_lo
	s_cselect_b32 s65, 0, s5
	s_cselect_b32 s64, 0, s4
	s_cmp_lg_u32 s102, 0
	v_ashrrev_i32_e32 v1, 31, v0
	v_mul_lo_u32 v2, v0, s45
	v_mul_hi_u32 v3, v0, s44
	v_mul_lo_u32 v181, v0, s44
	s_delay_alu instid0(VALU_DEP_4) | instskip(NEXT) | instid1(VALU_DEP_3)
	v_mul_lo_u32 v1, v1, s44
	v_add_nc_u32_e32 v0, v3, v2
	s_delay_alu instid0(VALU_DEP_3) | instskip(NEXT) | instid1(VALU_DEP_2)
	v_add_co_u32 v172, vcc_lo, s22, v181
	v_add_nc_u32_e32 v182, v0, v1
	s_delay_alu instid0(VALU_DEP_1)
	v_add_co_ci_u32_e32 v165, vcc_lo, s23, v182, vcc_lo
	v_cmp_gt_i32_e32 vcc_lo, s33, v178
	s_cbranch_scc0 .LBB19_74
; %bb.13:                               ;   in Loop: Header=BB19_10 Depth=1
	scratch_load_b32 v0, off, off offset:160 ; 4-byte Folded Reload
	s_lshl_b32 s103, s89, 1
	s_xor_b32 s5, vcc_lo, -1
	s_waitcnt vmcnt(0)
	v_add_nc_u32_e32 v1, s103, v0
	s_delay_alu instid0(VALU_DEP_1) | instskip(NEXT) | instid1(VALU_DEP_1)
	v_cmp_le_i32_e64 s4, s8, v1
	s_or_b32 s4, s4, s5
	s_delay_alu instid0(SALU_CYCLE_1) | instskip(NEXT) | instid1(SALU_CYCLE_1)
	s_and_saveexec_b32 s6, s4
	s_xor_b32 s4, exec_lo, s6
	s_cbranch_execz .LBB19_15
; %bb.14:                               ;   in Loop: Header=BB19_10 Depth=1
	ds_store_b32 v238, v206
                                        ; implicit-def: $vgpr1
.LBB19_15:                              ;   in Loop: Header=BB19_10 Depth=1
	s_and_not1_saveexec_b32 s4, s4
	s_cbranch_execz .LBB19_17
; %bb.16:                               ;   in Loop: Header=BB19_10 Depth=1
	scratch_load_b64 v[4:5], off, off offset:276 ; 8-byte Folded Reload
	s_waitcnt vmcnt(0)
	v_mad_u64_u32 v[2:3], null, v1, s51, v[4:5]
	s_delay_alu instid0(VALU_DEP_1) | instskip(NEXT) | instid1(VALU_DEP_1)
	v_ashrrev_i32_e32 v3, 31, v2
	v_lshlrev_b64 v[0:1], 3, v[2:3]
	s_delay_alu instid0(VALU_DEP_1) | instskip(NEXT) | instid1(VALU_DEP_2)
	v_add_co_u32 v0, vcc_lo, s100, v0
	v_add_co_ci_u32_e32 v1, vcc_lo, s101, v1, vcc_lo
	global_load_b64 v[0:1], v[0:1], off
	s_waitcnt vmcnt(0)
	v_cvt_f16_f32_e32 v0, v0
	v_cvt_f16_f32_e32 v1, v1
	s_delay_alu instid0(VALU_DEP_1) | instskip(NEXT) | instid1(VALU_DEP_1)
	v_pack_b32_f16 v0, v0, v1
	v_pk_mul_f16 v0, v167, v0
	ds_store_b32 v238, v0
.LBB19_17:                              ;   in Loop: Header=BB19_10 Depth=1
	s_or_b32 exec_lo, exec_lo, s4
	scratch_load_b32 v0, off, off offset:216 ; 4-byte Folded Reload
	s_waitcnt vmcnt(0)
	v_add_nc_u32_e32 v1, s103, v0
	scratch_load_b32 v0, off, off offset:220 ; 4-byte Folded Reload
	v_cmp_le_i32_e32 vcc_lo, s8, v1
	s_waitcnt vmcnt(0)
	v_or_b32_e32 v0, s86, v0
	s_delay_alu instid0(VALU_DEP_1) | instskip(NEXT) | instid1(VALU_DEP_1)
	v_cmp_le_i32_e64 s4, s33, v0
	s_or_b32 s4, vcc_lo, s4
	s_delay_alu instid0(SALU_CYCLE_1) | instskip(NEXT) | instid1(SALU_CYCLE_1)
	s_and_saveexec_b32 s6, s4
	s_xor_b32 s4, exec_lo, s6
	s_cbranch_execz .LBB19_19
; %bb.18:                               ;   in Loop: Header=BB19_10 Depth=1
	ds_store_b32 v238, v206 offset:480
                                        ; implicit-def: $vgpr1
.LBB19_19:                              ;   in Loop: Header=BB19_10 Depth=1
	s_and_not1_saveexec_b32 s4, s4
	s_cbranch_execz .LBB19_21
; %bb.20:                               ;   in Loop: Header=BB19_10 Depth=1
	scratch_load_b64 v[4:5], off, off offset:356 ; 8-byte Folded Reload
	s_waitcnt vmcnt(0)
	v_mad_u64_u32 v[2:3], null, v1, s51, v[4:5]
	s_delay_alu instid0(VALU_DEP_1) | instskip(NEXT) | instid1(VALU_DEP_1)
	v_ashrrev_i32_e32 v3, 31, v2
	v_lshlrev_b64 v[0:1], 3, v[2:3]
	s_delay_alu instid0(VALU_DEP_1) | instskip(NEXT) | instid1(VALU_DEP_2)
	v_add_co_u32 v0, vcc_lo, s100, v0
	v_add_co_ci_u32_e32 v1, vcc_lo, s101, v1, vcc_lo
	global_load_b64 v[0:1], v[0:1], off
	s_waitcnt vmcnt(0)
	v_cvt_f16_f32_e32 v0, v0
	v_cvt_f16_f32_e32 v1, v1
	s_delay_alu instid0(VALU_DEP_1) | instskip(NEXT) | instid1(VALU_DEP_1)
	v_pack_b32_f16 v0, v0, v1
	v_pk_mul_f16 v0, v167, v0
	ds_store_b32 v238, v0 offset:480
.LBB19_21:                              ;   in Loop: Header=BB19_10 Depth=1
	s_or_b32 exec_lo, exec_lo, s4
	scratch_load_b32 v0, off, off offset:224 ; 4-byte Folded Reload
	s_waitcnt vmcnt(0)
	v_add_nc_u32_e32 v1, s103, v0
	scratch_load_b32 v0, off, off offset:228 ; 4-byte Folded Reload
	v_cmp_le_i32_e32 vcc_lo, s8, v1
	s_waitcnt vmcnt(0)
	v_or_b32_e32 v0, s86, v0
	s_delay_alu instid0(VALU_DEP_1) | instskip(NEXT) | instid1(VALU_DEP_1)
	v_cmp_le_i32_e64 s4, s33, v0
	s_or_b32 s4, vcc_lo, s4
	s_delay_alu instid0(SALU_CYCLE_1) | instskip(NEXT) | instid1(SALU_CYCLE_1)
	s_and_saveexec_b32 s6, s4
	s_xor_b32 s4, exec_lo, s6
	s_cbranch_execz .LBB19_23
; %bb.22:                               ;   in Loop: Header=BB19_10 Depth=1
	ds_store_b32 v238, v206 offset:960
                                        ; implicit-def: $vgpr1
.LBB19_23:                              ;   in Loop: Header=BB19_10 Depth=1
	s_and_not1_saveexec_b32 s4, s4
	s_cbranch_execz .LBB19_25
; %bb.24:                               ;   in Loop: Header=BB19_10 Depth=1
	scratch_load_b64 v[4:5], off, off offset:364 ; 8-byte Folded Reload
	s_waitcnt vmcnt(0)
	v_mad_u64_u32 v[2:3], null, v1, s51, v[4:5]
	s_delay_alu instid0(VALU_DEP_1) | instskip(NEXT) | instid1(VALU_DEP_1)
	v_ashrrev_i32_e32 v3, 31, v2
	v_lshlrev_b64 v[0:1], 3, v[2:3]
	s_delay_alu instid0(VALU_DEP_1) | instskip(NEXT) | instid1(VALU_DEP_2)
	v_add_co_u32 v0, vcc_lo, s100, v0
	v_add_co_ci_u32_e32 v1, vcc_lo, s101, v1, vcc_lo
	global_load_b64 v[0:1], v[0:1], off
	s_waitcnt vmcnt(0)
	v_cvt_f16_f32_e32 v0, v0
	v_cvt_f16_f32_e32 v1, v1
	s_delay_alu instid0(VALU_DEP_1) | instskip(NEXT) | instid1(VALU_DEP_1)
	v_pack_b32_f16 v0, v0, v1
	v_pk_mul_f16 v0, v167, v0
	ds_store_b32 v238, v0 offset:960
.LBB19_25:                              ;   in Loop: Header=BB19_10 Depth=1
	;; [unrolled: 40-line block ×3, first 2 shown]
	s_or_b32 exec_lo, exec_lo, s4
	scratch_load_b32 v0, off, off offset:240 ; 4-byte Folded Reload
	s_waitcnt vmcnt(0)
	v_add_nc_u32_e32 v1, s103, v0
	s_delay_alu instid0(VALU_DEP_1) | instskip(SKIP_1) | instid1(SALU_CYCLE_1)
	v_cmp_le_i32_e32 vcc_lo, s8, v1
	s_or_b32 s4, vcc_lo, s5
	s_and_saveexec_b32 s5, s4
	s_delay_alu instid0(SALU_CYCLE_1)
	s_xor_b32 s4, exec_lo, s5
	s_cbranch_execz .LBB19_31
; %bb.30:                               ;   in Loop: Header=BB19_10 Depth=1
	ds_store_b32 v238, v206 offset:1920
                                        ; implicit-def: $vgpr1
.LBB19_31:                              ;   in Loop: Header=BB19_10 Depth=1
	s_and_not1_saveexec_b32 s4, s4
	s_cbranch_execz .LBB19_33
; %bb.32:                               ;   in Loop: Header=BB19_10 Depth=1
	scratch_load_b64 v[4:5], off, off offset:276 ; 8-byte Folded Reload
	s_waitcnt vmcnt(0)
	v_mad_u64_u32 v[2:3], null, v1, s51, v[4:5]
	s_delay_alu instid0(VALU_DEP_1) | instskip(NEXT) | instid1(VALU_DEP_1)
	v_ashrrev_i32_e32 v3, 31, v2
	v_lshlrev_b64 v[0:1], 3, v[2:3]
	s_delay_alu instid0(VALU_DEP_1) | instskip(NEXT) | instid1(VALU_DEP_2)
	v_add_co_u32 v0, vcc_lo, s100, v0
	v_add_co_ci_u32_e32 v1, vcc_lo, s101, v1, vcc_lo
	global_load_b64 v[0:1], v[0:1], off
	s_waitcnt vmcnt(0)
	v_cvt_f16_f32_e32 v0, v0
	v_cvt_f16_f32_e32 v1, v1
	s_delay_alu instid0(VALU_DEP_1) | instskip(NEXT) | instid1(VALU_DEP_1)
	v_pack_b32_f16 v0, v0, v1
	v_pk_mul_f16 v0, v167, v0
	ds_store_b32 v238, v0 offset:1920
.LBB19_33:                              ;   in Loop: Header=BB19_10 Depth=1
	s_or_b32 exec_lo, exec_lo, s4
	scratch_load_b32 v0, off, off offset:244 ; 4-byte Folded Reload
	s_waitcnt vmcnt(0)
	v_add_nc_u32_e32 v1, s103, v0
	scratch_load_b32 v0, off, off offset:248 ; 4-byte Folded Reload
	v_cmp_le_i32_e32 vcc_lo, s8, v1
	s_waitcnt vmcnt(0)
	v_or_b32_e32 v0, s86, v0
	s_delay_alu instid0(VALU_DEP_1) | instskip(NEXT) | instid1(VALU_DEP_1)
	v_cmp_le_i32_e64 s4, s33, v0
	s_or_b32 s4, vcc_lo, s4
	s_delay_alu instid0(SALU_CYCLE_1) | instskip(NEXT) | instid1(SALU_CYCLE_1)
	s_and_saveexec_b32 s5, s4
	s_xor_b32 s4, exec_lo, s5
	s_cbranch_execz .LBB19_35
; %bb.34:                               ;   in Loop: Header=BB19_10 Depth=1
	ds_store_b32 v238, v206 offset:2400
                                        ; implicit-def: $vgpr1
.LBB19_35:                              ;   in Loop: Header=BB19_10 Depth=1
	s_and_not1_saveexec_b32 s4, s4
	s_cbranch_execz .LBB19_37
; %bb.36:                               ;   in Loop: Header=BB19_10 Depth=1
	scratch_load_b64 v[4:5], off, off offset:380 ; 8-byte Folded Reload
	s_waitcnt vmcnt(0)
	v_mad_u64_u32 v[2:3], null, v1, s51, v[4:5]
	s_delay_alu instid0(VALU_DEP_1) | instskip(NEXT) | instid1(VALU_DEP_1)
	v_ashrrev_i32_e32 v3, 31, v2
	v_lshlrev_b64 v[0:1], 3, v[2:3]
	s_delay_alu instid0(VALU_DEP_1) | instskip(NEXT) | instid1(VALU_DEP_2)
	v_add_co_u32 v0, vcc_lo, s100, v0
	v_add_co_ci_u32_e32 v1, vcc_lo, s101, v1, vcc_lo
	global_load_b64 v[0:1], v[0:1], off
	s_waitcnt vmcnt(0)
	v_cvt_f16_f32_e32 v0, v0
	v_cvt_f16_f32_e32 v1, v1
	s_delay_alu instid0(VALU_DEP_1) | instskip(NEXT) | instid1(VALU_DEP_1)
	v_pack_b32_f16 v0, v0, v1
	v_pk_mul_f16 v0, v167, v0
	ds_store_b32 v238, v0 offset:2400
.LBB19_37:                              ;   in Loop: Header=BB19_10 Depth=1
	s_or_b32 exec_lo, exec_lo, s4
	scratch_load_b32 v0, off, off offset:252 ; 4-byte Folded Reload
	s_waitcnt vmcnt(0)
	v_add_nc_u32_e32 v1, s103, v0
	scratch_load_b32 v0, off, off offset:256 ; 4-byte Folded Reload
	v_cmp_le_i32_e32 vcc_lo, s8, v1
	s_waitcnt vmcnt(0)
	v_or_b32_e32 v0, s86, v0
	s_delay_alu instid0(VALU_DEP_1) | instskip(NEXT) | instid1(VALU_DEP_1)
	v_cmp_le_i32_e64 s4, s33, v0
	s_or_b32 s4, vcc_lo, s4
	s_delay_alu instid0(SALU_CYCLE_1) | instskip(NEXT) | instid1(SALU_CYCLE_1)
	s_and_saveexec_b32 s5, s4
	;; [unrolled: 40-line block ×3, first 2 shown]
	s_xor_b32 s4, exec_lo, s5
	s_cbranch_execz .LBB19_43
; %bb.42:                               ;   in Loop: Header=BB19_10 Depth=1
	ds_store_b32 v238, v206 offset:3360
                                        ; implicit-def: $vgpr1
.LBB19_43:                              ;   in Loop: Header=BB19_10 Depth=1
	s_and_not1_saveexec_b32 s4, s4
	s_cbranch_execz .LBB19_45
; %bb.44:                               ;   in Loop: Header=BB19_10 Depth=1
	scratch_load_b64 v[4:5], off, off offset:396 ; 8-byte Folded Reload
	s_waitcnt vmcnt(0)
	v_mad_u64_u32 v[2:3], null, v1, s51, v[4:5]
	s_delay_alu instid0(VALU_DEP_1) | instskip(NEXT) | instid1(VALU_DEP_1)
	v_ashrrev_i32_e32 v3, 31, v2
	v_lshlrev_b64 v[0:1], 3, v[2:3]
	s_delay_alu instid0(VALU_DEP_1) | instskip(NEXT) | instid1(VALU_DEP_2)
	v_add_co_u32 v0, vcc_lo, s100, v0
	v_add_co_ci_u32_e32 v1, vcc_lo, s101, v1, vcc_lo
	global_load_b64 v[0:1], v[0:1], off
	s_waitcnt vmcnt(0)
	v_cvt_f16_f32_e32 v0, v0
	v_cvt_f16_f32_e32 v1, v1
	s_delay_alu instid0(VALU_DEP_1) | instskip(NEXT) | instid1(VALU_DEP_1)
	v_pack_b32_f16 v0, v0, v1
	v_pk_mul_f16 v0, v167, v0
	ds_store_b32 v238, v0 offset:3360
.LBB19_45:                              ;   in Loop: Header=BB19_10 Depth=1
	s_or_b32 exec_lo, exec_lo, s4
	s_clause 0x1
	scratch_load_b32 v0, off, off offset:176
	scratch_load_b32 v1, off, off offset:172
	s_waitcnt vmcnt(1)
	v_or_b32_e32 v0, s86, v0
	s_waitcnt vmcnt(0)
	v_add_nc_u32_e32 v1, s103, v1
	s_delay_alu instid0(VALU_DEP_2) | instskip(NEXT) | instid1(VALU_DEP_2)
	v_cmp_gt_i32_e32 vcc_lo, s33, v0
	v_cmp_le_i32_e64 s4, s8, v1
	s_xor_b32 s5, vcc_lo, -1
	s_delay_alu instid0(VALU_DEP_1) | instid1(SALU_CYCLE_1)
	s_or_b32 s4, s4, s5
	s_delay_alu instid0(SALU_CYCLE_1) | instskip(NEXT) | instid1(SALU_CYCLE_1)
	s_and_saveexec_b32 s6, s4
	s_xor_b32 s4, exec_lo, s6
	s_cbranch_execz .LBB19_47
; %bb.46:                               ;   in Loop: Header=BB19_10 Depth=1
	ds_store_b32 v183, v206 offset:128
                                        ; implicit-def: $vgpr1
.LBB19_47:                              ;   in Loop: Header=BB19_10 Depth=1
	s_and_not1_saveexec_b32 s4, s4
	s_cbranch_execz .LBB19_49
; %bb.48:                               ;   in Loop: Header=BB19_10 Depth=1
	v_mad_u64_u32 v[2:3], null, v1, s51, v[162:163]
	s_delay_alu instid0(VALU_DEP_1) | instskip(NEXT) | instid1(VALU_DEP_1)
	v_ashrrev_i32_e32 v3, 31, v2
	v_lshlrev_b64 v[0:1], 3, v[2:3]
	s_delay_alu instid0(VALU_DEP_1) | instskip(NEXT) | instid1(VALU_DEP_2)
	v_add_co_u32 v0, vcc_lo, s100, v0
	v_add_co_ci_u32_e32 v1, vcc_lo, s101, v1, vcc_lo
	global_load_b64 v[0:1], v[0:1], off
	s_waitcnt vmcnt(0)
	v_cvt_f16_f32_e32 v0, v0
	v_cvt_f16_f32_e32 v1, v1
	s_delay_alu instid0(VALU_DEP_1) | instskip(NEXT) | instid1(VALU_DEP_1)
	v_pack_b32_f16 v0, v0, v1
	v_pk_mul_f16 v0, v167, v0
	ds_store_b32 v183, v0 offset:128
.LBB19_49:                              ;   in Loop: Header=BB19_10 Depth=1
	s_or_b32 exec_lo, exec_lo, s4
	scratch_load_b32 v0, off, off offset:180 ; 4-byte Folded Reload
	s_waitcnt vmcnt(0)
	v_add_nc_u32_e32 v1, s103, v0
	scratch_load_b32 v0, off, off offset:184 ; 4-byte Folded Reload
	v_cmp_le_i32_e32 vcc_lo, s8, v1
	s_waitcnt vmcnt(0)
	v_or_b32_e32 v0, s86, v0
	s_delay_alu instid0(VALU_DEP_1) | instskip(NEXT) | instid1(VALU_DEP_1)
	v_cmp_le_i32_e64 s4, s33, v0
	s_or_b32 s4, vcc_lo, s4
	s_delay_alu instid0(SALU_CYCLE_1) | instskip(NEXT) | instid1(SALU_CYCLE_1)
	s_and_saveexec_b32 s6, s4
	s_xor_b32 s4, exec_lo, s6
	s_cbranch_execz .LBB19_51
; %bb.50:                               ;   in Loop: Header=BB19_10 Depth=1
	ds_store_b32 v183, v206 offset:1088
                                        ; implicit-def: $vgpr1
.LBB19_51:                              ;   in Loop: Header=BB19_10 Depth=1
	s_and_not1_saveexec_b32 s4, s4
	s_cbranch_execz .LBB19_53
; %bb.52:                               ;   in Loop: Header=BB19_10 Depth=1
	scratch_load_b64 v[4:5], off, off offset:328 ; 8-byte Folded Reload
	s_waitcnt vmcnt(0)
	v_mad_u64_u32 v[2:3], null, v1, s51, v[4:5]
	s_delay_alu instid0(VALU_DEP_1) | instskip(NEXT) | instid1(VALU_DEP_1)
	v_ashrrev_i32_e32 v3, 31, v2
	v_lshlrev_b64 v[0:1], 3, v[2:3]
	s_delay_alu instid0(VALU_DEP_1) | instskip(NEXT) | instid1(VALU_DEP_2)
	v_add_co_u32 v0, vcc_lo, s100, v0
	v_add_co_ci_u32_e32 v1, vcc_lo, s101, v1, vcc_lo
	global_load_b64 v[0:1], v[0:1], off
	s_waitcnt vmcnt(0)
	v_cvt_f16_f32_e32 v0, v0
	v_cvt_f16_f32_e32 v1, v1
	s_delay_alu instid0(VALU_DEP_1) | instskip(NEXT) | instid1(VALU_DEP_1)
	v_pack_b32_f16 v0, v0, v1
	v_pk_mul_f16 v0, v167, v0
	ds_store_b32 v183, v0 offset:1088
.LBB19_53:                              ;   in Loop: Header=BB19_10 Depth=1
	s_or_b32 exec_lo, exec_lo, s4
	scratch_load_b32 v0, off, off offset:188 ; 4-byte Folded Reload
	s_waitcnt vmcnt(0)
	v_add_nc_u32_e32 v1, s103, v0
	s_delay_alu instid0(VALU_DEP_1) | instskip(SKIP_1) | instid1(SALU_CYCLE_1)
	v_cmp_le_i32_e32 vcc_lo, s8, v1
	s_or_b32 s4, vcc_lo, s5
	s_and_saveexec_b32 s5, s4
	s_delay_alu instid0(SALU_CYCLE_1)
	s_xor_b32 s4, exec_lo, s5
	s_cbranch_execz .LBB19_55
; %bb.54:                               ;   in Loop: Header=BB19_10 Depth=1
	ds_store_b32 v183, v206 offset:2048
                                        ; implicit-def: $vgpr1
.LBB19_55:                              ;   in Loop: Header=BB19_10 Depth=1
	s_and_not1_saveexec_b32 s4, s4
	s_cbranch_execz .LBB19_57
; %bb.56:                               ;   in Loop: Header=BB19_10 Depth=1
	v_mad_u64_u32 v[2:3], null, v1, s51, v[162:163]
	s_delay_alu instid0(VALU_DEP_1) | instskip(NEXT) | instid1(VALU_DEP_1)
	v_ashrrev_i32_e32 v3, 31, v2
	v_lshlrev_b64 v[0:1], 3, v[2:3]
	s_delay_alu instid0(VALU_DEP_1) | instskip(NEXT) | instid1(VALU_DEP_2)
	v_add_co_u32 v0, vcc_lo, s100, v0
	v_add_co_ci_u32_e32 v1, vcc_lo, s101, v1, vcc_lo
	global_load_b64 v[0:1], v[0:1], off
	s_waitcnt vmcnt(0)
	v_cvt_f16_f32_e32 v0, v0
	v_cvt_f16_f32_e32 v1, v1
	s_delay_alu instid0(VALU_DEP_1) | instskip(NEXT) | instid1(VALU_DEP_1)
	v_pack_b32_f16 v0, v0, v1
	v_pk_mul_f16 v0, v167, v0
	ds_store_b32 v183, v0 offset:2048
.LBB19_57:                              ;   in Loop: Header=BB19_10 Depth=1
	s_or_b32 exec_lo, exec_lo, s4
	scratch_load_b32 v0, off, off offset:192 ; 4-byte Folded Reload
	s_waitcnt vmcnt(0)
	v_add_nc_u32_e32 v1, s103, v0
	scratch_load_b32 v0, off, off offset:196 ; 4-byte Folded Reload
	v_cmp_le_i32_e32 vcc_lo, s8, v1
	s_waitcnt vmcnt(0)
	v_or_b32_e32 v0, s86, v0
	s_delay_alu instid0(VALU_DEP_1) | instskip(NEXT) | instid1(VALU_DEP_1)
	v_cmp_le_i32_e64 s4, s33, v0
	s_or_b32 s4, vcc_lo, s4
	s_delay_alu instid0(SALU_CYCLE_1) | instskip(NEXT) | instid1(SALU_CYCLE_1)
	s_and_saveexec_b32 s5, s4
	s_xor_b32 s4, exec_lo, s5
	s_cbranch_execz .LBB19_59
; %bb.58:                               ;   in Loop: Header=BB19_10 Depth=1
	ds_store_b32 v183, v206 offset:3008
                                        ; implicit-def: $vgpr1
.LBB19_59:                              ;   in Loop: Header=BB19_10 Depth=1
	s_and_not1_saveexec_b32 s4, s4
	s_cbranch_execz .LBB19_61
; %bb.60:                               ;   in Loop: Header=BB19_10 Depth=1
	scratch_load_b64 v[4:5], off, off offset:336 ; 8-byte Folded Reload
	s_waitcnt vmcnt(0)
	v_mad_u64_u32 v[2:3], null, v1, s51, v[4:5]
	s_delay_alu instid0(VALU_DEP_1) | instskip(NEXT) | instid1(VALU_DEP_1)
	v_ashrrev_i32_e32 v3, 31, v2
	v_lshlrev_b64 v[0:1], 3, v[2:3]
	s_delay_alu instid0(VALU_DEP_1) | instskip(NEXT) | instid1(VALU_DEP_2)
	v_add_co_u32 v0, vcc_lo, s100, v0
	v_add_co_ci_u32_e32 v1, vcc_lo, s101, v1, vcc_lo
	global_load_b64 v[0:1], v[0:1], off
	s_waitcnt vmcnt(0)
	v_cvt_f16_f32_e32 v0, v0
	v_cvt_f16_f32_e32 v1, v1
	s_delay_alu instid0(VALU_DEP_1) | instskip(NEXT) | instid1(VALU_DEP_1)
	v_pack_b32_f16 v0, v0, v1
	v_pk_mul_f16 v0, v167, v0
	ds_store_b32 v183, v0 offset:3008
.LBB19_61:                              ;   in Loop: Header=BB19_10 Depth=1
	s_or_b32 exec_lo, exec_lo, s4
	s_clause 0x1
	scratch_load_b32 v0, off, off offset:204
	scratch_load_b32 v1, off, off offset:200
	s_waitcnt vmcnt(1)
	v_or_b32_e32 v0, s86, v0
	s_waitcnt vmcnt(0)
	v_add_nc_u32_e32 v1, s103, v1
	s_delay_alu instid0(VALU_DEP_2) | instskip(NEXT) | instid1(VALU_DEP_2)
	v_cmp_gt_i32_e32 vcc_lo, s33, v0
	v_cmp_le_i32_e64 s4, s8, v1
	s_xor_b32 s5, vcc_lo, -1
	s_delay_alu instid0(VALU_DEP_1) | instid1(SALU_CYCLE_1)
	s_or_b32 s4, s4, s5
	s_delay_alu instid0(SALU_CYCLE_1) | instskip(NEXT) | instid1(SALU_CYCLE_1)
	s_and_saveexec_b32 s6, s4
	s_xor_b32 s4, exec_lo, s6
	s_cbranch_execz .LBB19_63
; %bb.62:                               ;   in Loop: Header=BB19_10 Depth=1
	scratch_load_b32 v0, off, off offset:152 ; 4-byte Folded Reload
                                        ; implicit-def: $vgpr1
	s_waitcnt vmcnt(0)
	ds_store_b32 v0, v206 offset:192
.LBB19_63:                              ;   in Loop: Header=BB19_10 Depth=1
	s_and_not1_saveexec_b32 s4, s4
	s_cbranch_execz .LBB19_65
; %bb.64:                               ;   in Loop: Header=BB19_10 Depth=1
	scratch_load_b64 v[4:5], off, off offset:268 ; 8-byte Folded Reload
	s_waitcnt vmcnt(0)
	v_mad_u64_u32 v[2:3], null, v1, s51, v[4:5]
	s_delay_alu instid0(VALU_DEP_1) | instskip(NEXT) | instid1(VALU_DEP_1)
	v_ashrrev_i32_e32 v3, 31, v2
	v_lshlrev_b64 v[0:1], 3, v[2:3]
	s_delay_alu instid0(VALU_DEP_1) | instskip(NEXT) | instid1(VALU_DEP_2)
	v_add_co_u32 v0, vcc_lo, s100, v0
	v_add_co_ci_u32_e32 v1, vcc_lo, s101, v1, vcc_lo
	global_load_b64 v[0:1], v[0:1], off
	s_waitcnt vmcnt(0)
	v_cvt_f16_f32_e32 v0, v0
	v_cvt_f16_f32_e32 v1, v1
	s_delay_alu instid0(VALU_DEP_1)
	v_pack_b32_f16 v0, v0, v1
	scratch_load_b32 v1, off, off offset:152 ; 4-byte Folded Reload
	v_pk_mul_f16 v0, v167, v0
	s_waitcnt vmcnt(0)
	ds_store_b32 v1, v0 offset:192
.LBB19_65:                              ;   in Loop: Header=BB19_10 Depth=1
	s_or_b32 exec_lo, exec_lo, s4
	scratch_load_b32 v0, off, off offset:208 ; 4-byte Folded Reload
	s_waitcnt vmcnt(0)
	v_add_nc_u32_e32 v1, s103, v0
	s_delay_alu instid0(VALU_DEP_1) | instskip(SKIP_1) | instid1(SALU_CYCLE_1)
	v_cmp_le_i32_e32 vcc_lo, s8, v1
	s_or_b32 s4, vcc_lo, s5
	s_and_saveexec_b32 s5, s4
	s_delay_alu instid0(SALU_CYCLE_1)
	s_xor_b32 s4, exec_lo, s5
	s_cbranch_execz .LBB19_67
; %bb.66:                               ;   in Loop: Header=BB19_10 Depth=1
	scratch_load_b32 v0, off, off offset:152 ; 4-byte Folded Reload
                                        ; implicit-def: $vgpr1
	s_waitcnt vmcnt(0)
	ds_store_b32 v0, v206 offset:2112
.LBB19_67:                              ;   in Loop: Header=BB19_10 Depth=1
	s_and_not1_saveexec_b32 s4, s4
	s_cbranch_execz .LBB19_69
; %bb.68:                               ;   in Loop: Header=BB19_10 Depth=1
	scratch_load_b64 v[4:5], off, off offset:268 ; 8-byte Folded Reload
	s_waitcnt vmcnt(0)
	v_mad_u64_u32 v[2:3], null, v1, s51, v[4:5]
	s_delay_alu instid0(VALU_DEP_1) | instskip(NEXT) | instid1(VALU_DEP_1)
	v_ashrrev_i32_e32 v3, 31, v2
	v_lshlrev_b64 v[0:1], 3, v[2:3]
	s_delay_alu instid0(VALU_DEP_1) | instskip(NEXT) | instid1(VALU_DEP_2)
	v_add_co_u32 v0, vcc_lo, s100, v0
	v_add_co_ci_u32_e32 v1, vcc_lo, s101, v1, vcc_lo
	global_load_b64 v[0:1], v[0:1], off
	s_waitcnt vmcnt(0)
	v_cvt_f16_f32_e32 v0, v0
	v_cvt_f16_f32_e32 v1, v1
	s_delay_alu instid0(VALU_DEP_1)
	v_pack_b32_f16 v0, v0, v1
	scratch_load_b32 v1, off, off offset:152 ; 4-byte Folded Reload
	v_pk_mul_f16 v0, v167, v0
	s_waitcnt vmcnt(0)
	ds_store_b32 v1, v0 offset:2112
.LBB19_69:                              ;   in Loop: Header=BB19_10 Depth=1
	s_or_b32 exec_lo, exec_lo, s4
	s_clause 0x1
	scratch_load_b32 v0, off, off offset:164
	scratch_load_b32 v1, off, off offset:212
	s_waitcnt vmcnt(0) lgkmcnt(0)
	s_waitcnt_vscnt null, 0x0
	s_barrier
	buffer_gl0_inv
	v_mov_b32_e32 v15, 0
	s_add_i32 s104, s92, -1
	v_mov_b32_e32 v163, 0xfeffffff
	s_cmp_le_i32 s104, s102
	v_add_nc_u32_e32 v0, v0, v1
	ds_load_b128 v[72:75], v0
	ds_load_b128 v[76:79], v0 offset:16
	ds_load_b128 v[64:67], v0 offset:32
	;; [unrolled: 1-line block ×13, first 2 shown]
	s_waitcnt lgkmcnt(0)
	s_barrier
	buffer_gl0_inv
	s_cbranch_scc1 .LBB19_75
; %bb.70:                               ;   in Loop: Header=BB19_10 Depth=1
	s_clause 0x1
	scratch_load_b32 v0, off, off offset:156
	scratch_load_b32 v1, off, off offset:300
	v_mov_b32_e32 v128, 0
	v_xor_b32_e32 v3, 16, v174
	s_lshl_b32 s66, s102, 5
	v_mov_b32_e32 v56, 0
	s_delay_alu instid0(VALU_DEP_3) | instskip(NEXT) | instid1(VALU_DEP_3)
	v_dual_mov_b32 v8, 0 :: v_dual_mov_b32 v17, v128
	v_cmp_gt_i32_e32 vcc_lo, 32, v3
	v_dual_mov_b32 v176, 0xfeffffff :: v_dual_cndmask_b32 v3, v174, v3
	s_delay_alu instid0(VALU_DEP_1) | instskip(SKIP_4) | instid1(VALU_DEP_2)
	v_lshlrev_b32_e32 v168, 2, v3
	s_waitcnt vmcnt(1)
	v_add_nc_u32_e32 v0, s89, v0
	s_waitcnt vmcnt(0)
	v_lshlrev_b32_e32 v2, 1, v1
	v_lshl_add_u32 v0, v0, 1, v216
	s_delay_alu instid0(VALU_DEP_1) | instskip(NEXT) | instid1(VALU_DEP_1)
	v_mul_hi_u32 v1, s34, v0
	v_add_nc_u32_e32 v1, v0, v1
	v_mov_b32_e32 v19, v128
	v_mov_b32_e32 v18, v128
	v_dual_mov_b32 v16, 0 :: v_dual_mov_b32 v21, v128
	s_delay_alu instid0(VALU_DEP_4) | instskip(SKIP_2) | instid1(VALU_DEP_3)
	v_lshrrev_b32_e32 v1, s35, v1
	v_dual_mov_b32 v24, 0 :: v_dual_mov_b32 v23, v128
	v_dual_mov_b32 v32, 0 :: v_dual_mov_b32 v25, v128
	v_mul_lo_u32 v1, v1, s8
	v_dual_mov_b32 v40, 0 :: v_dual_mov_b32 v27, v128
	v_dual_mov_b32 v48, 0 :: v_dual_mov_b32 v29, v128
	v_mov_b32_e32 v20, v128
	v_mov_b32_e32 v22, v128
	;; [unrolled: 1-line block ×3, first 2 shown]
	v_sub_nc_u32_e32 v4, v0, v1
	v_mov_b32_e32 v28, v128
	v_mov_b32_e32 v30, v128
	;; [unrolled: 1-line block ×4, first 2 shown]
	v_mad_i64_i32 v[0:1], null, v4, s40, 0
	v_mov_b32_e32 v34, v128
	v_mov_b32_e32 v35, v128
	;; [unrolled: 1-line block ×6, first 2 shown]
	v_lshlrev_b64 v[0:1], 1, v[0:1]
	v_mov_b32_e32 v41, v128
	v_mov_b32_e32 v42, v128
	;; [unrolled: 1-line block ×5, first 2 shown]
	v_add_co_u32 v0, vcc_lo, v172, v0
	v_add_co_ci_u32_e32 v1, vcc_lo, v165, v1, vcc_lo
	v_mov_b32_e32 v46, v128
	s_delay_alu instid0(VALU_DEP_3)
	v_add_co_u32 v170, vcc_lo, v0, v2
	v_mov_b32_e32 v47, v128
	v_mov_b32_e32 v49, v128
	;; [unrolled: 1-line block ×7, first 2 shown]
	v_add_co_ci_u32_e32 v171, vcc_lo, 0, v1, vcc_lo
	v_mov_b32_e32 v55, v128
	v_mov_b32_e32 v57, v128
	;; [unrolled: 1-line block ×15, first 2 shown]
	s_ashr_i32 s67, s66, 31
	s_and_saveexec_b32 s4, s0
	s_cbranch_execz .LBB19_72
.LBB19_71:                              ;   in Loop: Header=BB19_10 Depth=1
	s_lshl_b64 s[6:7], s[66:67], 1
	s_delay_alu instid0(SALU_CYCLE_1)
	v_add_co_u32 v0, vcc_lo, v170, s6
	v_add_co_ci_u32_e32 v1, vcc_lo, s7, v171, vcc_lo
	global_load_b32 v0, v[0:1], off
	s_waitcnt vmcnt(0)
	ds_store_b32 v169, v0 offset:7680
.LBB19_72:                              ;   Parent Loop BB19_10 Depth=1
                                        ; =>  This Inner Loop Header: Depth=2
	s_or_b32 exec_lo, exec_lo, s4
	scratch_load_b64 v[0:1], off, off offset:24 ; 8-byte Folded Reload
	s_mul_hi_i32 s5, s66, s12
	s_mul_i32 s4, s66, s12
	v_dual_mov_b32 v207, v206 :: v_dual_lshlrev_b32 v120, 2, v204
	s_lshl_b64 s[4:5], s[4:5], 2
	v_dual_mov_b32 v209, v206 :: v_dual_lshlrev_b32 v138, 2, v221
	s_add_u32 s4, s90, s4
	s_addc_u32 s5, s91, s5
	v_dual_mov_b32 v208, v206 :: v_dual_lshlrev_b32 v139, 2, v229
	v_mov_b32_e32 v210, v206
	v_mov_b32_e32 v211, v206
	;; [unrolled: 1-line block ×4, first 2 shown]
	v_dual_mov_b32 v130, v206 :: v_dual_mov_b32 v131, v207
	v_dual_mov_b32 v132, v208 :: v_dual_mov_b32 v133, v209
	;; [unrolled: 1-line block ×3, first 2 shown]
	s_delay_alu instid0(VALU_DEP_4) | instskip(SKIP_3) | instid1(VALU_DEP_2)
	v_dual_mov_b32 v136, v212 :: v_dual_mov_b32 v137, v213
	s_waitcnt vmcnt(0)
	v_add_co_u32 v0, vcc_lo, s4, v0
	v_add_co_ci_u32_e32 v2, vcc_lo, s5, v1, vcc_lo
	v_add_co_u32 v1, vcc_lo, v0, v120
	s_delay_alu instid0(VALU_DEP_2) | instskip(SKIP_2) | instid1(VALU_DEP_2)
	v_add_co_ci_u32_e32 v2, vcc_lo, 0, v2, vcc_lo
	v_add_co_u32 v0, vcc_lo, s4, v189
	v_add_co_ci_u32_e32 v3, vcc_lo, s5, v190, vcc_lo
	v_add_co_u32 v4, vcc_lo, v0, v138
	s_delay_alu instid0(VALU_DEP_2)
	v_add_co_ci_u32_e32 v5, vcc_lo, 0, v3, vcc_lo
	s_clause 0x1
	global_load_b128 v[0:3], v[1:2], off offset:192
	global_load_b128 v[4:7], v[4:5], off offset:128
	s_waitcnt vmcnt(1)
	ds_store_b128 v222, v[0:3]
	v_add_co_u32 v0, vcc_lo, s4, v191
	v_add_co_ci_u32_e32 v1, vcc_lo, s5, v192, vcc_lo
	s_delay_alu instid0(VALU_DEP_2) | instskip(NEXT) | instid1(VALU_DEP_2)
	v_add_co_u32 v0, vcc_lo, v0, v138
	v_add_co_ci_u32_e32 v1, vcc_lo, 0, v1, vcc_lo
	v_add_co_u32 v2, vcc_lo, s4, v219
	v_add_co_ci_u32_e32 v3, vcc_lo, s5, v220, vcc_lo
	s_delay_alu instid0(VALU_DEP_2) | instskip(NEXT) | instid1(VALU_DEP_2)
	v_add_co_u32 v121, vcc_lo, v2, v139
	v_add_co_ci_u32_e32 v122, vcc_lo, 0, v3, vcc_lo
	s_clause 0x1
	global_load_b128 v[0:3], v[0:1], off offset:128
	global_load_b128 v[121:124], v[121:122], off
	s_waitcnt vmcnt(2)
	ds_store_b128 v227, v[4:7]
	s_waitcnt vmcnt(1)
	ds_store_b128 v228, v[0:3]
	v_add_co_u32 v0, vcc_lo, s4, v187
	v_add_co_ci_u32_e32 v1, vcc_lo, s5, v188, vcc_lo
	s_delay_alu instid0(VALU_DEP_2) | instskip(NEXT) | instid1(VALU_DEP_2)
	v_add_co_u32 v0, vcc_lo, v0, v139
	v_add_co_ci_u32_e32 v1, vcc_lo, 0, v1, vcc_lo
	v_add_co_u32 v2, vcc_lo, s4, v240
	v_add_co_ci_u32_e32 v3, vcc_lo, s5, v241, vcc_lo
	s_delay_alu instid0(VALU_DEP_2) | instskip(NEXT) | instid1(VALU_DEP_2)
	v_add_co_u32 v4, vcc_lo, v2, v139
	v_add_co_ci_u32_e32 v5, vcc_lo, 0, v3, vcc_lo
	s_clause 0x1
	global_load_b128 v[0:3], v[0:1], off
	global_load_b128 v[4:7], v[4:5], off
	s_waitcnt vmcnt(2)
	ds_store_b128 v250, v[121:124]
	s_waitcnt vmcnt(1)
	ds_store_b128 v173, v[0:3]
	v_add_co_u32 v0, vcc_lo, s4, v201
	v_add_co_ci_u32_e32 v1, vcc_lo, s5, v202, vcc_lo
	s_mul_hi_i32 s5, s66, s10
	s_delay_alu instid0(VALU_DEP_2) | instskip(NEXT) | instid1(VALU_DEP_2)
	v_add_co_u32 v0, vcc_lo, v0, v139
	v_add_co_ci_u32_e32 v1, vcc_lo, 0, v1, vcc_lo
	s_mul_i32 s4, s66, s10
	s_delay_alu instid0(SALU_CYCLE_1)
	s_lshl_b64 s[6:7], s[4:5], 2
	global_load_b128 v[0:3], v[0:1], off
	s_add_u32 s5, s87, s6
	s_addc_u32 s4, s88, s7
	v_cmp_eq_u32_e64 s6, 1, v216
	s_add_i32 s102, s102, 1
	s_add_i32 s66, s66, 32
	s_cmp_lt_i32 s102, s104
	s_waitcnt vmcnt(1)
	ds_store_b128 v166, v[4:7]
	s_waitcnt vmcnt(0)
	ds_store_b128 v164, v[0:3]
	s_waitcnt lgkmcnt(0)
	s_barrier
	buffer_gl0_inv
	ds_load_b128 v[0:3], v230
	ds_load_b128 v[4:7], v230 offset:16
	s_waitcnt lgkmcnt(0)
	v_wmma_f32_16x16x16_f16 v[130:137], v[0:7], v[72:79], v[130:137]
	ds_load_b128 v[0:3], v230 offset:32
	ds_load_b128 v[4:7], v230 offset:48
	s_waitcnt lgkmcnt(0)
	v_wmma_f32_16x16x16_f16 v[130:137], v[0:7], v[64:71], v[130:137]
	ds_load_b128 v[0:3], v230 offset:64
	ds_load_b128 v[4:7], v230 offset:80
	s_waitcnt lgkmcnt(0)
	v_wmma_f32_16x16x16_f16 v[130:137], v[0:7], v[80:87], v[130:137]
	ds_load_b128 v[0:3], v230 offset:96
	ds_load_b128 v[4:7], v230 offset:112
	s_waitcnt lgkmcnt(0)
	v_wmma_f32_16x16x16_f16 v[130:137], v[0:7], v[88:95], v[130:137]
	ds_load_b128 v[0:3], v230 offset:128
	ds_load_b128 v[4:7], v230 offset:144
	s_waitcnt lgkmcnt(0)
	v_wmma_f32_16x16x16_f16 v[130:137], v[0:7], v[96:103], v[130:137]
	ds_load_b128 v[0:3], v230 offset:160
	ds_load_b128 v[4:7], v230 offset:176
	s_waitcnt lgkmcnt(0)
	v_wmma_f32_16x16x16_f16 v[130:137], v[0:7], v[104:111], v[130:137]
	ds_load_b128 v[0:3], v230 offset:192
	ds_load_b128 v[4:7], v230 offset:208
	s_waitcnt lgkmcnt(0)
	s_barrier
	buffer_gl0_inv
	v_wmma_f32_16x16x16_f16 v[130:137], v[0:7], v[112:119], v[130:137]
	ds_load_u16 v0, v223 offset:7680
	ds_load_u16 v1, v223 offset:7684
	;; [unrolled: 1-line block ×8, first 2 shown]
	s_waitcnt lgkmcnt(7)
	v_cvt_f32_f16_e32 v0, v0
	s_waitcnt lgkmcnt(6)
	v_cvt_f32_f16_e32 v1, v1
	;; [unrolled: 2-line block ×8, first 2 shown]
	v_add_f32_e32 v0, v130, v0
	v_add_f32_e32 v140, v131, v1
	v_dual_add_f32 v142, v133, v3 :: v_dual_add_f32 v3, v136, v6
	s_delay_alu instid0(VALU_DEP_4)
	v_add_f32_e32 v1, v137, v121
	scratch_load_b64 v[121:122], off, off   ; 8-byte Folded Reload
	v_add_f32_e32 v141, v132, v2
	v_add_f32_e32 v7, v134, v4
	v_dual_add_f32 v5, v135, v5 :: v_dual_add_f32 v6, 0x40051340, v142
	s_waitcnt vmcnt(0)
	v_add_co_u32 v2, vcc_lo, s5, v121
	v_add_co_ci_u32_e32 v4, vcc_lo, s4, v122, vcc_lo
	scratch_load_b64 v[122:123], off, off offset:8 ; 8-byte Folded Reload
	v_add_co_u32 v120, vcc_lo, v2, v120
	v_add_co_ci_u32_e32 v121, vcc_lo, 0, v4, vcc_lo
	s_waitcnt vmcnt(0)
	v_add_co_u32 v2, vcc_lo, s5, v122
	v_add_co_ci_u32_e32 v4, vcc_lo, s4, v123, vcc_lo
	s_delay_alu instid0(VALU_DEP_2) | instskip(NEXT) | instid1(VALU_DEP_2)
	v_add_co_u32 v124, vcc_lo, v2, v138
	v_add_co_ci_u32_e32 v125, vcc_lo, 0, v4, vcc_lo
	s_clause 0x1
	global_load_b128 v[120:123], v[120:121], off offset:192
	global_load_b128 v[124:127], v[124:125], off offset:128
	s_waitcnt vmcnt(1)
	ds_store_b128 v222, v[120:123]
	s_clause 0x1
	scratch_load_b64 v[120:121], off, off offset:16
	scratch_load_b64 v[122:123], off, off offset:32
	s_waitcnt vmcnt(1)
	v_add_co_u32 v2, vcc_lo, s5, v120
	v_add_co_ci_u32_e32 v4, vcc_lo, s4, v121, vcc_lo
	s_delay_alu instid0(VALU_DEP_2) | instskip(NEXT) | instid1(VALU_DEP_2)
	v_add_co_u32 v120, vcc_lo, v2, v138
	v_add_co_ci_u32_e32 v121, vcc_lo, 0, v4, vcc_lo
	s_waitcnt vmcnt(0)
	v_add_co_u32 v2, vcc_lo, s5, v122
	v_add_co_ci_u32_e32 v4, vcc_lo, s4, v123, vcc_lo
	s_delay_alu instid0(VALU_DEP_2) | instskip(NEXT) | instid1(VALU_DEP_2)
	v_add_co_u32 v130, vcc_lo, v2, v139
	v_add_co_ci_u32_e32 v131, vcc_lo, 0, v4, vcc_lo
	s_clause 0x1
	global_load_b128 v[120:123], v[120:121], off offset:128
	global_load_b128 v[130:133], v[130:131], off
	ds_store_b128 v227, v[124:127]
	s_waitcnt vmcnt(1)
	ds_store_b128 v228, v[120:123]
	s_clause 0x1
	scratch_load_b64 v[120:121], off, off offset:40
	scratch_load_b64 v[122:123], off, off offset:48
	s_waitcnt vmcnt(1)
	v_add_co_u32 v2, vcc_lo, s5, v120
	v_add_co_ci_u32_e32 v4, vcc_lo, s4, v121, vcc_lo
	s_delay_alu instid0(VALU_DEP_2) | instskip(NEXT) | instid1(VALU_DEP_2)
	v_add_co_u32 v120, vcc_lo, v2, v139
	v_add_co_ci_u32_e32 v121, vcc_lo, 0, v4, vcc_lo
	s_waitcnt vmcnt(0)
	v_add_co_u32 v2, vcc_lo, s5, v122
	v_add_co_ci_u32_e32 v4, vcc_lo, s4, v123, vcc_lo
	s_delay_alu instid0(VALU_DEP_2) | instskip(NEXT) | instid1(VALU_DEP_2)
	v_add_co_u32 v124, vcc_lo, v2, v139
	v_add_co_ci_u32_e32 v125, vcc_lo, 0, v4, vcc_lo
	s_clause 0x1
	global_load_b128 v[120:123], v[120:121], off
	global_load_b128 v[124:127], v[124:125], off
	v_add_co_u32 v2, vcc_lo, s5, v253
	v_add_co_ci_u32_e32 v4, vcc_lo, s4, v254, vcc_lo
	v_cmp_eq_u32_e64 s5, 0, v216
	ds_store_b128 v250, v[130:133]
	s_waitcnt vmcnt(1)
	ds_store_b128 v173, v[120:123]
	v_add_co_u32 v120, vcc_lo, v2, v139
	v_add_co_ci_u32_e32 v121, vcc_lo, 0, v4, vcc_lo
	v_add_f32_e32 v2, 0x40051340, v0
	v_add_f32_e32 v4, 0x40051340, v140
	global_load_b128 v[120:123], v[120:121], off
	s_waitcnt vmcnt(1)
	ds_store_b128 v166, v[124:127]
	s_waitcnt vmcnt(0)
	ds_store_b128 v164, v[120:123]
	v_max3_f32 v2, v176, v2, v4
	v_add_f32_e32 v4, 0x40051340, v141
	s_waitcnt lgkmcnt(0)
	s_barrier
	buffer_gl0_inv
	v_max3_f32 v2, v2, v4, v6
	v_add_f32_e32 v4, 0x40051340, v7
	v_add_f32_e32 v6, 0x40051340, v5
	s_delay_alu instid0(VALU_DEP_1) | instskip(SKIP_2) | instid1(VALU_DEP_1)
	v_max3_f32 v2, v2, v4, v6
	v_add_f32_e32 v4, 0x40051340, v3
	v_add_f32_e32 v6, 0x40051340, v1
	v_max3_f32 v2, v2, v4, v6
	ds_bpermute_b32 v4, v168, v2
	s_waitcnt lgkmcnt(0)
	v_max_f32_e32 v4, v4, v4
	s_delay_alu instid0(VALU_DEP_1) | instskip(NEXT) | instid1(VALU_DEP_1)
	v_max_f32_e32 v163, v2, v4
	v_sub_f32_e32 v0, v0, v163
	v_sub_f32_e32 v2, v140, v163
	;; [unrolled: 1-line block ×5, first 2 shown]
	v_cmp_ngt_f32_e64 s4, 0xc2ce8ed0, v0
	v_dual_mul_f32 v4, 0x3fb8aa3b, v2 :: v_dual_sub_f32 v7, v7, v163
	s_delay_alu instid0(VALU_DEP_1) | instskip(SKIP_1) | instid1(VALU_DEP_2)
	v_fma_f32 v6, 0x3fb8aa3b, v2, -v4
	v_rndne_f32_e32 v120, v4
	v_fmac_f32_e32 v6, 0x32a5705f, v2
	s_delay_alu instid0(VALU_DEP_2) | instskip(SKIP_1) | instid1(VALU_DEP_2)
	v_sub_f32_e32 v4, v4, v120
	v_cvt_i32_f32_e32 v120, v120
	v_add_f32_e32 v4, v4, v6
	v_mul_f32_e32 v6, 0x3fb8aa3b, v0
	s_delay_alu instid0(VALU_DEP_2) | instskip(NEXT) | instid1(VALU_DEP_1)
	v_exp_f32_e32 v4, v4
	v_fma_f32 v121, 0x3fb8aa3b, v0, -v6
	v_rndne_f32_e32 v122, v6
	s_delay_alu instid0(VALU_DEP_1)
	v_dual_fmac_f32 v121, 0x32a5705f, v0 :: v_dual_sub_f32 v6, v6, v122
	v_cmp_ngt_f32_e32 vcc_lo, 0xc2ce8ed0, v2
	s_waitcnt_depctr 0xfff
	v_ldexp_f32 v4, v4, v120
	v_cvt_i32_f32_e32 v120, v122
	v_add_f32_e32 v6, v6, v121
	s_delay_alu instid0(VALU_DEP_3) | instskip(SKIP_1) | instid1(VALU_DEP_3)
	v_cndmask_b32_e32 v4, 0, v4, vcc_lo
	v_cmp_nlt_f32_e32 vcc_lo, 0x42b17218, v2
	v_exp_f32_e32 v6, v6
	s_delay_alu instid0(VALU_DEP_2)
	v_cndmask_b32_e32 v4, 0x7f800000, v4, vcc_lo
	v_cmp_eq_u32_e32 vcc_lo, 1, v179
	s_waitcnt_depctr 0xfff
	v_ldexp_f32 v6, v6, v120
	ds_bpermute_b32 v120, v168, v4
	v_cndmask_b32_e64 v2, 0, v6, s4
	v_cmp_nlt_f32_e64 s4, 0x42b17218, v0
	s_delay_alu instid0(VALU_DEP_1)
	v_cndmask_b32_e64 v2, 0x7f800000, v2, s4
	v_cmp_eq_u32_e64 s4, 0, v179
	ds_bpermute_b32 v0, v168, v2
	s_waitcnt lgkmcnt(0)
	v_cndmask_b32_e32 v6, v2, v0, vcc_lo
	v_cndmask_b32_e64 v0, v2, v0, s4
	s_delay_alu instid0(VALU_DEP_1) | instskip(SKIP_1) | instid1(VALU_DEP_2)
	v_cndmask_b32_e64 v121, v0, v4, s5
	v_cvt_f16_f32_e32 v0, v0
	v_cndmask_b32_e64 v122, v121, v120, s4
	v_cndmask_b32_e64 v121, v6, v4, s6
	v_cvt_f16_f32_e32 v6, v6
	s_delay_alu instid0(VALU_DEP_2) | instskip(NEXT) | instid1(VALU_DEP_2)
	v_cndmask_b32_e32 v123, v121, v120, vcc_lo
	v_pack_b32_f16 v120, v0, v6
	v_sub_f32_e32 v0, v141, v163
	v_cvt_f16_f32_e32 v121, v122
	s_delay_alu instid0(VALU_DEP_4) | instskip(NEXT) | instid1(VALU_DEP_3)
	v_cvt_f16_f32_e32 v124, v123
	v_mul_f32_e32 v6, 0x3fb8aa3b, v0
	v_cmp_ngt_f32_e64 s7, 0xc2ce8ed0, v0
	s_delay_alu instid0(VALU_DEP_3) | instskip(NEXT) | instid1(VALU_DEP_3)
	v_pack_b32_f16 v121, v121, v124
	v_fma_f32 v124, 0x3fb8aa3b, v0, -v6
	v_rndne_f32_e32 v125, v6
	s_delay_alu instid0(VALU_DEP_2) | instskip(NEXT) | instid1(VALU_DEP_2)
	v_fmac_f32_e32 v124, 0x32a5705f, v0
	v_sub_f32_e32 v6, v6, v125
	s_delay_alu instid0(VALU_DEP_1) | instskip(SKIP_1) | instid1(VALU_DEP_2)
	v_add_f32_e32 v6, v6, v124
	v_cvt_i32_f32_e32 v124, v125
	v_exp_f32_e32 v6, v6
	s_waitcnt_depctr 0xfff
	v_ldexp_f32 v6, v6, v124
	s_delay_alu instid0(VALU_DEP_1) | instskip(SKIP_1) | instid1(VALU_DEP_1)
	v_cndmask_b32_e64 v6, 0, v6, s7
	v_cmp_nlt_f32_e64 s7, 0x42b17218, v0
	v_cndmask_b32_e64 v6, 0x7f800000, v6, s7
	s_delay_alu instid0(VALU_DEP_1) | instskip(SKIP_3) | instid1(VALU_DEP_1)
	v_cndmask_b32_e64 v0, v123, v6, s6
	ds_bpermute_b32 v123, v168, v6
	v_cndmask_b32_e64 v122, v122, v6, s5
	s_waitcnt lgkmcnt(0)
	v_cndmask_b32_e64 v124, v122, v123, s4
	v_cndmask_b32_e32 v0, v0, v123, vcc_lo
	s_delay_alu instid0(VALU_DEP_2) | instskip(NEXT) | instid1(VALU_DEP_2)
	v_cvt_f16_f32_e32 v122, v124
	v_cvt_f16_f32_e32 v123, v0
	s_delay_alu instid0(VALU_DEP_1) | instskip(SKIP_1) | instid1(VALU_DEP_1)
	v_pack_b32_f16 v122, v122, v123
	v_sub_f32_e32 v123, v142, v163
	v_mul_f32_e32 v125, 0x3fb8aa3b, v123
	v_cmp_ngt_f32_e64 s7, 0xc2ce8ed0, v123
	s_delay_alu instid0(VALU_DEP_2) | instskip(SKIP_1) | instid1(VALU_DEP_2)
	v_fma_f32 v126, 0x3fb8aa3b, v123, -v125
	v_rndne_f32_e32 v127, v125
	v_fmac_f32_e32 v126, 0x32a5705f, v123
	s_delay_alu instid0(VALU_DEP_2) | instskip(NEXT) | instid1(VALU_DEP_1)
	v_sub_f32_e32 v125, v125, v127
	v_add_f32_e32 v125, v125, v126
	v_cvt_i32_f32_e32 v126, v127
	s_delay_alu instid0(VALU_DEP_2) | instskip(SKIP_2) | instid1(VALU_DEP_1)
	v_exp_f32_e32 v125, v125
	s_waitcnt_depctr 0xfff
	v_ldexp_f32 v125, v125, v126
	v_cndmask_b32_e64 v125, 0, v125, s7
	v_cmp_nlt_f32_e64 s7, 0x42b17218, v123
	s_delay_alu instid0(VALU_DEP_1) | instskip(SKIP_1) | instid1(VALU_DEP_2)
	v_cndmask_b32_e64 v177, 0x7f800000, v125, s7
	v_cmp_ngt_f32_e64 s7, 0xc2ce8ed0, v7
	v_cndmask_b32_e64 v123, v124, v177, s5
	ds_bpermute_b32 v124, v168, v177
	v_cndmask_b32_e64 v0, v0, v177, s6
	s_waitcnt lgkmcnt(0)
	v_cndmask_b32_e64 v125, v123, v124, s4
	s_delay_alu instid0(VALU_DEP_2) | instskip(NEXT) | instid1(VALU_DEP_2)
	v_cndmask_b32_e32 v0, v0, v124, vcc_lo
	v_cvt_f16_f32_e32 v123, v125
	s_delay_alu instid0(VALU_DEP_2) | instskip(NEXT) | instid1(VALU_DEP_1)
	v_cvt_f16_f32_e32 v124, v0
	v_pack_b32_f16 v123, v123, v124
	v_mul_f32_e32 v124, 0x3fb8aa3b, v7
	s_delay_alu instid0(VALU_DEP_1) | instskip(SKIP_1) | instid1(VALU_DEP_2)
	v_fma_f32 v126, 0x3fb8aa3b, v7, -v124
	v_rndne_f32_e32 v127, v124
	v_fmac_f32_e32 v126, 0x32a5705f, v7
	s_delay_alu instid0(VALU_DEP_2) | instskip(NEXT) | instid1(VALU_DEP_1)
	v_sub_f32_e32 v124, v124, v127
	v_add_f32_e32 v124, v124, v126
	v_cvt_i32_f32_e32 v126, v127
	s_delay_alu instid0(VALU_DEP_2) | instskip(SKIP_2) | instid1(VALU_DEP_1)
	v_exp_f32_e32 v124, v124
	s_waitcnt_depctr 0xfff
	v_ldexp_f32 v124, v124, v126
	v_cndmask_b32_e64 v124, 0, v124, s7
	v_cmp_nlt_f32_e64 s7, 0x42b17218, v7
	s_delay_alu instid0(VALU_DEP_1) | instskip(SKIP_1) | instid1(VALU_DEP_2)
	v_cndmask_b32_e64 v7, 0x7f800000, v124, s7
	v_cmp_ngt_f32_e64 s7, 0xc2ce8ed0, v5
	v_cndmask_b32_e64 v124, v125, v7, s5
	ds_bpermute_b32 v125, v168, v7
	v_cndmask_b32_e64 v0, v0, v7, s6
	s_waitcnt lgkmcnt(0)
	v_cndmask_b32_e64 v126, v124, v125, s4
	s_delay_alu instid0(VALU_DEP_2) | instskip(NEXT) | instid1(VALU_DEP_2)
	v_cndmask_b32_e32 v0, v0, v125, vcc_lo
	v_cvt_f16_f32_e32 v124, v126
	s_delay_alu instid0(VALU_DEP_2) | instskip(NEXT) | instid1(VALU_DEP_1)
	v_cvt_f16_f32_e32 v125, v0
	v_pack_b32_f16 v124, v124, v125
	v_mul_f32_e32 v125, 0x3fb8aa3b, v5
	s_delay_alu instid0(VALU_DEP_1) | instskip(SKIP_1) | instid1(VALU_DEP_2)
	;; [unrolled: 29-line block ×3, first 2 shown]
	v_fma_f32 v130, 0x3fb8aa3b, v3, -v126
	v_rndne_f32_e32 v131, v126
	v_fmac_f32_e32 v130, 0x32a5705f, v3
	s_delay_alu instid0(VALU_DEP_2) | instskip(NEXT) | instid1(VALU_DEP_1)
	v_sub_f32_e32 v126, v126, v131
	v_add_f32_e32 v126, v126, v130
	v_cvt_i32_f32_e32 v130, v131
	s_delay_alu instid0(VALU_DEP_2) | instskip(SKIP_2) | instid1(VALU_DEP_1)
	v_exp_f32_e32 v126, v126
	s_waitcnt_depctr 0xfff
	v_ldexp_f32 v126, v126, v130
	v_cndmask_b32_e64 v126, 0, v126, s7
	v_cmp_nlt_f32_e64 s7, 0x42b17218, v3
	s_delay_alu instid0(VALU_DEP_1) | instskip(SKIP_1) | instid1(VALU_DEP_2)
	v_cndmask_b32_e64 v3, 0x7f800000, v126, s7
	v_cmp_ngt_f32_e64 s7, 0xc2ce8ed0, v1
	v_cndmask_b32_e64 v126, v127, v3, s5
	ds_bpermute_b32 v127, v168, v3
	v_cndmask_b32_e64 v0, v0, v3, s6
	s_waitcnt lgkmcnt(0)
	v_cndmask_b32_e64 v130, v126, v127, s4
	s_delay_alu instid0(VALU_DEP_2) | instskip(NEXT) | instid1(VALU_DEP_2)
	v_cndmask_b32_e32 v0, v0, v127, vcc_lo
	v_cvt_f16_f32_e64 v126, v130
	s_delay_alu instid0(VALU_DEP_2) | instskip(NEXT) | instid1(VALU_DEP_1)
	v_cvt_f16_f32_e32 v127, v0
	v_pack_b32_f16 v126, v126, v127
	v_mul_f32_e32 v127, 0x3fb8aa3b, v1
	s_delay_alu instid0(VALU_DEP_1) | instskip(SKIP_1) | instid1(VALU_DEP_2)
	v_fma_f32 v131, 0x3fb8aa3b, v1, -v127
	v_rndne_f32_e32 v132, v127
	v_fmac_f32_e32 v131, 0x32a5705f, v1
	s_delay_alu instid0(VALU_DEP_2) | instskip(NEXT) | instid1(VALU_DEP_1)
	v_sub_f32_e32 v127, v127, v132
	v_add_f32_e32 v127, v127, v131
	v_cvt_i32_f32_e32 v131, v132
	v_add_f32_e32 v2, v2, v4
	s_delay_alu instid0(VALU_DEP_3) | instskip(NEXT) | instid1(VALU_DEP_1)
	v_exp_f32_e32 v127, v127
	v_add_f32_e32 v2, v6, v2
	s_delay_alu instid0(VALU_DEP_1) | instskip(SKIP_3) | instid1(VALU_DEP_2)
	v_add_f32_e32 v2, v177, v2
	s_waitcnt_depctr 0xfff
	v_ldexp_f32 v127, v127, v131
	v_add_f32_e32 v2, v7, v2
	v_cndmask_b32_e64 v127, 0, v127, s7
	v_cmp_nlt_f32_e64 s7, 0x42b17218, v1
	s_delay_alu instid0(VALU_DEP_3) | instskip(NEXT) | instid1(VALU_DEP_2)
	v_add_f32_e32 v2, v5, v2
	v_cndmask_b32_e64 v1, 0x7f800000, v127, s7
	s_delay_alu instid0(VALU_DEP_2) | instskip(NEXT) | instid1(VALU_DEP_2)
	v_add_f32_e32 v2, v3, v2
	v_cndmask_b32_e64 v127, v130, v1, s5
	ds_bpermute_b32 v130, v168, v1
	v_cndmask_b32_e64 v0, v0, v1, s6
	s_waitcnt lgkmcnt(0)
	v_cndmask_b32_e64 v127, v127, v130, s4
	s_delay_alu instid0(VALU_DEP_2) | instskip(NEXT) | instid1(VALU_DEP_2)
	v_cndmask_b32_e32 v0, v0, v130, vcc_lo
	v_cvt_f16_f32_e32 v127, v127
	s_delay_alu instid0(VALU_DEP_2) | instskip(NEXT) | instid1(VALU_DEP_1)
	v_cvt_f16_f32_e32 v0, v0
	v_pack_b32_f16 v127, v127, v0
	v_sub_f32_e32 v0, v176, v163
	s_delay_alu instid0(VALU_DEP_1) | instskip(SKIP_1) | instid1(VALU_DEP_2)
	v_mul_f32_e32 v130, 0x3fb8aa3b, v0
	v_cmp_ngt_f32_e32 vcc_lo, 0xc2ce8ed0, v0
	v_fma_f32 v131, 0x3fb8aa3b, v0, -v130
	v_rndne_f32_e32 v132, v130
	s_delay_alu instid0(VALU_DEP_2) | instskip(NEXT) | instid1(VALU_DEP_2)
	v_fmac_f32_e32 v131, 0x32a5705f, v0
	v_sub_f32_e32 v130, v130, v132
	s_delay_alu instid0(VALU_DEP_1) | instskip(SKIP_1) | instid1(VALU_DEP_2)
	v_add_f32_e32 v130, v130, v131
	v_cvt_i32_f32_e32 v131, v132
	v_exp_f32_e32 v130, v130
	s_waitcnt_depctr 0xfff
	v_ldexp_f32 v130, v130, v131
	s_delay_alu instid0(VALU_DEP_1) | instskip(SKIP_1) | instid1(VALU_DEP_2)
	v_cndmask_b32_e32 v130, 0, v130, vcc_lo
	v_cmp_nlt_f32_e32 vcc_lo, 0x42b17218, v0
	v_cndmask_b32_e32 v130, 0x7f800000, v130, vcc_lo
	v_cmp_le_f32_e32 vcc_lo, 0xc1a00000, v0
	s_delay_alu instid0(VALU_DEP_2)
	v_cndmask_b32_e32 v0, 0, v130, vcc_lo
	ds_load_u16 v132, v203 offset:960
	ds_load_u16 v133, v203 offset:1440
	;; [unrolled: 1-line block ×34, first 2 shown]
	ds_load_u16 v130, v203
	ds_load_u16 v138, v203 offset:32
	ds_load_u16 v146, v203 offset:64
	;; [unrolled: 1-line block ×17, first 2 shown]
	s_waitcnt lgkmcnt(49)
	ds_load_u16_d16_hi v140, v203 offset:1232
	s_waitcnt lgkmcnt(49)
	ds_load_u16_d16_hi v141, v203 offset:1712
	ds_load_u16 v134, v203 offset:1920
	s_waitcnt lgkmcnt(50)
	ds_load_u16_d16_hi v142, v203 offset:2192
	ds_load_u16 v135, v203 offset:2400
	;; [unrolled: 3-line block ×4, first 2 shown]
	s_waitcnt lgkmcnt(53)
	ds_load_u16_d16_hi v145, v203 offset:3632
	s_waitcnt lgkmcnt(18)
	ds_load_u16_d16_hi v243, v203 offset:912
	ds_load_u16_d16_hi v132, v203 offset:1200
	;; [unrolled: 1-line block ×6, first 2 shown]
	s_waitcnt lgkmcnt(23)
	ds_load_u16_d16_hi v244, v203 offset:1392
	ds_load_u16_d16_hi v133, v203 offset:1680
	;; [unrolled: 1-line block ×6, first 2 shown]
	s_waitcnt lgkmcnt(28)
	ds_load_u16_d16_hi v245, v203 offset:1872
	v_mul_f32_e32 v47, v47, v0
	v_mul_f32_e32 v33, v33, v0
	s_waitcnt lgkmcnt(20)
	ds_load_u16_d16_hi v134, v203 offset:2160
	ds_load_u16_d16_hi v150, v203 offset:2224
	ds_load_u16_d16_hi v158, v203 offset:2256
	ds_load_u16_d16_hi v211, v203 offset:2288
	ds_load_u16_d16_hi v197, v203 offset:2320
	ds_load_u16_d16_hi v246, v203 offset:2352
	s_waitcnt lgkmcnt(24)
	ds_load_u16_d16_hi v135, v203 offset:2640
	ds_load_u16_d16_hi v151, v203 offset:2704
	ds_load_u16_d16_hi v159, v203 offset:2736
	ds_load_u16_d16_hi v212, v203 offset:2768
	ds_load_u16_d16_hi v198, v203 offset:2800
	ds_load_u16_d16_hi v247, v203 offset:2832
	;; [unrolled: 7-line block ×4, first 2 shown]
	ds_load_u16_d16_hi v207, v203 offset:368
	ds_load_u16_d16_hi v193, v203 offset:400
	;; [unrolled: 1-line block ×13, first 2 shown]
	v_mul_f32_e32 v35, v35, v0
	v_mul_f32_e32 v37, v37, v0
	;; [unrolled: 1-line block ×54, first 2 shown]
	s_waitcnt lgkmcnt(16)
	v_wmma_f32_16x16x16_f16 v[56:63], v[130:137], v[120:127], v[56:63]
	s_waitcnt lgkmcnt(4)
	v_wmma_f32_16x16x16_f16 v[48:55], v[138:145], v[120:127], v[48:55]
	;; [unrolled: 2-line block ×6, first 2 shown]
	v_wmma_f32_16x16x16_f16 v[8:15], v[242:249], v[120:127], v[8:15]
	v_add_f32_e32 v120, v1, v2
	s_barrier
	buffer_gl0_inv
	v_fmac_f32_e32 v120, v128, v0
	s_cbranch_scc0 .LBB19_76
; %bb.73:                               ;   in Loop: Header=BB19_72 Depth=2
	s_delay_alu instid0(VALU_DEP_1)
	v_mov_b32_e32 v128, v120
	v_mov_b32_e32 v176, v163
	s_ashr_i32 s67, s66, 31
	s_and_saveexec_b32 s4, s0
	s_cbranch_execnz .LBB19_71
	s_branch .LBB19_72
.LBB19_74:                              ;   in Loop: Header=BB19_10 Depth=1
	s_cbranch_execnz .LBB19_221
	s_branch .LBB19_426
.LBB19_75:                              ;   in Loop: Header=BB19_10 Depth=1
	v_mov_b32_e32 v14, v15
	v_mov_b32_e32 v13, v15
	;; [unrolled: 1-line block ×56, first 2 shown]
.LBB19_76:                              ;   in Loop: Header=BB19_10 Depth=1
	s_lshl_b32 s4, s102, 5
	s_delay_alu instid0(SALU_CYCLE_1)
	s_ashr_i32 s5, s4, 31
	s_and_saveexec_b32 s6, s0
	s_cbranch_execz .LBB19_78
; %bb.77:                               ;   in Loop: Header=BB19_10 Depth=1
	s_clause 0x1
	scratch_load_b32 v0, off, off offset:156
	scratch_load_b32 v4, off, off offset:300
	s_lshl_b64 s[66:67], s[4:5], 1
	s_waitcnt vmcnt(1)
	v_add_nc_u32_e32 v0, s89, v0
	s_waitcnt vmcnt(0)
	v_lshlrev_b32_e32 v4, 1, v4
	s_delay_alu instid0(VALU_DEP_2) | instskip(NEXT) | instid1(VALU_DEP_1)
	v_lshl_or_b32 v0, v0, 1, v216
	v_mul_hi_u32 v1, s34, v0
	s_delay_alu instid0(VALU_DEP_1) | instskip(NEXT) | instid1(VALU_DEP_1)
	v_add_nc_u32_e32 v1, v0, v1
	v_lshrrev_b32_e32 v1, s35, v1
	s_delay_alu instid0(VALU_DEP_1) | instskip(NEXT) | instid1(VALU_DEP_1)
	v_mul_lo_u32 v1, v1, s8
	v_sub_nc_u32_e32 v2, v0, v1
	s_delay_alu instid0(VALU_DEP_1) | instskip(SKIP_2) | instid1(VALU_DEP_3)
	v_mad_i64_i32 v[0:1], null, v2, s40, 0
	v_add_co_u32 v2, vcc_lo, v172, s66
	v_add_co_ci_u32_e32 v3, vcc_lo, s67, v165, vcc_lo
	v_lshlrev_b64 v[0:1], 1, v[0:1]
	s_delay_alu instid0(VALU_DEP_1) | instskip(NEXT) | instid1(VALU_DEP_2)
	v_add_co_u32 v0, vcc_lo, v2, v0
	v_add_co_ci_u32_e32 v1, vcc_lo, v3, v1, vcc_lo
	s_delay_alu instid0(VALU_DEP_2) | instskip(NEXT) | instid1(VALU_DEP_2)
	v_add_co_u32 v0, vcc_lo, v0, v4
	v_add_co_ci_u32_e32 v1, vcc_lo, 0, v1, vcc_lo
	global_load_b32 v0, v[0:1], off
	s_waitcnt vmcnt(0)
	ds_store_b32 v169, v0 offset:7680
.LBB19_78:                              ;   in Loop: Header=BB19_10 Depth=1
	s_or_b32 exec_lo, exec_lo, s6
	scratch_load_b64 v[0:1], off, off offset:24 ; 8-byte Folded Reload
	s_mul_hi_i32 s7, s4, s12
	s_mul_i32 s6, s4, s12
	v_dual_mov_b32 v208, v206 :: v_dual_lshlrev_b32 v121, 2, v204
	s_lshl_b64 s[6:7], s[6:7], 2
	v_dual_mov_b32 v210, v206 :: v_dual_lshlrev_b32 v123, 2, v221
	s_add_u32 s5, s90, s6
	s_addc_u32 s6, s91, s7
	v_dual_mov_b32 v207, v206 :: v_dual_lshlrev_b32 v122, 2, v229
	v_mov_b32_e32 v209, v206
	v_mov_b32_e32 v211, v206
	;; [unrolled: 1-line block ×4, first 2 shown]
	v_dual_mov_b32 v130, v206 :: v_dual_mov_b32 v131, v207
	v_dual_mov_b32 v132, v208 :: v_dual_mov_b32 v133, v209
	v_dual_mov_b32 v134, v210 :: v_dual_mov_b32 v135, v211
	s_delay_alu instid0(VALU_DEP_4) | instskip(SKIP_3) | instid1(VALU_DEP_2)
	v_dual_mov_b32 v136, v212 :: v_dual_mov_b32 v137, v213
	s_waitcnt vmcnt(0)
	v_add_co_u32 v0, vcc_lo, s5, v0
	v_add_co_ci_u32_e32 v2, vcc_lo, s6, v1, vcc_lo
	v_add_co_u32 v1, vcc_lo, v0, v121
	s_delay_alu instid0(VALU_DEP_2) | instskip(SKIP_2) | instid1(VALU_DEP_2)
	v_add_co_ci_u32_e32 v2, vcc_lo, 0, v2, vcc_lo
	v_add_co_u32 v0, vcc_lo, s5, v189
	v_add_co_ci_u32_e32 v3, vcc_lo, s6, v190, vcc_lo
	v_add_co_u32 v4, vcc_lo, v0, v123
	s_delay_alu instid0(VALU_DEP_2)
	v_add_co_ci_u32_e32 v5, vcc_lo, 0, v3, vcc_lo
	s_clause 0x1
	global_load_b128 v[0:3], v[1:2], off offset:192
	global_load_b128 v[4:7], v[4:5], off offset:128
	s_waitcnt vmcnt(1)
	ds_store_b128 v222, v[0:3]
	v_add_co_u32 v0, vcc_lo, s5, v191
	v_add_co_ci_u32_e32 v1, vcc_lo, s6, v192, vcc_lo
	s_delay_alu instid0(VALU_DEP_2) | instskip(NEXT) | instid1(VALU_DEP_2)
	v_add_co_u32 v0, vcc_lo, v0, v123
	v_add_co_ci_u32_e32 v1, vcc_lo, 0, v1, vcc_lo
	v_add_co_u32 v2, vcc_lo, s5, v219
	v_add_co_ci_u32_e32 v3, vcc_lo, s6, v220, vcc_lo
	s_delay_alu instid0(VALU_DEP_2) | instskip(NEXT) | instid1(VALU_DEP_2)
	v_add_co_u32 v124, vcc_lo, v2, v122
	v_add_co_ci_u32_e32 v125, vcc_lo, 0, v3, vcc_lo
	s_clause 0x1
	global_load_b128 v[0:3], v[0:1], off offset:128
	global_load_b128 v[124:127], v[124:125], off
	s_waitcnt vmcnt(2)
	ds_store_b128 v227, v[4:7]
	s_waitcnt vmcnt(1)
	ds_store_b128 v228, v[0:3]
	v_add_co_u32 v0, vcc_lo, s5, v187
	v_add_co_ci_u32_e32 v1, vcc_lo, s6, v188, vcc_lo
	s_delay_alu instid0(VALU_DEP_2) | instskip(NEXT) | instid1(VALU_DEP_2)
	v_add_co_u32 v0, vcc_lo, v0, v122
	v_add_co_ci_u32_e32 v1, vcc_lo, 0, v1, vcc_lo
	v_add_co_u32 v2, vcc_lo, s5, v240
	v_add_co_ci_u32_e32 v3, vcc_lo, s6, v241, vcc_lo
	s_delay_alu instid0(VALU_DEP_2) | instskip(NEXT) | instid1(VALU_DEP_2)
	v_add_co_u32 v4, vcc_lo, v2, v122
	v_add_co_ci_u32_e32 v5, vcc_lo, 0, v3, vcc_lo
	s_clause 0x1
	global_load_b128 v[0:3], v[0:1], off
	global_load_b128 v[4:7], v[4:5], off
	s_waitcnt vmcnt(2)
	ds_store_b128 v250, v[124:127]
	s_waitcnt vmcnt(1)
	ds_store_b128 v173, v[0:3]
	v_add_co_u32 v0, vcc_lo, s5, v201
	v_add_co_ci_u32_e32 v1, vcc_lo, s6, v202, vcc_lo
	s_mul_hi_i32 s5, s4, s10
	s_delay_alu instid0(VALU_DEP_2) | instskip(NEXT) | instid1(VALU_DEP_2)
	v_add_co_u32 v0, vcc_lo, v0, v122
	v_add_co_ci_u32_e32 v1, vcc_lo, 0, v1, vcc_lo
	s_mul_i32 s4, s4, s10
	v_cmp_eq_u32_e64 s6, 1, v216
	s_lshl_b64 s[4:5], s[4:5], 2
	global_load_b128 v[0:3], v[0:1], off
	s_add_u32 s4, s87, s4
	s_addc_u32 s5, s88, s5
	s_cmp_lg_u64 s[64:65], 0
	s_waitcnt vmcnt(1)
	ds_store_b128 v166, v[4:7]
	s_waitcnt vmcnt(0)
	ds_store_b128 v164, v[0:3]
	s_waitcnt lgkmcnt(0)
	s_barrier
	buffer_gl0_inv
	ds_load_b128 v[0:3], v230
	ds_load_b128 v[4:7], v230 offset:16
	s_waitcnt lgkmcnt(0)
	v_wmma_f32_16x16x16_f16 v[130:137], v[0:7], v[72:79], v[130:137]
	ds_load_b128 v[0:3], v230 offset:32
	ds_load_b128 v[4:7], v230 offset:48
	s_waitcnt lgkmcnt(0)
	v_wmma_f32_16x16x16_f16 v[130:137], v[0:7], v[64:71], v[130:137]
	ds_load_b128 v[0:3], v230 offset:64
	;; [unrolled: 4-line block ×6, first 2 shown]
	ds_load_b128 v[4:7], v230 offset:208
	s_waitcnt lgkmcnt(0)
	s_barrier
	buffer_gl0_inv
	v_wmma_f32_16x16x16_f16 v[130:137], v[0:7], v[112:119], v[130:137]
	ds_load_u16 v0, v223 offset:7680
	ds_load_u16 v1, v223 offset:7684
	;; [unrolled: 1-line block ×8, first 2 shown]
	s_waitcnt lgkmcnt(7)
	v_cvt_f32_f16_e32 v0, v0
	s_waitcnt lgkmcnt(6)
	v_cvt_f32_f16_e32 v1, v1
	;; [unrolled: 2-line block ×7, first 2 shown]
	v_dual_add_f32 v72, v130, v0 :: v_dual_add_f32 v71, v132, v2
	v_add_f32_e32 v73, v131, v1
	s_waitcnt lgkmcnt(0)
	v_cvt_f32_f16_e32 v7, v7
	v_add_f32_e32 v70, v133, v3
	v_dual_add_f32 v68, v135, v5 :: v_dual_add_f32 v67, v136, v6
	v_dual_add_f32 v0, 0x40051340, v72 :: v_dual_add_f32 v1, 0x40051340, v73
	s_delay_alu instid0(VALU_DEP_3) | instskip(SKIP_1) | instid1(VALU_DEP_3)
	v_dual_add_f32 v69, v134, v4 :: v_dual_add_f32 v2, 0x40051340, v70
	v_add_f32_e32 v66, v137, v7
	v_max3_f32 v0, v163, v0, v1
	v_add_f32_e32 v1, 0x40051340, v71
	s_delay_alu instid0(VALU_DEP_1) | instskip(SKIP_1) | instid1(VALU_DEP_1)
	v_max3_f32 v0, v0, v1, v2
	v_dual_add_f32 v1, 0x40051340, v69 :: v_dual_add_f32 v2, 0x40051340, v68
	v_max3_f32 v0, v0, v1, v2
	v_dual_add_f32 v1, 0x40051340, v67 :: v_dual_add_f32 v2, 0x40051340, v66
	s_delay_alu instid0(VALU_DEP_1) | instskip(SKIP_1) | instid1(VALU_DEP_1)
	v_max3_f32 v0, v0, v1, v2
	v_xor_b32_e32 v1, 16, v174
	v_cmp_gt_i32_e32 vcc_lo, 32, v1
	v_cndmask_b32_e32 v1, v174, v1, vcc_lo
	s_delay_alu instid0(VALU_DEP_1) | instskip(SKIP_3) | instid1(VALU_DEP_1)
	v_lshlrev_b32_e32 v64, 2, v1
	ds_bpermute_b32 v1, v64, v0
	s_waitcnt lgkmcnt(0)
	v_max_f32_e32 v1, v1, v1
	v_max_f32_e32 v65, v0, v1
	s_delay_alu instid0(VALU_DEP_1) | instskip(NEXT) | instid1(VALU_DEP_1)
	v_sub_f32_e32 v0, v163, v65
	v_mul_f32_e32 v1, 0x3fb8aa3b, v0
	v_cmp_ngt_f32_e32 vcc_lo, 0xc2ce8ed0, v0
	s_delay_alu instid0(VALU_DEP_2) | instskip(SKIP_1) | instid1(VALU_DEP_1)
	v_fma_f32 v2, 0x3fb8aa3b, v0, -v1
	v_rndne_f32_e32 v3, v1
	v_dual_fmac_f32 v2, 0x32a5705f, v0 :: v_dual_sub_f32 v1, v1, v3
	s_delay_alu instid0(VALU_DEP_1) | instskip(SKIP_1) | instid1(VALU_DEP_2)
	v_add_f32_e32 v1, v1, v2
	v_cvt_i32_f32_e32 v2, v3
	v_exp_f32_e32 v1, v1
	s_waitcnt_depctr 0xfff
	v_ldexp_f32 v1, v1, v2
	s_delay_alu instid0(VALU_DEP_1) | instskip(SKIP_1) | instid1(VALU_DEP_2)
	v_cndmask_b32_e32 v1, 0, v1, vcc_lo
	v_cmp_nlt_f32_e32 vcc_lo, 0x42b17218, v0
	v_cndmask_b32_e32 v1, 0x7f800000, v1, vcc_lo
	v_cmp_le_f32_e32 vcc_lo, 0xc1a00000, v0
	s_delay_alu instid0(VALU_DEP_2) | instskip(NEXT) | instid1(VALU_DEP_1)
	v_cndmask_b32_e32 v74, 0, v1, vcc_lo
	v_mul_f32_e32 v62, v62, v74
	v_mul_f32_e32 v2, v9, v74
	;; [unrolled: 1-line block ×3, first 2 shown]
	scratch_load_b64 v[9:10], off, off      ; 8-byte Folded Reload
	v_mul_f32_e32 v4, v11, v74
	v_mul_f32_e32 v5, v12, v74
	scratch_load_b64 v[11:12], off, off offset:8 ; 8-byte Folded Reload
	v_mul_f32_e32 v6, v13, v74
	v_mul_f32_e32 v7, v14, v74
	v_sub_f32_e32 v67, v67, v65
	v_sub_f32_e32 v66, v66, v65
	s_waitcnt vmcnt(1)
	v_add_co_u32 v0, vcc_lo, s4, v9
	v_add_co_ci_u32_e32 v10, vcc_lo, s5, v10, vcc_lo
	s_delay_alu instid0(VALU_DEP_2) | instskip(NEXT) | instid1(VALU_DEP_2)
	v_add_co_u32 v9, vcc_lo, v0, v121
	v_add_co_ci_u32_e32 v10, vcc_lo, 0, v10, vcc_lo
	s_waitcnt vmcnt(0)
	v_add_co_u32 v0, vcc_lo, s4, v11
	v_add_co_ci_u32_e32 v11, vcc_lo, s5, v12, vcc_lo
	s_delay_alu instid0(VALU_DEP_2) | instskip(NEXT) | instid1(VALU_DEP_2)
	v_add_co_u32 v13, vcc_lo, v0, v123
	v_add_co_ci_u32_e32 v14, vcc_lo, 0, v11, vcc_lo
	s_clause 0x1
	global_load_b128 v[9:12], v[9:10], off offset:192
	global_load_b128 v[75:78], v[13:14], off offset:128
	s_waitcnt vmcnt(1)
	ds_store_b128 v222, v[9:12]
	s_clause 0x1
	scratch_load_b64 v[9:10], off, off offset:16
	scratch_load_b64 v[11:12], off, off offset:32
	s_waitcnt vmcnt(1)
	v_add_co_u32 v0, vcc_lo, s4, v9
	v_add_co_ci_u32_e32 v10, vcc_lo, s5, v10, vcc_lo
	s_delay_alu instid0(VALU_DEP_2) | instskip(NEXT) | instid1(VALU_DEP_2)
	v_add_co_u32 v9, vcc_lo, v0, v123
	v_add_co_ci_u32_e32 v10, vcc_lo, 0, v10, vcc_lo
	s_waitcnt vmcnt(0)
	v_add_co_u32 v0, vcc_lo, s4, v11
	v_add_co_ci_u32_e32 v11, vcc_lo, s5, v12, vcc_lo
	s_delay_alu instid0(VALU_DEP_2) | instskip(NEXT) | instid1(VALU_DEP_2)
	v_add_co_u32 v13, vcc_lo, v0, v122
	v_add_co_ci_u32_e32 v14, vcc_lo, 0, v11, vcc_lo
	s_clause 0x1
	global_load_b128 v[9:12], v[9:10], off offset:128
	global_load_b128 v[79:82], v[13:14], off
	ds_store_b128 v227, v[75:78]
	s_waitcnt vmcnt(1)
	ds_store_b128 v228, v[9:12]
	s_clause 0x1
	scratch_load_b64 v[9:10], off, off offset:40
	scratch_load_b64 v[11:12], off, off offset:48
	s_waitcnt vmcnt(1)
	v_add_co_u32 v0, vcc_lo, s4, v9
	v_add_co_ci_u32_e32 v10, vcc_lo, s5, v10, vcc_lo
	s_delay_alu instid0(VALU_DEP_2) | instskip(NEXT) | instid1(VALU_DEP_2)
	v_add_co_u32 v9, vcc_lo, v0, v122
	v_add_co_ci_u32_e32 v10, vcc_lo, 0, v10, vcc_lo
	s_waitcnt vmcnt(0)
	v_add_co_u32 v0, vcc_lo, s4, v11
	v_add_co_ci_u32_e32 v11, vcc_lo, s5, v12, vcc_lo
	s_delay_alu instid0(VALU_DEP_2) | instskip(NEXT) | instid1(VALU_DEP_2)
	v_add_co_u32 v13, vcc_lo, v0, v122
	v_add_co_ci_u32_e32 v14, vcc_lo, 0, v11, vcc_lo
	s_clause 0x1
	global_load_b128 v[9:12], v[9:10], off
	global_load_b128 v[75:78], v[13:14], off
	v_add_co_u32 v0, vcc_lo, s4, v253
	ds_store_b128 v250, v[79:82]
	s_waitcnt vmcnt(1)
	ds_store_b128 v173, v[9:12]
	v_add_co_ci_u32_e32 v10, vcc_lo, s5, v254, vcc_lo
	v_add_co_u32 v9, vcc_lo, v0, v122
	v_sub_f32_e32 v0, v73, v65
	s_delay_alu instid0(VALU_DEP_3) | instskip(SKIP_1) | instid1(VALU_DEP_3)
	v_add_co_ci_u32_e32 v10, vcc_lo, 0, v10, vcc_lo
	v_cmp_eq_u32_e64 s5, 0, v216
	v_cmp_ngt_f32_e32 vcc_lo, 0xc2ce8ed0, v0
	global_load_b128 v[9:12], v[9:10], off
	s_waitcnt vmcnt(1)
	ds_store_b128 v166, v[75:78]
	s_waitcnt vmcnt(0)
	ds_store_b128 v164, v[9:12]
	v_mul_f32_e32 v9, 0x3fb8aa3b, v0
	v_mul_f32_e32 v57, v57, v74
	;; [unrolled: 1-line block ×5, first 2 shown]
	v_fma_f32 v10, 0x3fb8aa3b, v0, -v9
	v_rndne_f32_e32 v11, v9
	v_mul_f32_e32 v52, v52, v74
	v_mul_f32_e32 v32, v32, v74
	s_delay_alu instid0(VALU_DEP_4) | instskip(NEXT) | instid1(VALU_DEP_4)
	v_dual_mul_f32 v55, v55, v74 :: v_dual_fmac_f32 v10, 0x32a5705f, v0
	v_sub_f32_e32 v9, v9, v11
	v_cvt_i32_f32_e32 v11, v11
	v_mul_f32_e32 v38, v38, v74
	v_mul_f32_e32 v24, v24, v74
	;; [unrolled: 1-line block ×3, first 2 shown]
	v_dual_add_f32 v9, v9, v10 :: v_dual_sub_f32 v10, v72, v65
	v_mul_f32_e32 v37, v37, v74
	s_waitcnt lgkmcnt(0)
	s_barrier
	s_delay_alu instid0(VALU_DEP_2)
	v_exp_f32_e32 v9, v9
	v_mul_f32_e32 v12, 0x3fb8aa3b, v10
	v_cmp_ngt_f32_e64 s4, 0xc2ce8ed0, v10
	buffer_gl0_inv
	v_mul_f32_e32 v56, v56, v74
	v_mul_f32_e32 v58, v58, v74
	v_fma_f32 v13, 0x3fb8aa3b, v10, -v12
	v_rndne_f32_e32 v14, v12
	v_mul_f32_e32 v60, v60, v74
	v_mul_f32_e32 v48, v48, v74
	v_ldexp_f32 v9, v9, v11
	v_fmac_f32_e32 v13, 0x32a5705f, v10
	v_sub_f32_e32 v12, v12, v14
	v_mul_f32_e32 v59, v59, v74
	s_delay_alu instid0(VALU_DEP_4) | instskip(SKIP_1) | instid1(VALU_DEP_4)
	v_dual_mul_f32 v54, v54, v74 :: v_dual_cndmask_b32 v9, 0, v9
	v_cmp_nlt_f32_e32 vcc_lo, 0x42b17218, v0
	v_add_f32_e32 v12, v12, v13
	v_mul_f32_e32 v40, v40, v74
	v_mul_f32_e32 v50, v50, v74
	v_dual_mul_f32 v16, v16, v74 :: v_dual_cndmask_b32 v9, 0x7f800000, v9
	s_delay_alu instid0(VALU_DEP_4)
	v_exp_f32_e32 v11, v12
	v_cvt_i32_f32_e32 v12, v14
	v_cmp_eq_u32_e32 vcc_lo, 0, v179
	v_mul_f32_e32 v19, v19, v74
	v_mul_f32_e32 v20, v20, v74
	;; [unrolled: 1-line block ×4, first 2 shown]
	s_delay_alu instid0(TRANS32_DEP_1) | instskip(SKIP_3) | instid1(VALU_DEP_1)
	v_ldexp_f32 v11, v11, v12
	ds_bpermute_b32 v12, v64, v9
	v_cndmask_b32_e64 v0, 0, v11, s4
	v_cmp_nlt_f32_e64 s4, 0x42b17218, v10
	v_cndmask_b32_e64 v0, 0x7f800000, v0, s4
	v_cmp_eq_u32_e64 s4, 1, v179
	v_mul_f32_e32 v39, v39, v74
	ds_bpermute_b32 v10, v64, v0
	s_waitcnt lgkmcnt(0)
	v_cndmask_b32_e64 v11, v0, v10, s4
	v_cndmask_b32_e32 v10, v0, v10, vcc_lo
	v_add_f32_e32 v0, v0, v9
	s_delay_alu instid0(VALU_DEP_3) | instskip(NEXT) | instid1(VALU_DEP_3)
	v_cndmask_b32_e64 v14, v11, v9, s6
	v_cndmask_b32_e64 v13, v10, v9, s5
	v_cvt_f16_f32_e32 v10, v10
	v_cvt_f16_f32_e32 v11, v11
	s_delay_alu instid0(VALU_DEP_3) | instskip(SKIP_1) | instid1(VALU_DEP_3)
	v_dual_mul_f32 v42, v42, v74 :: v_dual_cndmask_b32 v13, v13, v12
	v_cndmask_b32_e64 v12, v14, v12, s4
	v_pack_b32_f16 v75, v10, v11
	v_sub_f32_e32 v10, v71, v65
	s_delay_alu instid0(VALU_DEP_4) | instskip(NEXT) | instid1(VALU_DEP_4)
	v_cvt_f16_f32_e32 v14, v13
	v_cvt_f16_f32_e32 v15, v12
	s_delay_alu instid0(VALU_DEP_3) | instskip(SKIP_1) | instid1(VALU_DEP_3)
	v_mul_f32_e32 v11, 0x3fb8aa3b, v10
	v_cmp_ngt_f32_e64 s7, 0xc2ce8ed0, v10
	v_pack_b32_f16 v76, v14, v15
	s_delay_alu instid0(VALU_DEP_3) | instskip(SKIP_2) | instid1(VALU_DEP_2)
	v_fma_f32 v14, 0x3fb8aa3b, v10, -v11
	v_rndne_f32_e32 v15, v11
	v_mul_f32_e32 v44, v44, v74
	v_dual_fmac_f32 v14, 0x32a5705f, v10 :: v_dual_sub_f32 v11, v11, v15
	s_delay_alu instid0(VALU_DEP_1) | instskip(SKIP_1) | instid1(VALU_DEP_2)
	v_add_f32_e32 v11, v11, v14
	v_cvt_i32_f32_e32 v14, v15
	v_exp_f32_e32 v11, v11
	s_waitcnt_depctr 0xfff
	v_ldexp_f32 v11, v11, v14
	s_delay_alu instid0(VALU_DEP_1) | instskip(SKIP_1) | instid1(VALU_DEP_1)
	v_cndmask_b32_e64 v11, 0, v11, s7
	v_cmp_nlt_f32_e64 s7, 0x42b17218, v10
	v_cndmask_b32_e64 v10, 0x7f800000, v11, s7
	s_delay_alu instid0(VALU_DEP_1)
	v_dual_mul_f32 v25, v25, v74 :: v_dual_add_f32 v0, v10, v0
	v_cndmask_b32_e64 v11, v12, v10, s6
	v_cndmask_b32_e64 v12, v13, v10, s5
	ds_bpermute_b32 v13, v64, v10
	s_waitcnt lgkmcnt(0)
	v_dual_mul_f32 v63, v63, v74 :: v_dual_cndmask_b32 v12, v12, v13
	v_cndmask_b32_e64 v11, v11, v13, s4
	s_delay_alu instid0(VALU_DEP_2) | instskip(NEXT) | instid1(VALU_DEP_2)
	v_cvt_f16_f32_e32 v13, v12
	v_cvt_f16_f32_e32 v14, v11
	s_delay_alu instid0(VALU_DEP_1) | instskip(SKIP_1) | instid1(VALU_DEP_1)
	v_pack_b32_f16 v77, v13, v14
	v_sub_f32_e32 v13, v70, v65
	v_dual_mul_f32 v49, v49, v74 :: v_dual_mul_f32 v14, 0x3fb8aa3b, v13
	v_cmp_ngt_f32_e64 s7, 0xc2ce8ed0, v13
	s_delay_alu instid0(VALU_DEP_2) | instskip(SKIP_1) | instid1(VALU_DEP_2)
	v_fma_f32 v15, 0x3fb8aa3b, v13, -v14
	v_rndne_f32_e32 v70, v14
	v_dual_mul_f32 v46, v46, v74 :: v_dual_fmac_f32 v15, 0x32a5705f, v13
	s_delay_alu instid0(VALU_DEP_2) | instskip(NEXT) | instid1(VALU_DEP_1)
	v_sub_f32_e32 v14, v14, v70
	v_dual_mul_f32 v51, v51, v74 :: v_dual_add_f32 v14, v14, v15
	v_cvt_i32_f32_e32 v15, v70
	s_delay_alu instid0(VALU_DEP_2) | instskip(SKIP_2) | instid1(VALU_DEP_1)
	v_exp_f32_e32 v14, v14
	s_waitcnt_depctr 0xfff
	v_ldexp_f32 v14, v14, v15
	v_cndmask_b32_e64 v14, 0, v14, s7
	v_cmp_nlt_f32_e64 s7, 0x42b17218, v13
	s_delay_alu instid0(VALU_DEP_1) | instskip(NEXT) | instid1(VALU_DEP_1)
	v_cndmask_b32_e64 v13, 0x7f800000, v14, s7
	v_dual_mul_f32 v27, v27, v74 :: v_dual_add_f32 v0, v13, v0
	ds_bpermute_b32 v14, v64, v13
	v_cndmask_b32_e64 v11, v11, v13, s6
	v_cndmask_b32_e64 v12, v12, v13, s5
	s_waitcnt lgkmcnt(0)
	s_delay_alu instid0(VALU_DEP_1) | instskip(NEXT) | instid1(VALU_DEP_3)
	v_cndmask_b32_e32 v12, v12, v14, vcc_lo
	v_cndmask_b32_e64 v11, v11, v14, s4
	s_delay_alu instid0(VALU_DEP_2) | instskip(NEXT) | instid1(VALU_DEP_2)
	v_cvt_f16_f32_e32 v14, v12
	v_cvt_f16_f32_e32 v15, v11
	s_delay_alu instid0(VALU_DEP_1) | instskip(SKIP_1) | instid1(VALU_DEP_1)
	v_pack_b32_f16 v78, v14, v15
	v_sub_f32_e32 v14, v69, v65
	v_mul_f32_e32 v15, 0x3fb8aa3b, v14
	v_cmp_ngt_f32_e64 s7, 0xc2ce8ed0, v14
	s_delay_alu instid0(VALU_DEP_2) | instskip(SKIP_1) | instid1(VALU_DEP_2)
	v_fma_f32 v69, 0x3fb8aa3b, v14, -v15
	v_rndne_f32_e32 v70, v15
	v_fmac_f32_e32 v69, 0x32a5705f, v14
	s_delay_alu instid0(VALU_DEP_2) | instskip(NEXT) | instid1(VALU_DEP_1)
	v_sub_f32_e32 v15, v15, v70
	v_dual_mul_f32 v34, v34, v74 :: v_dual_add_f32 v15, v15, v69
	v_cvt_i32_f32_e32 v69, v70
	s_delay_alu instid0(VALU_DEP_2) | instskip(SKIP_2) | instid1(VALU_DEP_1)
	v_exp_f32_e32 v15, v15
	s_waitcnt_depctr 0xfff
	v_ldexp_f32 v15, v15, v69
	v_cndmask_b32_e64 v15, 0, v15, s7
	v_cmp_nlt_f32_e64 s7, 0x42b17218, v14
	s_delay_alu instid0(VALU_DEP_1) | instskip(NEXT) | instid1(VALU_DEP_1)
	v_cndmask_b32_e64 v14, 0x7f800000, v15, s7
	v_dual_mul_f32 v29, v29, v74 :: v_dual_add_f32 v0, v14, v0
	ds_bpermute_b32 v15, v64, v14
	v_cndmask_b32_e64 v11, v11, v14, s6
	v_cndmask_b32_e64 v12, v12, v14, s5
	s_waitcnt lgkmcnt(0)
	s_delay_alu instid0(VALU_DEP_1) | instskip(NEXT) | instid1(VALU_DEP_3)
	v_dual_mul_f32 v53, v53, v74 :: v_dual_cndmask_b32 v12, v12, v15
	v_cndmask_b32_e64 v11, v11, v15, s4
	s_delay_alu instid0(VALU_DEP_2) | instskip(NEXT) | instid1(VALU_DEP_2)
	v_cvt_f16_f32_e32 v15, v12
	v_cvt_f16_f32_e32 v69, v11
	s_delay_alu instid0(VALU_DEP_1) | instskip(SKIP_1) | instid1(VALU_DEP_1)
	v_pack_b32_f16 v79, v15, v69
	v_sub_f32_e32 v15, v68, v65
	v_dual_mul_f32 v41, v41, v74 :: v_dual_mul_f32 v68, 0x3fb8aa3b, v15
	v_cmp_ngt_f32_e64 s7, 0xc2ce8ed0, v15
	s_delay_alu instid0(VALU_DEP_2) | instskip(SKIP_1) | instid1(VALU_DEP_2)
	v_fma_f32 v69, 0x3fb8aa3b, v15, -v68
	v_rndne_f32_e32 v70, v68
	v_dual_mul_f32 v36, v36, v74 :: v_dual_fmac_f32 v69, 0x32a5705f, v15
	s_delay_alu instid0(VALU_DEP_2) | instskip(NEXT) | instid1(VALU_DEP_1)
	v_sub_f32_e32 v68, v68, v70
	v_dual_mul_f32 v43, v43, v74 :: v_dual_add_f32 v68, v68, v69
	v_cvt_i32_f32_e32 v69, v70
	s_delay_alu instid0(VALU_DEP_2) | instskip(SKIP_2) | instid1(VALU_DEP_1)
	v_exp_f32_e32 v68, v68
	s_waitcnt_depctr 0xfff
	v_ldexp_f32 v68, v68, v69
	v_cndmask_b32_e64 v68, 0, v68, s7
	v_cmp_nlt_f32_e64 s7, 0x42b17218, v15
	s_delay_alu instid0(VALU_DEP_1) | instskip(SKIP_1) | instid1(VALU_DEP_2)
	v_cndmask_b32_e64 v15, 0x7f800000, v68, s7
	v_cmp_ngt_f32_e64 s7, 0xc2ce8ed0, v67
	v_dual_mul_f32 v17, v17, v74 :: v_dual_add_f32 v0, v15, v0
	ds_bpermute_b32 v68, v64, v15
	v_cndmask_b32_e64 v11, v11, v15, s6
	v_cndmask_b32_e64 v12, v12, v15, s5
	s_waitcnt lgkmcnt(0)
	s_delay_alu instid0(VALU_DEP_1) | instskip(NEXT) | instid1(VALU_DEP_3)
	v_dual_mul_f32 v45, v45, v74 :: v_dual_cndmask_b32 v12, v12, v68
	v_cndmask_b32_e64 v11, v11, v68, s4
	s_delay_alu instid0(VALU_DEP_2) | instskip(NEXT) | instid1(VALU_DEP_2)
	v_cvt_f16_f32_e32 v68, v12
	v_cvt_f16_f32_e32 v69, v11
	s_delay_alu instid0(VALU_DEP_1) | instskip(SKIP_1) | instid1(VALU_DEP_1)
	v_pack_b32_f16 v80, v68, v69
	v_mul_f32_e32 v68, 0x3fb8aa3b, v67
	v_fma_f32 v69, 0x3fb8aa3b, v67, -v68
	v_rndne_f32_e32 v70, v68
	s_delay_alu instid0(VALU_DEP_2) | instskip(NEXT) | instid1(VALU_DEP_2)
	v_dual_mul_f32 v26, v26, v74 :: v_dual_fmac_f32 v69, 0x32a5705f, v67
	v_sub_f32_e32 v68, v68, v70
	s_delay_alu instid0(VALU_DEP_1) | instskip(SKIP_1) | instid1(VALU_DEP_2)
	v_dual_mul_f32 v33, v33, v74 :: v_dual_add_f32 v68, v68, v69
	v_cvt_i32_f32_e32 v69, v70
	v_exp_f32_e32 v68, v68
	s_waitcnt_depctr 0xfff
	v_ldexp_f32 v68, v68, v69
	s_delay_alu instid0(VALU_DEP_1) | instskip(SKIP_1) | instid1(VALU_DEP_1)
	v_cndmask_b32_e64 v68, 0, v68, s7
	v_cmp_nlt_f32_e64 s7, 0x42b17218, v67
	v_cndmask_b32_e64 v115, 0x7f800000, v68, s7
	v_cmp_ngt_f32_e64 s7, 0xc2ce8ed0, v66
	s_delay_alu instid0(VALU_DEP_2) | instskip(SKIP_4) | instid1(VALU_DEP_1)
	v_dual_mul_f32 v21, v21, v74 :: v_dual_add_f32 v0, v115, v0
	ds_bpermute_b32 v67, v64, v115
	v_cndmask_b32_e64 v11, v11, v115, s6
	v_cndmask_b32_e64 v12, v12, v115, s5
	s_waitcnt lgkmcnt(0)
	v_dual_mul_f32 v35, v35, v74 :: v_dual_cndmask_b32 v12, v12, v67
	s_delay_alu instid0(VALU_DEP_3) | instskip(NEXT) | instid1(VALU_DEP_2)
	v_cndmask_b32_e64 v11, v11, v67, s4
	v_cvt_f16_f32_e32 v67, v12
	s_delay_alu instid0(VALU_DEP_2) | instskip(NEXT) | instid1(VALU_DEP_1)
	v_cvt_f16_f32_e32 v68, v11
	v_pack_b32_f16 v81, v67, v68
	v_mul_f32_e32 v67, 0x3fb8aa3b, v66
	s_delay_alu instid0(VALU_DEP_1) | instskip(SKIP_2) | instid1(VALU_DEP_2)
	v_fma_f32 v68, 0x3fb8aa3b, v66, -v67
	v_rndne_f32_e32 v69, v67
	v_mul_f32_e32 v28, v28, v74
	v_dual_fmac_f32 v68, 0x32a5705f, v66 :: v_dual_sub_f32 v67, v67, v69
	s_delay_alu instid0(VALU_DEP_1) | instskip(SKIP_1) | instid1(VALU_DEP_2)
	v_dual_mul_f32 v30, v30, v74 :: v_dual_add_f32 v67, v67, v68
	v_cvt_i32_f32_e32 v68, v69
	v_exp_f32_e32 v67, v67
	s_waitcnt_depctr 0xfff
	v_ldexp_f32 v67, v67, v68
	s_delay_alu instid0(VALU_DEP_1) | instskip(SKIP_1) | instid1(VALU_DEP_1)
	v_cndmask_b32_e64 v67, 0, v67, s7
	v_cmp_nlt_f32_e64 s7, 0x42b17218, v66
	v_cndmask_b32_e64 v116, 0x7f800000, v67, s7
	s_delay_alu instid0(VALU_DEP_1)
	v_dual_mul_f32 v31, v31, v74 :: v_dual_add_f32 v0, v116, v0
	ds_bpermute_b32 v66, v64, v116
	v_cndmask_b32_e64 v11, v11, v116, s6
	v_cndmask_b32_e64 v12, v12, v116, s5
	v_fmac_f32_e32 v0, v120, v74
	ds_bpermute_b32 v9, v64, v0
	v_mul_f32_e32 v18, v18, v74
	s_waitcnt lgkmcnt(1)
	v_cndmask_b32_e32 v12, v12, v66, vcc_lo
	v_cndmask_b32_e64 v11, v11, v66, s4
	ds_load_u16 v68, v203 offset:960
	ds_load_u16 v69, v203 offset:1440
	;; [unrolled: 1-line block ×5, first 2 shown]
	ds_load_u16 v66, v203
	ds_load_u16 v67, v203 offset:480
	ds_load_u16 v85, v231 offset:960
	;; [unrolled: 1-line block ×49, first 2 shown]
	s_waitcnt lgkmcnt(43)
	ds_load_u16_d16_hi v89, v203 offset:3152
	s_waitcnt lgkmcnt(25)
	ds_load_u16_d16_hi v126, v203 offset:2832
	ds_load_u16_d16_hi v72, v203 offset:3120
	;; [unrolled: 1-line block ×3, first 2 shown]
	s_waitcnt lgkmcnt(19)
	ds_load_u16_d16_hi v127, v203 offset:3312
	ds_load_u16_d16_hi v73, v203 offset:3600
	;; [unrolled: 1-line block ×7, first 2 shown]
	ds_load_u16 v71, v203 offset:2400
	ds_load_u16_d16_hi v88, v203 offset:2672
	ds_load_u16_d16_hi v122, v203 offset:912
	ds_load_u16_d16_hi v68, v203 offset:1200
	ds_load_u16_d16_hi v93, v203 offset:1264
	ds_load_u16_d16_hi v101, v203 offset:1296
	ds_load_u16_d16_hi v132, v203 offset:1328
	s_waitcnt lgkmcnt(27)
	ds_load_u16_d16_hi v109, v203 offset:1360
	ds_load_u16_d16_hi v123, v203 offset:1392
	ds_load_u16_d16_hi v69, v203 offset:1680
	ds_load_u16_d16_hi v94, v203 offset:1744
	ds_load_u16_d16_hi v102, v203 offset:1776
	ds_load_u16_d16_hi v133, v203 offset:1808
	s_waitcnt lgkmcnt(32)
	;; [unrolled: 7-line block ×3, first 2 shown]
	ds_load_u16_d16_hi v111, v203 offset:2320
	ds_load_u16_d16_hi v125, v203 offset:2352
	v_add_f32_e32 v9, v0, v9
	s_waitcnt lgkmcnt(20)
	ds_load_u16_d16_hi v71, v203 offset:2640
	ds_load_u16_d16_hi v96, v203 offset:2704
	;; [unrolled: 1-line block ×25, first 2 shown]
	v_cvt_f16_f32_e32 v12, v12
	v_cvt_f16_f32_e32 v11, v11
	s_cselect_b32 s4, -1, 0
	s_waitcnt lgkmcnt(0)
	s_and_b32 s5, s1, s4
	s_barrier
	v_pack_b32_f16 v82, v12, v11
	buffer_gl0_inv
	v_wmma_f32_16x16x16_f16 v[56:63], v[66:73], v[75:82], v[56:63]
	v_wmma_f32_16x16x16_f16 v[48:55], v[83:90], v[75:82], v[48:55]
	;; [unrolled: 1-line block ×7, first 2 shown]
	s_and_saveexec_b32 s4, s5
	s_cbranch_execz .LBB19_80
; %bb.79:                               ;   in Loop: Header=BB19_10 Depth=1
	scratch_load_b32 v0, off, off offset:284 ; 4-byte Folded Reload
	s_waitcnt vmcnt(0)
	v_lshlrev_b32_e32 v0, 2, v0
	global_load_b32 v0, v0, s[64:65]
	s_waitcnt vmcnt(0)
	v_dual_max_f32 v10, v65, v65 :: v_dual_max_f32 v11, v0, v0
	s_delay_alu instid0(VALU_DEP_1) | instskip(NEXT) | instid1(VALU_DEP_1)
	v_max_f32_e32 v10, v10, v11
	v_sub_f32_e32 v0, v0, v10
	s_delay_alu instid0(VALU_DEP_1) | instskip(SKIP_1) | instid1(VALU_DEP_2)
	v_mul_f32_e32 v15, 0x3fb8aa3b, v0
	v_sub_f32_e32 v11, v65, v10
	v_rndne_f32_e32 v66, v15
	s_delay_alu instid0(VALU_DEP_2) | instskip(SKIP_1) | instid1(VALU_DEP_2)
	v_mul_f32_e32 v12, 0x3fb8aa3b, v11
	v_cmp_ngt_f32_e32 vcc_lo, 0xc2ce8ed0, v11
	v_fma_f32 v13, 0x3fb8aa3b, v11, -v12
	v_rndne_f32_e32 v14, v12
	s_delay_alu instid0(VALU_DEP_2) | instskip(SKIP_1) | instid1(VALU_DEP_3)
	v_fmac_f32_e32 v13, 0x32a5705f, v11
	v_fma_f32 v65, 0x3fb8aa3b, v0, -v15
	v_sub_f32_e32 v12, v12, v14
	v_cvt_i32_f32_e32 v14, v14
	s_delay_alu instid0(VALU_DEP_2) | instskip(SKIP_1) | instid1(VALU_DEP_2)
	v_dual_fmac_f32 v65, 0x32a5705f, v0 :: v_dual_add_f32 v12, v12, v13
	v_sub_f32_e32 v13, v15, v66
	v_exp_f32_e32 v12, v12
	s_waitcnt_depctr 0xfff
	v_ldexp_f32 v12, v12, v14
	v_add_f32_e32 v13, v13, v65
	v_cvt_i32_f32_e32 v14, v66
	s_delay_alu instid0(VALU_DEP_3) | instskip(NEXT) | instid1(VALU_DEP_3)
	v_dual_mov_b32 v65, v10 :: v_dual_cndmask_b32 v12, 0, v12
	v_exp_f32_e32 v13, v13
	v_cmp_nlt_f32_e32 vcc_lo, 0x42b17218, v11
	s_delay_alu instid0(VALU_DEP_2) | instskip(SKIP_3) | instid1(VALU_DEP_1)
	v_cndmask_b32_e32 v12, 0x7f800000, v12, vcc_lo
	v_cmp_ngt_f32_e32 vcc_lo, 0xc2ce8ed0, v0
	s_waitcnt_depctr 0xfff
	v_ldexp_f32 v13, v13, v14
	v_cndmask_b32_e32 v13, 0, v13, vcc_lo
	v_cmp_le_f32_e32 vcc_lo, 0xc1a00000, v11
	v_cndmask_b32_e32 v11, 0, v12, vcc_lo
	v_cmp_nlt_f32_e32 vcc_lo, 0x42b17218, v0
	s_delay_alu instid0(VALU_DEP_2) | instskip(SKIP_4) | instid1(VALU_DEP_4)
	v_mul_f32_e32 v56, v56, v11
	v_dual_cndmask_b32 v0, 0x7f800000, v13 :: v_dual_mul_f32 v61, v61, v11
	v_mul_f32_e32 v57, v57, v11
	v_mul_f32_e32 v59, v59, v11
	;; [unrolled: 1-line block ×3, first 2 shown]
	v_fmac_f32_e32 v0, v9, v11
	v_mul_f32_e32 v58, v58, v11
	v_mul_f32_e32 v62, v62, v11
	;; [unrolled: 1-line block ×4, first 2 shown]
	v_mov_b32_e32 v9, v0
	v_mul_f32_e32 v49, v49, v11
	v_mul_f32_e32 v50, v50, v11
	;; [unrolled: 1-line block ×47, first 2 shown]
.LBB19_80:                              ;   in Loop: Header=BB19_10 Depth=1
	s_or_b32 exec_lo, exec_lo, s4
	s_and_saveexec_b32 s4, s3
	s_cbranch_execz .LBB19_82
; %bb.81:                               ;   in Loop: Header=BB19_10 Depth=1
	scratch_load_b32 v0, off, off offset:168 ; 4-byte Folded Reload
	s_waitcnt vmcnt(0)
	v_add_nc_u32_e32 v0, 0, v0
	ds_store_2addr_b32 v0, v65, v9 offset0:56 offset1:57
.LBB19_82:                              ;   in Loop: Header=BB19_10 Depth=1
	s_or_b32 exec_lo, exec_lo, s4
	s_waitcnt lgkmcnt(0)
	s_barrier
	buffer_gl0_inv
	s_and_saveexec_b32 s4, s2
	s_delay_alu instid0(SALU_CYCLE_1)
	s_xor_b32 s4, exec_lo, s4
	s_cbranch_execz .LBB19_84
; %bb.83:                               ;   in Loop: Header=BB19_10 Depth=1
	s_barrier
	buffer_gl0_inv
                                        ; implicit-def: $vgpr64
.LBB19_84:                              ;   in Loop: Header=BB19_10 Depth=1
	s_and_not1_saveexec_b32 s4, s4
	s_cbranch_execz .LBB19_88
; %bb.85:                               ;   in Loop: Header=BB19_10 Depth=1
	scratch_load_b32 v0, off, off offset:168 ; 4-byte Folded Reload
	s_waitcnt vmcnt(0)
	v_add_nc_u32_e32 v0, 0, v0
	ds_load_b64 v[11:12], v0 offset:224
	s_waitcnt lgkmcnt(0)
	s_barrier
	buffer_gl0_inv
	ds_bpermute_b32 v9, v64, v11
	s_waitcnt lgkmcnt(0)
	v_dual_max_f32 v10, v11, v11 :: v_dual_max_f32 v9, v9, v9
	s_delay_alu instid0(VALU_DEP_1) | instskip(NEXT) | instid1(VALU_DEP_1)
	v_max_f32_e32 v9, v10, v9
	v_sub_f32_e32 v10, v11, v9
	s_delay_alu instid0(VALU_DEP_1) | instskip(SKIP_1) | instid1(VALU_DEP_2)
	v_mul_f32_e32 v11, 0x3fb8aa3b, v10
	v_cmp_ngt_f32_e32 vcc_lo, 0xc2ce8ed0, v10
	v_fma_f32 v13, 0x3fb8aa3b, v10, -v11
	v_rndne_f32_e32 v14, v11
	s_delay_alu instid0(VALU_DEP_2) | instskip(NEXT) | instid1(VALU_DEP_2)
	v_fmac_f32_e32 v13, 0x32a5705f, v10
	v_sub_f32_e32 v11, v11, v14
	s_delay_alu instid0(VALU_DEP_1) | instskip(SKIP_1) | instid1(VALU_DEP_2)
	v_add_f32_e32 v11, v11, v13
	v_cvt_i32_f32_e32 v13, v14
	v_exp_f32_e32 v11, v11
	s_waitcnt_depctr 0xfff
	v_ldexp_f32 v11, v11, v13
	s_delay_alu instid0(VALU_DEP_1) | instskip(SKIP_1) | instid1(VALU_DEP_2)
	v_cndmask_b32_e32 v11, 0, v11, vcc_lo
	v_cmp_nlt_f32_e32 vcc_lo, 0x42b17218, v10
	v_cndmask_b32_e32 v10, 0x7f800000, v11, vcc_lo
	s_delay_alu instid0(VALU_DEP_1)
	v_mul_f32_e32 v11, v12, v10
	ds_bpermute_b32 v11, v64, v11
	s_waitcnt lgkmcnt(0)
	v_fmac_f32_e32 v11, v12, v10
	ds_store_b64 v0, v[10:11] offset:224
	s_and_saveexec_b32 s5, s3
	s_cbranch_execz .LBB19_87
; %bb.86:                               ;   in Loop: Header=BB19_10 Depth=1
	v_mov_b32_e32 v10, v11
	scratch_load_b64 v[11:12], off, off offset:604 ; 8-byte Folded Reload
	s_waitcnt vmcnt(0)
	global_store_b64 v[11:12], v[9:10], off
.LBB19_87:                              ;   in Loop: Header=BB19_10 Depth=1
	s_or_b32 exec_lo, exec_lo, s5
.LBB19_88:                              ;   in Loop: Header=BB19_10 Depth=1
	s_delay_alu instid0(SALU_CYCLE_1)
	s_or_b32 exec_lo, exec_lo, s4
	v_cvt_f16_f32_e32 v0, v56
	v_cvt_f16_f32_e32 v9, v57
	v_cvt_f16_f32_e32 v10, v58
	v_cvt_f16_f32_e32 v11, v59
	v_cvt_f16_f32_e32 v12, v60
	v_cvt_f16_f32_e32 v13, v61
	v_cvt_f16_f32_e32 v14, v62
	v_cvt_f16_f32_e32 v15, v63
	ds_store_b16 v224, v0
	ds_store_b16 v224, v9 offset:4
	ds_store_b16 v224, v10 offset:8
	ds_store_b16 v224, v11 offset:12
	ds_store_b16 v224, v12 offset:16
	ds_store_b16 v224, v13 offset:20
	ds_store_b16 v224, v14 offset:24
	ds_store_b16 v224, v15 offset:28
	v_cvt_f16_f32_e32 v0, v48
	v_cvt_f16_f32_e32 v9, v49
	v_cvt_f16_f32_e32 v10, v50
	v_cvt_f16_f32_e32 v11, v51
	v_cvt_f16_f32_e32 v12, v52
	v_cvt_f16_f32_e32 v13, v53
	v_cvt_f16_f32_e32 v14, v54
	v_cvt_f16_f32_e32 v15, v55
	ds_store_b16 v224, v0 offset:32
	ds_store_b16 v224, v9 offset:36
	ds_store_b16 v224, v10 offset:40
	ds_store_b16 v224, v11 offset:44
	ds_store_b16 v224, v12 offset:48
	ds_store_b16 v224, v13 offset:52
	ds_store_b16 v224, v14 offset:56
	ds_store_b16 v224, v15 offset:60
	v_cvt_f16_f32_e32 v0, v40
	v_cvt_f16_f32_e32 v9, v41
	v_cvt_f16_f32_e32 v10, v42
	v_cvt_f16_f32_e32 v11, v43
	v_cvt_f16_f32_e32 v12, v44
	v_cvt_f16_f32_e32 v13, v45
	v_cvt_f16_f32_e32 v14, v46
	v_cvt_f16_f32_e32 v15, v47
	ds_store_b16 v224, v0 offset:64
	;; [unrolled: 16-line block ×6, first 2 shown]
	ds_store_b16 v224, v1 offset:196
	ds_store_b16 v224, v2 offset:200
	;; [unrolled: 1-line block ×7, first 2 shown]
	s_waitcnt lgkmcnt(0)
	s_waitcnt_vscnt null, 0x0
	s_barrier
	buffer_gl0_inv
	s_and_saveexec_b32 s6, s1
	s_cbranch_execz .LBB19_220
; %bb.89:                               ;   in Loop: Header=BB19_10 Depth=1
	s_clause 0x1
	scratch_load_b32 v0, off, off offset:344
	scratch_load_b64 v[2:3], off, off offset:312
	s_waitcnt vmcnt(1)
	v_add_nc_u32_e32 v1, s103, v0
	s_waitcnt vmcnt(0)
	v_or_b32_e32 v0, s86, v2
	v_mov_b32_e32 v2, 0x47
	s_delay_alu instid0(VALU_DEP_3) | instskip(NEXT) | instid1(VALU_DEP_3)
	v_cmp_gt_i32_e64 s4, s8, v1
	v_cmp_gt_i32_e32 vcc_lo, s33, v0
	s_delay_alu instid0(VALU_DEP_2) | instskip(NEXT) | instid1(SALU_CYCLE_1)
	s_and_b32 s4, s4, vcc_lo
	s_and_saveexec_b32 s5, s4
	s_cbranch_execz .LBB19_91
; %bb.90:                               ;   in Loop: Header=BB19_10 Depth=1
	s_clause 0x1
	scratch_load_b32 v0, off, off offset:432
	scratch_load_b32 v2, off, off offset:436
	s_waitcnt vmcnt(1)
	v_add_nc_u32_e32 v0, 0, v0
	s_delay_alu instid0(VALU_DEP_1)
	v_add_nc_u32_e32 v0, 0xe0, v0
	s_waitcnt vmcnt(0)
	ds_load_2addr_stride64_b32 v[2:3], v2 offset1:15
	ds_load_2addr_stride64_b32 v[4:5], v0 offset1:15
	scratch_load_b64 v[8:9], off, off offset:312 ; 8-byte Folded Reload
	s_waitcnt vmcnt(0)
	v_mad_u64_u32 v[6:7], null, v1, s9, v[8:9]
	scratch_load_b64 v[7:8], off, off offset:320 ; 8-byte Folded Reload
	s_waitcnt vmcnt(0)
	v_mad_u64_u32 v[0:1], null, v6, 56, v[7:8]
	s_waitcnt lgkmcnt(0)
	v_fma_mix_f32 v6, v4, v2, 0 op_sel_hi:[0,1,0]
	v_fma_mix_f32 v2, v4, v2, 0 op_sel:[0,1,0] op_sel_hi:[0,1,0]
	s_delay_alu instid0(VALU_DEP_2) | instskip(NEXT) | instid1(VALU_DEP_4)
	v_fma_mix_f32 v4, v5, v3, v6 op_sel_hi:[0,1,0]
	v_ashrrev_i32_e32 v1, 31, v0
	s_delay_alu instid0(VALU_DEP_3) | instskip(SKIP_1) | instid1(VALU_DEP_3)
	v_fma_mix_f32 v5, v5, v3, v2 op_sel:[0,1,0] op_sel_hi:[0,1,0]
	v_mov_b32_e32 v2, 0
	v_lshlrev_b64 v[0:1], 3, v[0:1]
	s_delay_alu instid0(VALU_DEP_1) | instskip(NEXT) | instid1(VALU_DEP_1)
	v_add_co_u32 v0, s4, s41, v0
	v_add_co_ci_u32_e64 v1, s4, s59, v1, s4
	global_store_b64 v[0:1], v[4:5], off
.LBB19_91:                              ;   in Loop: Header=BB19_10 Depth=1
	s_or_b32 exec_lo, exec_lo, s5
	s_mov_b32 s5, -1
	s_mov_b32 s7, exec_lo
	v_cmpx_gt_i32_e32 0x47, v2
; %bb.92:                               ;   in Loop: Header=BB19_10 Depth=1
	v_cmp_eq_u32_e64 s4, 0, v2
	s_delay_alu instid0(VALU_DEP_1)
	s_or_not1_b32 s5, s4, exec_lo
; %bb.93:                               ;   in Loop: Header=BB19_10 Depth=1
	s_or_b32 exec_lo, exec_lo, s7
	s_and_saveexec_b32 s7, s5
	s_cbranch_execz .LBB19_166
; %bb.94:                               ;   in Loop: Header=BB19_10 Depth=1
	s_clause 0x1
	scratch_load_b32 v0, off, off offset:456
	scratch_load_b64 v[2:3], off, off offset:408
	s_waitcnt vmcnt(1)
	v_add_nc_u32_e32 v1, s103, v0
	s_waitcnt vmcnt(0)
	v_or_b32_e32 v0, s86, v2
	v_mov_b32_e32 v2, 0x47
	s_delay_alu instid0(VALU_DEP_3) | instskip(NEXT) | instid1(VALU_DEP_3)
	v_cmp_gt_i32_e64 s4, s8, v1
	v_cmp_gt_i32_e64 s5, s33, v0
	s_delay_alu instid0(VALU_DEP_1) | instskip(NEXT) | instid1(SALU_CYCLE_1)
	s_and_b32 s4, s4, s5
	s_and_saveexec_b32 s5, s4
	s_cbranch_execz .LBB19_96
; %bb.95:                               ;   in Loop: Header=BB19_10 Depth=1
	s_clause 0x1
	scratch_load_b32 v0, off, off offset:612
	scratch_load_b32 v2, off, off offset:616
	s_waitcnt vmcnt(1)
	v_add_nc_u32_e32 v0, 0, v0
	s_delay_alu instid0(VALU_DEP_1)
	v_add_nc_u32_e32 v0, 0xe0, v0
	s_waitcnt vmcnt(0)
	ds_load_2addr_stride64_b32 v[2:3], v2 offset1:15
	ds_load_2addr_stride64_b32 v[4:5], v0 offset1:15
	scratch_load_b64 v[8:9], off, off offset:408 ; 8-byte Folded Reload
	s_waitcnt vmcnt(0)
	v_mad_u64_u32 v[6:7], null, v1, s9, v[8:9]
	scratch_load_b64 v[7:8], off, off offset:320 ; 8-byte Folded Reload
	s_waitcnt vmcnt(0)
	v_mad_u64_u32 v[0:1], null, v6, 56, v[7:8]
	s_waitcnt lgkmcnt(0)
	v_fma_mix_f32 v6, v4, v2, 0 op_sel_hi:[0,1,0]
	v_fma_mix_f32 v2, v4, v2, 0 op_sel:[0,1,0] op_sel_hi:[0,1,0]
	s_delay_alu instid0(VALU_DEP_2) | instskip(NEXT) | instid1(VALU_DEP_4)
	v_fma_mix_f32 v4, v5, v3, v6 op_sel_hi:[0,1,0]
	v_ashrrev_i32_e32 v1, 31, v0
	s_delay_alu instid0(VALU_DEP_3) | instskip(SKIP_1) | instid1(VALU_DEP_3)
	v_fma_mix_f32 v5, v5, v3, v2 op_sel:[0,1,0] op_sel_hi:[0,1,0]
	v_mov_b32_e32 v2, 0
	v_lshlrev_b64 v[0:1], 3, v[0:1]
	s_delay_alu instid0(VALU_DEP_1) | instskip(NEXT) | instid1(VALU_DEP_1)
	v_add_co_u32 v0, s4, s41, v0
	v_add_co_ci_u32_e64 v1, s4, s59, v1, s4
	global_store_b64 v[0:1], v[4:5], off
.LBB19_96:                              ;   in Loop: Header=BB19_10 Depth=1
	s_or_b32 exec_lo, exec_lo, s5
	s_mov_b32 s5, -1
	s_mov_b32 s66, exec_lo
	v_cmpx_gt_i32_e32 0x47, v2
; %bb.97:                               ;   in Loop: Header=BB19_10 Depth=1
	v_cmp_eq_u32_e64 s4, 0, v2
	s_delay_alu instid0(VALU_DEP_1)
	s_or_not1_b32 s5, s4, exec_lo
; %bb.98:                               ;   in Loop: Header=BB19_10 Depth=1
	s_or_b32 exec_lo, exec_lo, s66
	s_delay_alu instid0(SALU_CYCLE_1)
	s_and_b32 exec_lo, exec_lo, s5
	s_cbranch_execz .LBB19_166
; %bb.99:                               ;   in Loop: Header=BB19_10 Depth=1
	s_clause 0x1
	scratch_load_b32 v0, off, off offset:640
	scratch_load_b64 v[2:3], off, off offset:588
	s_waitcnt vmcnt(1)
	v_add_nc_u32_e32 v1, s103, v0
	s_waitcnt vmcnt(0)
	v_or_b32_e32 v0, s86, v2
	v_mov_b32_e32 v2, 0x47
	s_delay_alu instid0(VALU_DEP_3) | instskip(NEXT) | instid1(VALU_DEP_3)
	v_cmp_gt_i32_e64 s4, s8, v1
	v_cmp_gt_i32_e64 s5, s33, v0
	s_delay_alu instid0(VALU_DEP_1) | instskip(NEXT) | instid1(SALU_CYCLE_1)
	s_and_b32 s4, s4, s5
	s_and_saveexec_b32 s5, s4
	s_cbranch_execz .LBB19_101
; %bb.100:                              ;   in Loop: Header=BB19_10 Depth=1
	s_clause 0x1
	scratch_load_b32 v0, off, off offset:672
	scratch_load_b32 v2, off, off offset:676
	s_waitcnt vmcnt(1)
	v_add_nc_u32_e32 v0, 0, v0
	s_delay_alu instid0(VALU_DEP_1)
	v_add_nc_u32_e32 v0, 0xe0, v0
	s_waitcnt vmcnt(0)
	ds_load_2addr_stride64_b32 v[2:3], v2 offset1:15
	ds_load_2addr_stride64_b32 v[4:5], v0 offset1:15
	scratch_load_b64 v[8:9], off, off offset:588 ; 8-byte Folded Reload
	s_waitcnt vmcnt(0)
	v_mad_u64_u32 v[6:7], null, v1, s9, v[8:9]
	scratch_load_b64 v[7:8], off, off offset:320 ; 8-byte Folded Reload
	s_waitcnt vmcnt(0)
	v_mad_u64_u32 v[0:1], null, v6, 56, v[7:8]
	s_waitcnt lgkmcnt(0)
	v_fma_mix_f32 v6, v4, v2, 0 op_sel_hi:[0,1,0]
	v_fma_mix_f32 v2, v4, v2, 0 op_sel:[0,1,0] op_sel_hi:[0,1,0]
	s_delay_alu instid0(VALU_DEP_2) | instskip(NEXT) | instid1(VALU_DEP_4)
	v_fma_mix_f32 v4, v5, v3, v6 op_sel_hi:[0,1,0]
	v_ashrrev_i32_e32 v1, 31, v0
	s_delay_alu instid0(VALU_DEP_3) | instskip(SKIP_1) | instid1(VALU_DEP_3)
	v_fma_mix_f32 v5, v5, v3, v2 op_sel:[0,1,0] op_sel_hi:[0,1,0]
	v_mov_b32_e32 v2, 0
	v_lshlrev_b64 v[0:1], 3, v[0:1]
	s_delay_alu instid0(VALU_DEP_1) | instskip(NEXT) | instid1(VALU_DEP_1)
	v_add_co_u32 v0, s4, s41, v0
	v_add_co_ci_u32_e64 v1, s4, s59, v1, s4
	global_store_b64 v[0:1], v[4:5], off
.LBB19_101:                             ;   in Loop: Header=BB19_10 Depth=1
	s_or_b32 exec_lo, exec_lo, s5
	s_mov_b32 s5, -1
	s_mov_b32 s66, exec_lo
	v_cmpx_gt_i32_e32 0x47, v2
; %bb.102:                              ;   in Loop: Header=BB19_10 Depth=1
	v_cmp_eq_u32_e64 s4, 0, v2
	s_delay_alu instid0(VALU_DEP_1)
	s_or_not1_b32 s5, s4, exec_lo
; %bb.103:                              ;   in Loop: Header=BB19_10 Depth=1
	s_or_b32 exec_lo, exec_lo, s66
	s_delay_alu instid0(SALU_CYCLE_1)
	s_and_b32 exec_lo, exec_lo, s5
	s_cbranch_execz .LBB19_166
; %bb.104:                              ;   in Loop: Header=BB19_10 Depth=1
	s_clause 0x1
	scratch_load_b32 v0, off, off offset:696
	scratch_load_b64 v[2:3], off, off offset:648
	s_waitcnt vmcnt(1)
	v_add_nc_u32_e32 v1, s103, v0
	s_waitcnt vmcnt(0)
	v_or_b32_e32 v0, s86, v2
	v_mov_b32_e32 v2, 0x47
	s_delay_alu instid0(VALU_DEP_3) | instskip(NEXT) | instid1(VALU_DEP_3)
	v_cmp_gt_i32_e64 s4, s8, v1
	v_cmp_gt_i32_e64 s5, s33, v0
	s_delay_alu instid0(VALU_DEP_1) | instskip(NEXT) | instid1(SALU_CYCLE_1)
	s_and_b32 s4, s4, s5
	s_and_saveexec_b32 s5, s4
	s_cbranch_execz .LBB19_106
; %bb.105:                              ;   in Loop: Header=BB19_10 Depth=1
	s_clause 0x1
	scratch_load_b32 v0, off, off offset:724
	scratch_load_b32 v2, off, off offset:728
	s_waitcnt vmcnt(1)
	v_add_nc_u32_e32 v0, 0, v0
	s_delay_alu instid0(VALU_DEP_1)
	v_add_nc_u32_e32 v0, 0xe0, v0
	s_waitcnt vmcnt(0)
	ds_load_2addr_stride64_b32 v[2:3], v2 offset1:15
	ds_load_2addr_stride64_b32 v[4:5], v0 offset1:15
	scratch_load_b64 v[8:9], off, off offset:648 ; 8-byte Folded Reload
	s_waitcnt vmcnt(0)
	v_mad_u64_u32 v[6:7], null, v1, s9, v[8:9]
	scratch_load_b64 v[7:8], off, off offset:320 ; 8-byte Folded Reload
	s_waitcnt vmcnt(0)
	v_mad_u64_u32 v[0:1], null, v6, 56, v[7:8]
	s_waitcnt lgkmcnt(0)
	v_fma_mix_f32 v6, v4, v2, 0 op_sel_hi:[0,1,0]
	v_fma_mix_f32 v2, v4, v2, 0 op_sel:[0,1,0] op_sel_hi:[0,1,0]
	s_delay_alu instid0(VALU_DEP_2) | instskip(NEXT) | instid1(VALU_DEP_4)
	v_fma_mix_f32 v4, v5, v3, v6 op_sel_hi:[0,1,0]
	v_ashrrev_i32_e32 v1, 31, v0
	s_delay_alu instid0(VALU_DEP_3) | instskip(SKIP_1) | instid1(VALU_DEP_3)
	v_fma_mix_f32 v5, v5, v3, v2 op_sel:[0,1,0] op_sel_hi:[0,1,0]
	v_mov_b32_e32 v2, 0
	v_lshlrev_b64 v[0:1], 3, v[0:1]
	s_delay_alu instid0(VALU_DEP_1) | instskip(NEXT) | instid1(VALU_DEP_1)
	v_add_co_u32 v0, s4, s41, v0
	v_add_co_ci_u32_e64 v1, s4, s59, v1, s4
	global_store_b64 v[0:1], v[4:5], off
.LBB19_106:                             ;   in Loop: Header=BB19_10 Depth=1
	s_or_b32 exec_lo, exec_lo, s5
	s_mov_b32 s5, -1
	s_mov_b32 s66, exec_lo
	v_cmpx_gt_i32_e32 0x47, v2
; %bb.107:                              ;   in Loop: Header=BB19_10 Depth=1
	v_cmp_eq_u32_e64 s4, 0, v2
	s_delay_alu instid0(VALU_DEP_1)
	s_or_not1_b32 s5, s4, exec_lo
; %bb.108:                              ;   in Loop: Header=BB19_10 Depth=1
	s_or_b32 exec_lo, exec_lo, s66
	s_delay_alu instid0(SALU_CYCLE_1)
	s_and_b32 exec_lo, exec_lo, s5
	s_cbranch_execz .LBB19_166
; %bb.109:                              ;   in Loop: Header=BB19_10 Depth=1
	;; [unrolled: 61-line block ×6, first 2 shown]
	scratch_load_b32 v0, off, off offset:920 ; 4-byte Folded Reload
	s_waitcnt vmcnt(0)
	v_dual_mov_b32 v1, 0x47 :: v_dual_add_nc_u32 v2, s103, v0
	s_delay_alu instid0(VALU_DEP_1) | instskip(NEXT) | instid1(VALU_DEP_1)
	v_cmp_gt_i32_e64 s4, s8, v2
	s_and_b32 s5, s4, vcc_lo
	s_delay_alu instid0(SALU_CYCLE_1)
	s_and_saveexec_b32 s4, s5
	s_cbranch_execz .LBB19_131
; %bb.130:                              ;   in Loop: Header=BB19_10 Depth=1
	scratch_load_b32 v0, off, off offset:940 ; 4-byte Folded Reload
	s_waitcnt vmcnt(0)
	v_add_nc_u32_e32 v0, 0, v0
	s_delay_alu instid0(VALU_DEP_1)
	v_add_nc_u32_e32 v3, 0xe0, v0
	scratch_load_b32 v0, off, off offset:944 ; 4-byte Folded Reload
	s_waitcnt vmcnt(0)
	ds_load_2addr_stride64_b32 v[0:1], v0 offset1:15
	ds_load_2addr_stride64_b32 v[3:4], v3 offset1:15
	scratch_load_b64 v[7:8], off, off offset:312 ; 8-byte Folded Reload
	s_waitcnt vmcnt(0)
	v_mad_u64_u32 v[5:6], null, v2, s9, v[7:8]
	scratch_load_b64 v[8:9], off, off offset:320 ; 8-byte Folded Reload
	s_waitcnt vmcnt(0)
	v_mad_u64_u32 v[6:7], null, v5, 56, v[8:9]
	s_waitcnt lgkmcnt(0)
	v_fma_mix_f32 v5, v3, v0, 0 op_sel_hi:[0,1,0]
	v_fma_mix_f32 v0, v3, v0, 0 op_sel:[0,1,0] op_sel_hi:[0,1,0]
	s_delay_alu instid0(VALU_DEP_2) | instskip(NEXT) | instid1(VALU_DEP_4)
	v_fma_mix_f32 v5, v4, v1, v5 op_sel_hi:[0,1,0]
	v_ashrrev_i32_e32 v7, 31, v6
	s_delay_alu instid0(VALU_DEP_1) | instskip(NEXT) | instid1(VALU_DEP_4)
	v_lshlrev_b64 v[2:3], 3, v[6:7]
	v_fma_mix_f32 v6, v4, v1, v0 op_sel:[0,1,0] op_sel_hi:[0,1,0]
	v_mov_b32_e32 v1, 0
	s_delay_alu instid0(VALU_DEP_3) | instskip(NEXT) | instid1(VALU_DEP_4)
	v_add_co_u32 v2, vcc_lo, s41, v2
	v_add_co_ci_u32_e32 v3, vcc_lo, s59, v3, vcc_lo
	global_store_b64 v[2:3], v[5:6], off
.LBB19_131:                             ;   in Loop: Header=BB19_10 Depth=1
	s_or_b32 exec_lo, exec_lo, s4
	s_mov_b32 s4, -1
	s_mov_b32 s5, exec_lo
	v_cmpx_gt_i32_e32 0x47, v1
; %bb.132:                              ;   in Loop: Header=BB19_10 Depth=1
	v_cmp_eq_u32_e32 vcc_lo, 0, v1
	s_or_not1_b32 s4, vcc_lo, exec_lo
; %bb.133:                              ;   in Loop: Header=BB19_10 Depth=1
	s_or_b32 exec_lo, exec_lo, s5
	s_delay_alu instid0(SALU_CYCLE_1)
	s_and_b32 exec_lo, exec_lo, s4
	s_cbranch_execz .LBB19_166
; %bb.134:                              ;   in Loop: Header=BB19_10 Depth=1
	s_clause 0x1
	scratch_load_b32 v0, off, off offset:948
	scratch_load_b64 v[2:3], off, off offset:932
	s_waitcnt vmcnt(1)
	v_add_nc_u32_e32 v1, s103, v0
	s_waitcnt vmcnt(0)
	v_or_b32_e32 v0, s86, v2
	v_mov_b32_e32 v2, 0x47
	s_delay_alu instid0(VALU_DEP_3) | instskip(NEXT) | instid1(VALU_DEP_3)
	v_cmp_gt_i32_e32 vcc_lo, s8, v1
	v_cmp_gt_i32_e64 s4, s33, v0
	s_delay_alu instid0(VALU_DEP_1) | instskip(NEXT) | instid1(SALU_CYCLE_1)
	s_and_b32 s5, vcc_lo, s4
	s_and_saveexec_b32 s4, s5
	s_cbranch_execz .LBB19_136
; %bb.135:                              ;   in Loop: Header=BB19_10 Depth=1
	s_clause 0x1
	scratch_load_b32 v0, off, off offset:960
	scratch_load_b32 v2, off, off offset:964
	s_waitcnt vmcnt(1)
	v_add_nc_u32_e32 v0, 0, v0
	s_delay_alu instid0(VALU_DEP_1)
	v_add_nc_u32_e32 v0, 0xe0, v0
	s_waitcnt vmcnt(0)
	ds_load_2addr_stride64_b32 v[2:3], v2 offset1:15
	ds_load_2addr_stride64_b32 v[4:5], v0 offset1:15
	scratch_load_b64 v[8:9], off, off offset:932 ; 8-byte Folded Reload
	s_waitcnt vmcnt(0)
	v_mad_u64_u32 v[6:7], null, v1, s9, v[8:9]
	scratch_load_b64 v[7:8], off, off offset:320 ; 8-byte Folded Reload
	s_waitcnt vmcnt(0)
	v_mad_u64_u32 v[0:1], null, v6, 56, v[7:8]
	s_waitcnt lgkmcnt(0)
	v_fma_mix_f32 v6, v4, v2, 0 op_sel_hi:[0,1,0]
	v_fma_mix_f32 v2, v4, v2, 0 op_sel:[0,1,0] op_sel_hi:[0,1,0]
	s_delay_alu instid0(VALU_DEP_2) | instskip(NEXT) | instid1(VALU_DEP_4)
	v_fma_mix_f32 v4, v5, v3, v6 op_sel_hi:[0,1,0]
	v_ashrrev_i32_e32 v1, 31, v0
	s_delay_alu instid0(VALU_DEP_3) | instskip(SKIP_1) | instid1(VALU_DEP_3)
	v_fma_mix_f32 v5, v5, v3, v2 op_sel:[0,1,0] op_sel_hi:[0,1,0]
	v_mov_b32_e32 v2, 0
	v_lshlrev_b64 v[0:1], 3, v[0:1]
	s_delay_alu instid0(VALU_DEP_1) | instskip(NEXT) | instid1(VALU_DEP_2)
	v_add_co_u32 v0, vcc_lo, s41, v0
	v_add_co_ci_u32_e32 v1, vcc_lo, s59, v1, vcc_lo
	global_store_b64 v[0:1], v[4:5], off
.LBB19_136:                             ;   in Loop: Header=BB19_10 Depth=1
	s_or_b32 exec_lo, exec_lo, s4
	s_mov_b32 s4, -1
	s_mov_b32 s5, exec_lo
	v_cmpx_gt_i32_e32 0x47, v2
; %bb.137:                              ;   in Loop: Header=BB19_10 Depth=1
	v_cmp_eq_u32_e32 vcc_lo, 0, v2
	s_or_not1_b32 s4, vcc_lo, exec_lo
; %bb.138:                              ;   in Loop: Header=BB19_10 Depth=1
	s_or_b32 exec_lo, exec_lo, s5
	s_delay_alu instid0(SALU_CYCLE_1)
	s_and_b32 exec_lo, exec_lo, s4
	s_cbranch_execz .LBB19_166
; %bb.139:                              ;   in Loop: Header=BB19_10 Depth=1
	s_clause 0x1
	scratch_load_b32 v0, off, off offset:968
	scratch_load_b64 v[2:3], off, off offset:952
	s_waitcnt vmcnt(1)
	v_add_nc_u32_e32 v1, s103, v0
	s_waitcnt vmcnt(0)
	v_or_b32_e32 v0, s86, v2
	v_mov_b32_e32 v2, 0x47
	s_delay_alu instid0(VALU_DEP_3) | instskip(NEXT) | instid1(VALU_DEP_3)
	v_cmp_gt_i32_e32 vcc_lo, s8, v1
	v_cmp_gt_i32_e64 s4, s33, v0
	s_delay_alu instid0(VALU_DEP_1) | instskip(NEXT) | instid1(SALU_CYCLE_1)
	s_and_b32 s5, vcc_lo, s4
	s_and_saveexec_b32 s4, s5
	s_cbranch_execz .LBB19_141
; %bb.140:                              ;   in Loop: Header=BB19_10 Depth=1
	s_clause 0x1
	scratch_load_b32 v0, off, off offset:980
	scratch_load_b32 v2, off, off offset:984
	s_waitcnt vmcnt(1)
	v_add_nc_u32_e32 v0, 0, v0
	s_delay_alu instid0(VALU_DEP_1)
	v_add_nc_u32_e32 v0, 0xe0, v0
	s_waitcnt vmcnt(0)
	ds_load_2addr_stride64_b32 v[2:3], v2 offset1:15
	ds_load_2addr_stride64_b32 v[4:5], v0 offset1:15
	scratch_load_b64 v[8:9], off, off offset:952 ; 8-byte Folded Reload
	s_waitcnt vmcnt(0)
	v_mad_u64_u32 v[6:7], null, v1, s9, v[8:9]
	scratch_load_b64 v[7:8], off, off offset:320 ; 8-byte Folded Reload
	s_waitcnt vmcnt(0)
	v_mad_u64_u32 v[0:1], null, v6, 56, v[7:8]
	s_waitcnt lgkmcnt(0)
	v_fma_mix_f32 v6, v4, v2, 0 op_sel_hi:[0,1,0]
	v_fma_mix_f32 v2, v4, v2, 0 op_sel:[0,1,0] op_sel_hi:[0,1,0]
	s_delay_alu instid0(VALU_DEP_2) | instskip(NEXT) | instid1(VALU_DEP_4)
	v_fma_mix_f32 v4, v5, v3, v6 op_sel_hi:[0,1,0]
	v_ashrrev_i32_e32 v1, 31, v0
	s_delay_alu instid0(VALU_DEP_3) | instskip(SKIP_1) | instid1(VALU_DEP_3)
	v_fma_mix_f32 v5, v5, v3, v2 op_sel:[0,1,0] op_sel_hi:[0,1,0]
	v_mov_b32_e32 v2, 0
	v_lshlrev_b64 v[0:1], 3, v[0:1]
	s_delay_alu instid0(VALU_DEP_1) | instskip(NEXT) | instid1(VALU_DEP_2)
	v_add_co_u32 v0, vcc_lo, s41, v0
	v_add_co_ci_u32_e32 v1, vcc_lo, s59, v1, vcc_lo
	global_store_b64 v[0:1], v[4:5], off
.LBB19_141:                             ;   in Loop: Header=BB19_10 Depth=1
	s_or_b32 exec_lo, exec_lo, s4
	s_mov_b32 s4, -1
	s_mov_b32 s5, exec_lo
	v_cmpx_gt_i32_e32 0x47, v2
; %bb.142:                              ;   in Loop: Header=BB19_10 Depth=1
	v_cmp_eq_u32_e32 vcc_lo, 0, v2
	s_or_not1_b32 s4, vcc_lo, exec_lo
; %bb.143:                              ;   in Loop: Header=BB19_10 Depth=1
	s_or_b32 exec_lo, exec_lo, s5
	s_delay_alu instid0(SALU_CYCLE_1)
	s_and_b32 exec_lo, exec_lo, s4
	s_cbranch_execz .LBB19_166
; %bb.144:                              ;   in Loop: Header=BB19_10 Depth=1
	s_clause 0x1
	scratch_load_b32 v0, off, off offset:988
	scratch_load_b64 v[2:3], off, off offset:972
	s_waitcnt vmcnt(1)
	v_add_nc_u32_e32 v1, s103, v0
	s_waitcnt vmcnt(0)
	v_or_b32_e32 v0, s86, v2
	v_mov_b32_e32 v2, 0x47
	s_delay_alu instid0(VALU_DEP_3) | instskip(NEXT) | instid1(VALU_DEP_3)
	v_cmp_gt_i32_e32 vcc_lo, s8, v1
	v_cmp_gt_i32_e64 s4, s33, v0
	s_delay_alu instid0(VALU_DEP_1) | instskip(NEXT) | instid1(SALU_CYCLE_1)
	s_and_b32 s5, vcc_lo, s4
	s_and_saveexec_b32 s4, s5
	s_cbranch_execz .LBB19_146
; %bb.145:                              ;   in Loop: Header=BB19_10 Depth=1
	s_clause 0x1
	scratch_load_b32 v0, off, off offset:1000
	scratch_load_b32 v2, off, off offset:1004
	s_waitcnt vmcnt(1)
	v_add_nc_u32_e32 v0, 0, v0
	s_delay_alu instid0(VALU_DEP_1)
	v_add_nc_u32_e32 v0, 0xe0, v0
	s_waitcnt vmcnt(0)
	ds_load_2addr_stride64_b32 v[2:3], v2 offset1:15
	ds_load_2addr_stride64_b32 v[4:5], v0 offset1:15
	scratch_load_b64 v[8:9], off, off offset:972 ; 8-byte Folded Reload
	s_waitcnt vmcnt(0)
	v_mad_u64_u32 v[6:7], null, v1, s9, v[8:9]
	scratch_load_b64 v[7:8], off, off offset:320 ; 8-byte Folded Reload
	s_waitcnt vmcnt(0)
	v_mad_u64_u32 v[0:1], null, v6, 56, v[7:8]
	s_waitcnt lgkmcnt(0)
	v_fma_mix_f32 v6, v4, v2, 0 op_sel_hi:[0,1,0]
	v_fma_mix_f32 v2, v4, v2, 0 op_sel:[0,1,0] op_sel_hi:[0,1,0]
	s_delay_alu instid0(VALU_DEP_2) | instskip(NEXT) | instid1(VALU_DEP_4)
	v_fma_mix_f32 v4, v5, v3, v6 op_sel_hi:[0,1,0]
	v_ashrrev_i32_e32 v1, 31, v0
	s_delay_alu instid0(VALU_DEP_3) | instskip(SKIP_1) | instid1(VALU_DEP_3)
	v_fma_mix_f32 v5, v5, v3, v2 op_sel:[0,1,0] op_sel_hi:[0,1,0]
	v_mov_b32_e32 v2, 0
	v_lshlrev_b64 v[0:1], 3, v[0:1]
	s_delay_alu instid0(VALU_DEP_1) | instskip(NEXT) | instid1(VALU_DEP_2)
	v_add_co_u32 v0, vcc_lo, s41, v0
	v_add_co_ci_u32_e32 v1, vcc_lo, s59, v1, vcc_lo
	global_store_b64 v[0:1], v[4:5], off
.LBB19_146:                             ;   in Loop: Header=BB19_10 Depth=1
	s_or_b32 exec_lo, exec_lo, s4
	s_mov_b32 s4, -1
	s_mov_b32 s5, exec_lo
	v_cmpx_gt_i32_e32 0x47, v2
; %bb.147:                              ;   in Loop: Header=BB19_10 Depth=1
	v_cmp_eq_u32_e32 vcc_lo, 0, v2
	s_or_not1_b32 s4, vcc_lo, exec_lo
; %bb.148:                              ;   in Loop: Header=BB19_10 Depth=1
	s_or_b32 exec_lo, exec_lo, s5
	s_delay_alu instid0(SALU_CYCLE_1)
	s_and_b32 exec_lo, exec_lo, s4
	s_cbranch_execz .LBB19_166
; %bb.149:                              ;   in Loop: Header=BB19_10 Depth=1
	s_clause 0x1
	scratch_load_b32 v0, off, off offset:1008
	scratch_load_b64 v[2:3], off, off offset:992
	s_waitcnt vmcnt(1)
	v_add_nc_u32_e32 v1, s103, v0
	s_waitcnt vmcnt(0)
	v_or_b32_e32 v0, s86, v2
	v_mov_b32_e32 v2, 0x47
	s_delay_alu instid0(VALU_DEP_3) | instskip(NEXT) | instid1(VALU_DEP_3)
	v_cmp_gt_i32_e32 vcc_lo, s8, v1
	v_cmp_gt_i32_e64 s4, s33, v0
	s_delay_alu instid0(VALU_DEP_1) | instskip(NEXT) | instid1(SALU_CYCLE_1)
	s_and_b32 s5, vcc_lo, s4
	s_and_saveexec_b32 s4, s5
	s_cbranch_execz .LBB19_151
; %bb.150:                              ;   in Loop: Header=BB19_10 Depth=1
	s_clause 0x1
	scratch_load_b32 v0, off, off offset:1020
	scratch_load_b32 v2, off, off offset:1024
	s_waitcnt vmcnt(1)
	v_add_nc_u32_e32 v0, 0, v0
	s_delay_alu instid0(VALU_DEP_1)
	v_add_nc_u32_e32 v0, 0xe0, v0
	s_waitcnt vmcnt(0)
	ds_load_2addr_stride64_b32 v[2:3], v2 offset1:15
	ds_load_2addr_stride64_b32 v[4:5], v0 offset1:15
	scratch_load_b64 v[8:9], off, off offset:992 ; 8-byte Folded Reload
	s_waitcnt vmcnt(0)
	v_mad_u64_u32 v[6:7], null, v1, s9, v[8:9]
	scratch_load_b64 v[7:8], off, off offset:320 ; 8-byte Folded Reload
	s_waitcnt vmcnt(0)
	v_mad_u64_u32 v[0:1], null, v6, 56, v[7:8]
	s_waitcnt lgkmcnt(0)
	v_fma_mix_f32 v6, v4, v2, 0 op_sel_hi:[0,1,0]
	v_fma_mix_f32 v2, v4, v2, 0 op_sel:[0,1,0] op_sel_hi:[0,1,0]
	s_delay_alu instid0(VALU_DEP_2) | instskip(NEXT) | instid1(VALU_DEP_4)
	v_fma_mix_f32 v4, v5, v3, v6 op_sel_hi:[0,1,0]
	v_ashrrev_i32_e32 v1, 31, v0
	s_delay_alu instid0(VALU_DEP_3) | instskip(SKIP_1) | instid1(VALU_DEP_3)
	v_fma_mix_f32 v5, v5, v3, v2 op_sel:[0,1,0] op_sel_hi:[0,1,0]
	v_mov_b32_e32 v2, 0
	v_lshlrev_b64 v[0:1], 3, v[0:1]
	s_delay_alu instid0(VALU_DEP_1) | instskip(NEXT) | instid1(VALU_DEP_2)
	v_add_co_u32 v0, vcc_lo, s41, v0
	v_add_co_ci_u32_e32 v1, vcc_lo, s59, v1, vcc_lo
	global_store_b64 v[0:1], v[4:5], off
.LBB19_151:                             ;   in Loop: Header=BB19_10 Depth=1
	s_or_b32 exec_lo, exec_lo, s4
	s_mov_b32 s4, -1
	s_mov_b32 s5, exec_lo
	v_cmpx_gt_i32_e32 0x47, v2
; %bb.152:                              ;   in Loop: Header=BB19_10 Depth=1
	v_cmp_eq_u32_e32 vcc_lo, 0, v2
	s_or_not1_b32 s4, vcc_lo, exec_lo
; %bb.153:                              ;   in Loop: Header=BB19_10 Depth=1
	s_or_b32 exec_lo, exec_lo, s5
	s_delay_alu instid0(SALU_CYCLE_1)
	s_and_b32 exec_lo, exec_lo, s4
	s_cbranch_execz .LBB19_166
; %bb.154:                              ;   in Loop: Header=BB19_10 Depth=1
	s_clause 0x1
	scratch_load_b32 v0, off, off offset:1028
	scratch_load_b64 v[2:3], off, off offset:1012
	s_waitcnt vmcnt(1)
	v_add_nc_u32_e32 v1, s103, v0
	s_waitcnt vmcnt(0)
	v_or_b32_e32 v0, s86, v2
	v_mov_b32_e32 v2, 0x47
	s_delay_alu instid0(VALU_DEP_3) | instskip(NEXT) | instid1(VALU_DEP_3)
	v_cmp_gt_i32_e32 vcc_lo, s8, v1
	v_cmp_gt_i32_e64 s4, s33, v0
	s_delay_alu instid0(VALU_DEP_1) | instskip(NEXT) | instid1(SALU_CYCLE_1)
	s_and_b32 s5, vcc_lo, s4
	s_and_saveexec_b32 s4, s5
	s_cbranch_execz .LBB19_156
; %bb.155:                              ;   in Loop: Header=BB19_10 Depth=1
	s_clause 0x1
	scratch_load_b32 v0, off, off offset:1040
	scratch_load_b32 v2, off, off offset:1044
	s_waitcnt vmcnt(1)
	v_add_nc_u32_e32 v0, 0, v0
	s_delay_alu instid0(VALU_DEP_1)
	v_add_nc_u32_e32 v0, 0xe0, v0
	s_waitcnt vmcnt(0)
	ds_load_2addr_stride64_b32 v[2:3], v2 offset1:15
	ds_load_2addr_stride64_b32 v[4:5], v0 offset1:15
	scratch_load_b64 v[8:9], off, off offset:1012 ; 8-byte Folded Reload
	s_waitcnt vmcnt(0)
	v_mad_u64_u32 v[6:7], null, v1, s9, v[8:9]
	scratch_load_b64 v[7:8], off, off offset:320 ; 8-byte Folded Reload
	s_waitcnt vmcnt(0)
	v_mad_u64_u32 v[0:1], null, v6, 56, v[7:8]
	s_waitcnt lgkmcnt(0)
	v_fma_mix_f32 v6, v4, v2, 0 op_sel_hi:[0,1,0]
	v_fma_mix_f32 v2, v4, v2, 0 op_sel:[0,1,0] op_sel_hi:[0,1,0]
	s_delay_alu instid0(VALU_DEP_2) | instskip(NEXT) | instid1(VALU_DEP_4)
	v_fma_mix_f32 v4, v5, v3, v6 op_sel_hi:[0,1,0]
	v_ashrrev_i32_e32 v1, 31, v0
	s_delay_alu instid0(VALU_DEP_3) | instskip(SKIP_1) | instid1(VALU_DEP_3)
	v_fma_mix_f32 v5, v5, v3, v2 op_sel:[0,1,0] op_sel_hi:[0,1,0]
	v_mov_b32_e32 v2, 0
	v_lshlrev_b64 v[0:1], 3, v[0:1]
	s_delay_alu instid0(VALU_DEP_1) | instskip(NEXT) | instid1(VALU_DEP_2)
	v_add_co_u32 v0, vcc_lo, s41, v0
	v_add_co_ci_u32_e32 v1, vcc_lo, s59, v1, vcc_lo
	global_store_b64 v[0:1], v[4:5], off
.LBB19_156:                             ;   in Loop: Header=BB19_10 Depth=1
	s_or_b32 exec_lo, exec_lo, s4
	s_mov_b32 s4, -1
	s_mov_b32 s5, exec_lo
	v_cmpx_gt_i32_e32 0x47, v2
; %bb.157:                              ;   in Loop: Header=BB19_10 Depth=1
	v_cmp_eq_u32_e32 vcc_lo, 0, v2
	s_or_not1_b32 s4, vcc_lo, exec_lo
; %bb.158:                              ;   in Loop: Header=BB19_10 Depth=1
	s_or_b32 exec_lo, exec_lo, s5
	s_delay_alu instid0(SALU_CYCLE_1)
	s_and_b32 exec_lo, exec_lo, s4
	s_cbranch_execz .LBB19_166
; %bb.159:                              ;   in Loop: Header=BB19_10 Depth=1
	s_clause 0x1
	scratch_load_b32 v0, off, off offset:1048
	scratch_load_b64 v[2:3], off, off offset:1032
	s_waitcnt vmcnt(1)
	v_add_nc_u32_e32 v1, s103, v0
	s_waitcnt vmcnt(0)
	v_or_b32_e32 v0, s86, v2
	v_mov_b32_e32 v2, 0x47
	s_delay_alu instid0(VALU_DEP_3) | instskip(NEXT) | instid1(VALU_DEP_3)
	v_cmp_gt_i32_e32 vcc_lo, s8, v1
	v_cmp_gt_i32_e64 s4, s33, v0
	s_delay_alu instid0(VALU_DEP_1) | instskip(NEXT) | instid1(SALU_CYCLE_1)
	s_and_b32 s5, vcc_lo, s4
	s_and_saveexec_b32 s4, s5
	s_cbranch_execz .LBB19_161
; %bb.160:                              ;   in Loop: Header=BB19_10 Depth=1
	s_clause 0x1
	scratch_load_b32 v0, off, off offset:1060
	scratch_load_b32 v2, off, off offset:1064
	s_waitcnt vmcnt(1)
	v_add_nc_u32_e32 v0, 0, v0
	s_delay_alu instid0(VALU_DEP_1)
	v_add_nc_u32_e32 v0, 0xe0, v0
	s_waitcnt vmcnt(0)
	ds_load_2addr_stride64_b32 v[2:3], v2 offset1:15
	ds_load_2addr_stride64_b32 v[4:5], v0 offset1:15
	scratch_load_b64 v[8:9], off, off offset:1032 ; 8-byte Folded Reload
	s_waitcnt vmcnt(0)
	v_mad_u64_u32 v[6:7], null, v1, s9, v[8:9]
	scratch_load_b64 v[7:8], off, off offset:320 ; 8-byte Folded Reload
	s_waitcnt vmcnt(0)
	v_mad_u64_u32 v[0:1], null, v6, 56, v[7:8]
	s_waitcnt lgkmcnt(0)
	v_fma_mix_f32 v6, v4, v2, 0 op_sel_hi:[0,1,0]
	v_fma_mix_f32 v2, v4, v2, 0 op_sel:[0,1,0] op_sel_hi:[0,1,0]
	s_delay_alu instid0(VALU_DEP_2) | instskip(NEXT) | instid1(VALU_DEP_4)
	v_fma_mix_f32 v4, v5, v3, v6 op_sel_hi:[0,1,0]
	v_ashrrev_i32_e32 v1, 31, v0
	s_delay_alu instid0(VALU_DEP_3) | instskip(SKIP_1) | instid1(VALU_DEP_3)
	v_fma_mix_f32 v5, v5, v3, v2 op_sel:[0,1,0] op_sel_hi:[0,1,0]
	v_mov_b32_e32 v2, 0
	v_lshlrev_b64 v[0:1], 3, v[0:1]
	s_delay_alu instid0(VALU_DEP_1) | instskip(NEXT) | instid1(VALU_DEP_2)
	v_add_co_u32 v0, vcc_lo, s41, v0
	v_add_co_ci_u32_e32 v1, vcc_lo, s59, v1, vcc_lo
	global_store_b64 v[0:1], v[4:5], off
.LBB19_161:                             ;   in Loop: Header=BB19_10 Depth=1
	s_or_b32 exec_lo, exec_lo, s4
	s_mov_b32 s4, -1
	s_mov_b32 s5, exec_lo
	v_cmpx_gt_i32_e32 0x47, v2
; %bb.162:                              ;   in Loop: Header=BB19_10 Depth=1
	v_cmp_eq_u32_e32 vcc_lo, 0, v2
	s_or_not1_b32 s4, vcc_lo, exec_lo
; %bb.163:                              ;   in Loop: Header=BB19_10 Depth=1
	s_or_b32 exec_lo, exec_lo, s5
	s_delay_alu instid0(SALU_CYCLE_1)
	s_and_b32 exec_lo, exec_lo, s4
	s_cbranch_execz .LBB19_166
; %bb.164:                              ;   in Loop: Header=BB19_10 Depth=1
	s_clause 0x1
	scratch_load_b32 v0, off, off offset:1068
	scratch_load_b64 v[2:3], off, off offset:1052
	s_waitcnt vmcnt(1)
	v_add_nc_u32_e32 v1, s103, v0
	s_waitcnt vmcnt(0)
	v_or_b32_e32 v0, s86, v2
	s_delay_alu instid0(VALU_DEP_2) | instskip(NEXT) | instid1(VALU_DEP_2)
	v_cmp_gt_i32_e32 vcc_lo, s8, v1
	v_cmp_gt_i32_e64 s4, s33, v0
	s_delay_alu instid0(VALU_DEP_1) | instskip(NEXT) | instid1(SALU_CYCLE_1)
	s_and_b32 s4, vcc_lo, s4
	s_and_b32 exec_lo, exec_lo, s4
	s_cbranch_execz .LBB19_166
; %bb.165:                              ;   in Loop: Header=BB19_10 Depth=1
	s_clause 0x1
	scratch_load_b32 v0, off, off offset:1072
	scratch_load_b32 v2, off, off offset:1076
	s_waitcnt vmcnt(1)
	v_add_nc_u32_e32 v0, 0, v0
	s_delay_alu instid0(VALU_DEP_1)
	v_add_nc_u32_e32 v0, 0xe0, v0
	s_waitcnt vmcnt(0)
	ds_load_2addr_stride64_b32 v[2:3], v2 offset1:15
	ds_load_2addr_stride64_b32 v[4:5], v0 offset1:15
	scratch_load_b64 v[8:9], off, off offset:1052 ; 8-byte Folded Reload
	s_waitcnt vmcnt(0)
	v_mad_u64_u32 v[6:7], null, v1, s9, v[8:9]
	scratch_load_b64 v[7:8], off, off offset:320 ; 8-byte Folded Reload
	s_waitcnt vmcnt(0)
	v_mad_u64_u32 v[0:1], null, v6, 56, v[7:8]
	s_waitcnt lgkmcnt(0)
	v_fma_mix_f32 v6, v4, v2, 0 op_sel_hi:[0,1,0]
	v_fma_mix_f32 v4, v4, v2, 0 op_sel:[0,1,0] op_sel_hi:[0,1,0]
	s_delay_alu instid0(VALU_DEP_2) | instskip(NEXT) | instid1(VALU_DEP_4)
	v_fma_mix_f32 v2, v5, v3, v6 op_sel_hi:[0,1,0]
	v_ashrrev_i32_e32 v1, 31, v0
	s_delay_alu instid0(VALU_DEP_3) | instskip(NEXT) | instid1(VALU_DEP_2)
	v_fma_mix_f32 v3, v5, v3, v4 op_sel:[0,1,0] op_sel_hi:[0,1,0]
	v_lshlrev_b64 v[0:1], 3, v[0:1]
	s_delay_alu instid0(VALU_DEP_1) | instskip(NEXT) | instid1(VALU_DEP_2)
	v_add_co_u32 v0, vcc_lo, s41, v0
	v_add_co_ci_u32_e32 v1, vcc_lo, s59, v1, vcc_lo
	global_store_b64 v[0:1], v[2:3], off
.LBB19_166:                             ;   in Loop: Header=BB19_10 Depth=1
	s_or_b32 exec_lo, exec_lo, s7
	s_clause 0x1
	scratch_load_b32 v0, off, off offset:348
	scratch_load_b64 v[2:3], off, off offset:304
	s_waitcnt vmcnt(1)
	v_add_nc_u32_e32 v1, s103, v0
	s_waitcnt vmcnt(0)
	v_or_b32_e32 v0, s86, v2
	v_mov_b32_e32 v2, 0x47
	s_delay_alu instid0(VALU_DEP_3) | instskip(NEXT) | instid1(VALU_DEP_3)
	v_cmp_gt_i32_e64 s4, s8, v1
	v_cmp_gt_i32_e32 vcc_lo, s33, v0
	s_delay_alu instid0(VALU_DEP_2) | instskip(NEXT) | instid1(SALU_CYCLE_1)
	s_and_b32 s4, s4, vcc_lo
	s_and_saveexec_b32 s5, s4
	s_cbranch_execz .LBB19_168
; %bb.167:                              ;   in Loop: Header=BB19_10 Depth=1
	s_clause 0x2
	scratch_load_b32 v0, off, off offset:440
	scratch_load_b32 v2, off, off offset:444
	scratch_load_b64 v[6:7], off, off offset:304
	s_waitcnt vmcnt(2)
	v_add_nc_u32_e32 v0, 0, v0
	s_waitcnt vmcnt(1)
	v_add_nc_u32_e32 v4, 0x80, v2
	s_waitcnt vmcnt(0)
	v_mad_u64_u32 v[2:3], null, v1, s9, v[6:7]
	v_add_nc_u32_e32 v5, 0xe0, v0
	ds_load_2addr_stride64_b32 v[0:1], v4 offset1:15
	ds_load_2addr_stride64_b32 v[3:4], v5 offset1:15
	scratch_load_b32 v5, off, off offset:404 ; 4-byte Folded Reload
	v_mul_lo_u32 v2, v2, 56
	s_delay_alu instid0(VALU_DEP_1) | instskip(SKIP_3) | instid1(VALU_DEP_2)
	v_ashrrev_i32_e32 v6, 31, v2
	s_waitcnt lgkmcnt(0)
	v_fma_mix_f32 v7, v3, v0, 0 op_sel_hi:[0,1,0]
	v_fma_mix_f32 v8, v3, v0, 0 op_sel:[0,1,0] op_sel_hi:[0,1,0]
	v_fma_mix_f32 v0, v4, v1, v7 op_sel_hi:[0,1,0]
	s_delay_alu instid0(VALU_DEP_2) | instskip(SKIP_2) | instid1(VALU_DEP_1)
	v_fma_mix_f32 v1, v4, v1, v8 op_sel:[0,1,0] op_sel_hi:[0,1,0]
	s_waitcnt vmcnt(0)
	v_add_co_u32 v5, s4, v2, v5
	v_add_co_ci_u32_e64 v6, s4, 0, v6, s4
	s_delay_alu instid0(VALU_DEP_1) | instskip(NEXT) | instid1(VALU_DEP_1)
	v_lshlrev_b64 v[2:3], 3, v[5:6]
	v_add_co_u32 v4, s4, s41, v2
	v_mov_b32_e32 v2, 0
	s_delay_alu instid0(VALU_DEP_3)
	v_add_co_ci_u32_e64 v5, s4, s59, v3, s4
	global_store_b64 v[4:5], v[0:1], off offset:256
.LBB19_168:                             ;   in Loop: Header=BB19_10 Depth=1
	s_or_b32 exec_lo, exec_lo, s5
	s_mov_b32 s5, -1
	s_mov_b32 s7, exec_lo
	v_cmpx_gt_i32_e32 0x47, v2
; %bb.169:                              ;   in Loop: Header=BB19_10 Depth=1
	v_cmp_eq_u32_e64 s4, 0, v2
	s_delay_alu instid0(VALU_DEP_1)
	s_or_not1_b32 s5, s4, exec_lo
; %bb.170:                              ;   in Loop: Header=BB19_10 Depth=1
	s_or_b32 exec_lo, exec_lo, s7
	s_and_saveexec_b32 s7, s5
	s_cbranch_execz .LBB19_203
; %bb.171:                              ;   in Loop: Header=BB19_10 Depth=1
	s_clause 0x1
	scratch_load_b32 v0, off, off offset:460
	scratch_load_b64 v[2:3], off, off offset:416
	s_waitcnt vmcnt(1)
	v_add_nc_u32_e32 v1, s103, v0
	s_waitcnt vmcnt(0)
	v_or_b32_e32 v0, s86, v2
	v_mov_b32_e32 v2, 0x47
	s_delay_alu instid0(VALU_DEP_3) | instskip(NEXT) | instid1(VALU_DEP_3)
	v_cmp_gt_i32_e64 s4, s8, v1
	v_cmp_gt_i32_e64 s5, s33, v0
	s_delay_alu instid0(VALU_DEP_1) | instskip(NEXT) | instid1(SALU_CYCLE_1)
	s_and_b32 s4, s4, s5
	s_and_saveexec_b32 s5, s4
	s_cbranch_execz .LBB19_173
; %bb.172:                              ;   in Loop: Header=BB19_10 Depth=1
	s_clause 0x2
	scratch_load_b32 v0, off, off offset:620
	scratch_load_b32 v2, off, off offset:624
	scratch_load_b64 v[6:7], off, off offset:416
	s_waitcnt vmcnt(2)
	v_add_nc_u32_e32 v0, 0, v0
	s_waitcnt vmcnt(1)
	v_add_nc_u32_e32 v4, 0x80, v2
	s_waitcnt vmcnt(0)
	v_mad_u64_u32 v[2:3], null, v1, s9, v[6:7]
	v_add_nc_u32_e32 v5, 0xe0, v0
	ds_load_2addr_stride64_b32 v[0:1], v4 offset1:15
	ds_load_2addr_stride64_b32 v[3:4], v5 offset1:15
	scratch_load_b32 v5, off, off offset:404 ; 4-byte Folded Reload
	v_mul_lo_u32 v2, v2, 56
	s_delay_alu instid0(VALU_DEP_1) | instskip(SKIP_3) | instid1(VALU_DEP_2)
	v_ashrrev_i32_e32 v6, 31, v2
	s_waitcnt lgkmcnt(0)
	v_fma_mix_f32 v7, v3, v0, 0 op_sel_hi:[0,1,0]
	v_fma_mix_f32 v8, v3, v0, 0 op_sel:[0,1,0] op_sel_hi:[0,1,0]
	v_fma_mix_f32 v0, v4, v1, v7 op_sel_hi:[0,1,0]
	s_delay_alu instid0(VALU_DEP_2) | instskip(SKIP_2) | instid1(VALU_DEP_1)
	v_fma_mix_f32 v1, v4, v1, v8 op_sel:[0,1,0] op_sel_hi:[0,1,0]
	s_waitcnt vmcnt(0)
	v_add_co_u32 v5, s4, v2, v5
	v_add_co_ci_u32_e64 v6, s4, 0, v6, s4
	s_delay_alu instid0(VALU_DEP_1) | instskip(NEXT) | instid1(VALU_DEP_1)
	v_lshlrev_b64 v[2:3], 3, v[5:6]
	v_add_co_u32 v4, s4, s41, v2
	v_mov_b32_e32 v2, 0
	s_delay_alu instid0(VALU_DEP_3)
	v_add_co_ci_u32_e64 v5, s4, s59, v3, s4
	global_store_b64 v[4:5], v[0:1], off offset:256
.LBB19_173:                             ;   in Loop: Header=BB19_10 Depth=1
	s_or_b32 exec_lo, exec_lo, s5
	s_mov_b32 s5, -1
	s_mov_b32 s66, exec_lo
	v_cmpx_gt_i32_e32 0x47, v2
; %bb.174:                              ;   in Loop: Header=BB19_10 Depth=1
	v_cmp_eq_u32_e64 s4, 0, v2
	s_delay_alu instid0(VALU_DEP_1)
	s_or_not1_b32 s5, s4, exec_lo
; %bb.175:                              ;   in Loop: Header=BB19_10 Depth=1
	s_or_b32 exec_lo, exec_lo, s66
	s_delay_alu instid0(SALU_CYCLE_1)
	s_and_b32 exec_lo, exec_lo, s5
	s_cbranch_execz .LBB19_203
; %bb.176:                              ;   in Loop: Header=BB19_10 Depth=1
	s_clause 0x1
	scratch_load_b32 v0, off, off offset:644
	scratch_load_b64 v[2:3], off, off offset:596
	s_waitcnt vmcnt(1)
	v_add_nc_u32_e32 v1, s103, v0
	s_waitcnt vmcnt(0)
	v_or_b32_e32 v0, s86, v2
	v_mov_b32_e32 v2, 0x47
	s_delay_alu instid0(VALU_DEP_3) | instskip(NEXT) | instid1(VALU_DEP_3)
	v_cmp_gt_i32_e64 s4, s8, v1
	v_cmp_gt_i32_e64 s5, s33, v0
	s_delay_alu instid0(VALU_DEP_1) | instskip(NEXT) | instid1(SALU_CYCLE_1)
	s_and_b32 s4, s4, s5
	s_and_saveexec_b32 s5, s4
	s_cbranch_execz .LBB19_178
; %bb.177:                              ;   in Loop: Header=BB19_10 Depth=1
	s_clause 0x2
	scratch_load_b32 v0, off, off offset:680
	scratch_load_b32 v2, off, off offset:684
	scratch_load_b64 v[6:7], off, off offset:596
	s_waitcnt vmcnt(2)
	v_add_nc_u32_e32 v0, 0, v0
	s_waitcnt vmcnt(1)
	v_add_nc_u32_e32 v4, 0x80, v2
	s_waitcnt vmcnt(0)
	v_mad_u64_u32 v[2:3], null, v1, s9, v[6:7]
	v_add_nc_u32_e32 v5, 0xe0, v0
	ds_load_2addr_stride64_b32 v[0:1], v4 offset1:15
	ds_load_2addr_stride64_b32 v[3:4], v5 offset1:15
	scratch_load_b32 v5, off, off offset:404 ; 4-byte Folded Reload
	v_mul_lo_u32 v2, v2, 56
	s_delay_alu instid0(VALU_DEP_1) | instskip(SKIP_3) | instid1(VALU_DEP_2)
	v_ashrrev_i32_e32 v6, 31, v2
	s_waitcnt lgkmcnt(0)
	v_fma_mix_f32 v7, v3, v0, 0 op_sel_hi:[0,1,0]
	v_fma_mix_f32 v8, v3, v0, 0 op_sel:[0,1,0] op_sel_hi:[0,1,0]
	v_fma_mix_f32 v0, v4, v1, v7 op_sel_hi:[0,1,0]
	s_delay_alu instid0(VALU_DEP_2) | instskip(SKIP_2) | instid1(VALU_DEP_1)
	v_fma_mix_f32 v1, v4, v1, v8 op_sel:[0,1,0] op_sel_hi:[0,1,0]
	s_waitcnt vmcnt(0)
	v_add_co_u32 v5, s4, v2, v5
	v_add_co_ci_u32_e64 v6, s4, 0, v6, s4
	s_delay_alu instid0(VALU_DEP_1) | instskip(NEXT) | instid1(VALU_DEP_1)
	v_lshlrev_b64 v[2:3], 3, v[5:6]
	v_add_co_u32 v4, s4, s41, v2
	v_mov_b32_e32 v2, 0
	s_delay_alu instid0(VALU_DEP_3)
	v_add_co_ci_u32_e64 v5, s4, s59, v3, s4
	global_store_b64 v[4:5], v[0:1], off offset:256
.LBB19_178:                             ;   in Loop: Header=BB19_10 Depth=1
	s_or_b32 exec_lo, exec_lo, s5
	s_mov_b32 s5, -1
	s_mov_b32 s66, exec_lo
	v_cmpx_gt_i32_e32 0x47, v2
; %bb.179:                              ;   in Loop: Header=BB19_10 Depth=1
	v_cmp_eq_u32_e64 s4, 0, v2
	s_delay_alu instid0(VALU_DEP_1)
	s_or_not1_b32 s5, s4, exec_lo
; %bb.180:                              ;   in Loop: Header=BB19_10 Depth=1
	s_or_b32 exec_lo, exec_lo, s66
	s_delay_alu instid0(SALU_CYCLE_1)
	s_and_b32 exec_lo, exec_lo, s5
	s_cbranch_execz .LBB19_203
; %bb.181:                              ;   in Loop: Header=BB19_10 Depth=1
	s_clause 0x1
	scratch_load_b32 v0, off, off offset:700
	scratch_load_b64 v[2:3], off, off offset:656
	s_waitcnt vmcnt(1)
	v_add_nc_u32_e32 v1, s103, v0
	s_waitcnt vmcnt(0)
	v_or_b32_e32 v0, s86, v2
	v_mov_b32_e32 v2, 0x47
	s_delay_alu instid0(VALU_DEP_3) | instskip(NEXT) | instid1(VALU_DEP_3)
	v_cmp_gt_i32_e64 s4, s8, v1
	v_cmp_gt_i32_e64 s5, s33, v0
	s_delay_alu instid0(VALU_DEP_1) | instskip(NEXT) | instid1(SALU_CYCLE_1)
	s_and_b32 s4, s4, s5
	s_and_saveexec_b32 s5, s4
	s_cbranch_execz .LBB19_183
; %bb.182:                              ;   in Loop: Header=BB19_10 Depth=1
	s_clause 0x2
	scratch_load_b32 v0, off, off offset:732
	scratch_load_b32 v2, off, off offset:736
	scratch_load_b64 v[6:7], off, off offset:656
	s_waitcnt vmcnt(2)
	v_add_nc_u32_e32 v0, 0, v0
	s_waitcnt vmcnt(1)
	v_add_nc_u32_e32 v4, 0x80, v2
	s_waitcnt vmcnt(0)
	v_mad_u64_u32 v[2:3], null, v1, s9, v[6:7]
	v_add_nc_u32_e32 v5, 0xe0, v0
	ds_load_2addr_stride64_b32 v[0:1], v4 offset1:15
	ds_load_2addr_stride64_b32 v[3:4], v5 offset1:15
	scratch_load_b32 v5, off, off offset:404 ; 4-byte Folded Reload
	v_mul_lo_u32 v2, v2, 56
	s_delay_alu instid0(VALU_DEP_1) | instskip(SKIP_3) | instid1(VALU_DEP_2)
	v_ashrrev_i32_e32 v6, 31, v2
	s_waitcnt lgkmcnt(0)
	v_fma_mix_f32 v7, v3, v0, 0 op_sel_hi:[0,1,0]
	v_fma_mix_f32 v8, v3, v0, 0 op_sel:[0,1,0] op_sel_hi:[0,1,0]
	v_fma_mix_f32 v0, v4, v1, v7 op_sel_hi:[0,1,0]
	s_delay_alu instid0(VALU_DEP_2) | instskip(SKIP_2) | instid1(VALU_DEP_1)
	v_fma_mix_f32 v1, v4, v1, v8 op_sel:[0,1,0] op_sel_hi:[0,1,0]
	s_waitcnt vmcnt(0)
	v_add_co_u32 v5, s4, v2, v5
	v_add_co_ci_u32_e64 v6, s4, 0, v6, s4
	s_delay_alu instid0(VALU_DEP_1) | instskip(NEXT) | instid1(VALU_DEP_1)
	v_lshlrev_b64 v[2:3], 3, v[5:6]
	v_add_co_u32 v4, s4, s41, v2
	v_mov_b32_e32 v2, 0
	s_delay_alu instid0(VALU_DEP_3)
	v_add_co_ci_u32_e64 v5, s4, s59, v3, s4
	global_store_b64 v[4:5], v[0:1], off offset:256
.LBB19_183:                             ;   in Loop: Header=BB19_10 Depth=1
	s_or_b32 exec_lo, exec_lo, s5
	s_mov_b32 s5, -1
	s_mov_b32 s66, exec_lo
	v_cmpx_gt_i32_e32 0x47, v2
; %bb.184:                              ;   in Loop: Header=BB19_10 Depth=1
	v_cmp_eq_u32_e64 s4, 0, v2
	s_delay_alu instid0(VALU_DEP_1)
	s_or_not1_b32 s5, s4, exec_lo
; %bb.185:                              ;   in Loop: Header=BB19_10 Depth=1
	s_or_b32 exec_lo, exec_lo, s66
	s_delay_alu instid0(SALU_CYCLE_1)
	s_and_b32 exec_lo, exec_lo, s5
	s_cbranch_execz .LBB19_203
; %bb.186:                              ;   in Loop: Header=BB19_10 Depth=1
	scratch_load_b32 v0, off, off offset:740 ; 4-byte Folded Reload
	s_waitcnt vmcnt(0)
	v_dual_mov_b32 v1, 0x47 :: v_dual_add_nc_u32 v2, s103, v0
	s_delay_alu instid0(VALU_DEP_1) | instskip(NEXT) | instid1(VALU_DEP_1)
	v_cmp_gt_i32_e64 s4, s8, v2
	s_and_b32 s5, s4, vcc_lo
	s_delay_alu instid0(SALU_CYCLE_1)
	s_and_saveexec_b32 s4, s5
	s_cbranch_execz .LBB19_188
; %bb.187:                              ;   in Loop: Header=BB19_10 Depth=1
	s_clause 0x2
	scratch_load_b32 v0, off, off offset:816
	scratch_load_b32 v1, off, off offset:820
	scratch_load_b64 v[5:6], off, off offset:304
	s_waitcnt vmcnt(2)
	v_add_nc_u32_e32 v0, 0, v0
	s_waitcnt vmcnt(1)
	v_add_nc_u32_e32 v3, 0x80, v1
	s_delay_alu instid0(VALU_DEP_2)
	v_add_nc_u32_e32 v4, 0xe0, v0
	s_waitcnt vmcnt(0)
	v_mad_u64_u32 v[0:1], null, v2, s9, v[5:6]
	ds_load_2addr_stride64_b32 v[1:2], v3 offset1:15
	ds_load_2addr_stride64_b32 v[3:4], v4 offset1:15
	scratch_load_b32 v5, off, off offset:404 ; 4-byte Folded Reload
	v_mul_lo_u32 v0, v0, 56
	s_delay_alu instid0(VALU_DEP_1) | instskip(SKIP_3) | instid1(VALU_DEP_2)
	v_ashrrev_i32_e32 v6, 31, v0
	s_waitcnt lgkmcnt(0)
	v_fma_mix_f32 v7, v3, v1, 0 op_sel_hi:[0,1,0]
	v_fma_mix_f32 v8, v3, v1, 0 op_sel:[0,1,0] op_sel_hi:[0,1,0]
	v_fma_mix_f32 v3, v4, v2, v7 op_sel_hi:[0,1,0]
	s_delay_alu instid0(VALU_DEP_2) | instskip(SKIP_3) | instid1(VALU_DEP_1)
	v_fma_mix_f32 v4, v4, v2, v8 op_sel:[0,1,0] op_sel_hi:[0,1,0]
	s_waitcnt vmcnt(0)
	v_add_co_u32 v5, vcc_lo, v0, v5
	v_add_co_ci_u32_e32 v6, vcc_lo, 0, v6, vcc_lo
	v_lshlrev_b64 v[0:1], 3, v[5:6]
	s_delay_alu instid0(VALU_DEP_1) | instskip(NEXT) | instid1(VALU_DEP_2)
	v_add_co_u32 v5, vcc_lo, s41, v0
	v_add_co_ci_u32_e32 v6, vcc_lo, s59, v1, vcc_lo
	v_mov_b32_e32 v1, 0
	global_store_b64 v[5:6], v[3:4], off offset:256
.LBB19_188:                             ;   in Loop: Header=BB19_10 Depth=1
	s_or_b32 exec_lo, exec_lo, s4
	s_mov_b32 s4, -1
	s_mov_b32 s5, exec_lo
	v_cmpx_gt_i32_e32 0x47, v1
; %bb.189:                              ;   in Loop: Header=BB19_10 Depth=1
	v_cmp_eq_u32_e32 vcc_lo, 0, v1
	s_or_not1_b32 s4, vcc_lo, exec_lo
; %bb.190:                              ;   in Loop: Header=BB19_10 Depth=1
	s_or_b32 exec_lo, exec_lo, s5
	s_delay_alu instid0(SALU_CYCLE_1)
	s_and_b32 exec_lo, exec_lo, s4
	s_cbranch_execz .LBB19_203
; %bb.191:                              ;   in Loop: Header=BB19_10 Depth=1
	s_clause 0x1
	scratch_load_b32 v0, off, off offset:828
	scratch_load_b64 v[2:3], off, off offset:800
	s_waitcnt vmcnt(1)
	v_add_nc_u32_e32 v1, s103, v0
	s_waitcnt vmcnt(0)
	v_or_b32_e32 v0, s86, v2
	v_mov_b32_e32 v2, 0x47
	s_delay_alu instid0(VALU_DEP_3) | instskip(NEXT) | instid1(VALU_DEP_3)
	v_cmp_gt_i32_e32 vcc_lo, s8, v1
	v_cmp_gt_i32_e64 s4, s33, v0
	s_delay_alu instid0(VALU_DEP_1) | instskip(NEXT) | instid1(SALU_CYCLE_1)
	s_and_b32 s5, vcc_lo, s4
	s_and_saveexec_b32 s4, s5
	s_cbranch_execz .LBB19_193
; %bb.192:                              ;   in Loop: Header=BB19_10 Depth=1
	s_clause 0x2
	scratch_load_b32 v0, off, off offset:856
	scratch_load_b32 v2, off, off offset:860
	scratch_load_b64 v[6:7], off, off offset:800
	s_waitcnt vmcnt(2)
	v_add_nc_u32_e32 v0, 0, v0
	s_waitcnt vmcnt(1)
	v_add_nc_u32_e32 v4, 0x80, v2
	s_waitcnt vmcnt(0)
	v_mad_u64_u32 v[2:3], null, v1, s9, v[6:7]
	v_add_nc_u32_e32 v5, 0xe0, v0
	ds_load_2addr_stride64_b32 v[0:1], v4 offset1:15
	ds_load_2addr_stride64_b32 v[3:4], v5 offset1:15
	scratch_load_b32 v5, off, off offset:404 ; 4-byte Folded Reload
	v_mul_lo_u32 v2, v2, 56
	s_delay_alu instid0(VALU_DEP_1) | instskip(SKIP_3) | instid1(VALU_DEP_2)
	v_ashrrev_i32_e32 v6, 31, v2
	s_waitcnt lgkmcnt(0)
	v_fma_mix_f32 v7, v3, v0, 0 op_sel_hi:[0,1,0]
	v_fma_mix_f32 v8, v3, v0, 0 op_sel:[0,1,0] op_sel_hi:[0,1,0]
	v_fma_mix_f32 v0, v4, v1, v7 op_sel_hi:[0,1,0]
	s_delay_alu instid0(VALU_DEP_2) | instskip(SKIP_3) | instid1(VALU_DEP_1)
	v_fma_mix_f32 v1, v4, v1, v8 op_sel:[0,1,0] op_sel_hi:[0,1,0]
	s_waitcnt vmcnt(0)
	v_add_co_u32 v5, vcc_lo, v2, v5
	v_add_co_ci_u32_e32 v6, vcc_lo, 0, v6, vcc_lo
	v_lshlrev_b64 v[2:3], 3, v[5:6]
	s_delay_alu instid0(VALU_DEP_1) | instskip(SKIP_1) | instid1(VALU_DEP_3)
	v_add_co_u32 v4, vcc_lo, s41, v2
	v_mov_b32_e32 v2, 0
	v_add_co_ci_u32_e32 v5, vcc_lo, s59, v3, vcc_lo
	global_store_b64 v[4:5], v[0:1], off offset:256
.LBB19_193:                             ;   in Loop: Header=BB19_10 Depth=1
	s_or_b32 exec_lo, exec_lo, s4
	s_mov_b32 s4, -1
	s_mov_b32 s5, exec_lo
	v_cmpx_gt_i32_e32 0x47, v2
; %bb.194:                              ;   in Loop: Header=BB19_10 Depth=1
	v_cmp_eq_u32_e32 vcc_lo, 0, v2
	s_or_not1_b32 s4, vcc_lo, exec_lo
; %bb.195:                              ;   in Loop: Header=BB19_10 Depth=1
	s_or_b32 exec_lo, exec_lo, s5
	s_delay_alu instid0(SALU_CYCLE_1)
	s_and_b32 exec_lo, exec_lo, s4
	s_cbranch_execz .LBB19_203
; %bb.196:                              ;   in Loop: Header=BB19_10 Depth=1
	s_clause 0x1
	scratch_load_b32 v0, off, off offset:868
	scratch_load_b64 v[2:3], off, off offset:840
	s_waitcnt vmcnt(1)
	v_add_nc_u32_e32 v1, s103, v0
	s_waitcnt vmcnt(0)
	v_or_b32_e32 v0, s86, v2
	v_mov_b32_e32 v2, 0x47
	s_delay_alu instid0(VALU_DEP_3) | instskip(NEXT) | instid1(VALU_DEP_3)
	v_cmp_gt_i32_e32 vcc_lo, s8, v1
	v_cmp_gt_i32_e64 s4, s33, v0
	s_delay_alu instid0(VALU_DEP_1) | instskip(NEXT) | instid1(SALU_CYCLE_1)
	s_and_b32 s5, vcc_lo, s4
	s_and_saveexec_b32 s4, s5
	s_cbranch_execz .LBB19_198
; %bb.197:                              ;   in Loop: Header=BB19_10 Depth=1
	s_clause 0x2
	scratch_load_b32 v0, off, off offset:896
	scratch_load_b32 v2, off, off offset:900
	scratch_load_b64 v[6:7], off, off offset:840
	s_waitcnt vmcnt(2)
	v_add_nc_u32_e32 v0, 0, v0
	s_waitcnt vmcnt(1)
	v_add_nc_u32_e32 v4, 0x80, v2
	s_waitcnt vmcnt(0)
	v_mad_u64_u32 v[2:3], null, v1, s9, v[6:7]
	v_add_nc_u32_e32 v5, 0xe0, v0
	ds_load_2addr_stride64_b32 v[0:1], v4 offset1:15
	ds_load_2addr_stride64_b32 v[3:4], v5 offset1:15
	scratch_load_b32 v5, off, off offset:404 ; 4-byte Folded Reload
	v_mul_lo_u32 v2, v2, 56
	s_delay_alu instid0(VALU_DEP_1) | instskip(SKIP_3) | instid1(VALU_DEP_2)
	v_ashrrev_i32_e32 v6, 31, v2
	s_waitcnt lgkmcnt(0)
	v_fma_mix_f32 v7, v3, v0, 0 op_sel_hi:[0,1,0]
	v_fma_mix_f32 v8, v3, v0, 0 op_sel:[0,1,0] op_sel_hi:[0,1,0]
	v_fma_mix_f32 v0, v4, v1, v7 op_sel_hi:[0,1,0]
	s_delay_alu instid0(VALU_DEP_2) | instskip(SKIP_3) | instid1(VALU_DEP_1)
	v_fma_mix_f32 v1, v4, v1, v8 op_sel:[0,1,0] op_sel_hi:[0,1,0]
	s_waitcnt vmcnt(0)
	v_add_co_u32 v5, vcc_lo, v2, v5
	v_add_co_ci_u32_e32 v6, vcc_lo, 0, v6, vcc_lo
	v_lshlrev_b64 v[2:3], 3, v[5:6]
	s_delay_alu instid0(VALU_DEP_1) | instskip(SKIP_1) | instid1(VALU_DEP_3)
	v_add_co_u32 v4, vcc_lo, s41, v2
	v_mov_b32_e32 v2, 0
	v_add_co_ci_u32_e32 v5, vcc_lo, s59, v3, vcc_lo
	global_store_b64 v[4:5], v[0:1], off offset:256
.LBB19_198:                             ;   in Loop: Header=BB19_10 Depth=1
	s_or_b32 exec_lo, exec_lo, s4
	s_mov_b32 s4, -1
	s_mov_b32 s5, exec_lo
	v_cmpx_gt_i32_e32 0x47, v2
; %bb.199:                              ;   in Loop: Header=BB19_10 Depth=1
	v_cmp_eq_u32_e32 vcc_lo, 0, v2
	s_or_not1_b32 s4, vcc_lo, exec_lo
; %bb.200:                              ;   in Loop: Header=BB19_10 Depth=1
	s_or_b32 exec_lo, exec_lo, s5
	s_delay_alu instid0(SALU_CYCLE_1)
	s_and_b32 exec_lo, exec_lo, s4
	s_cbranch_execz .LBB19_203
; %bb.201:                              ;   in Loop: Header=BB19_10 Depth=1
	s_clause 0x1
	scratch_load_b32 v0, off, off offset:908
	scratch_load_b64 v[2:3], off, off offset:880
	s_waitcnt vmcnt(1)
	v_add_nc_u32_e32 v1, s103, v0
	s_waitcnt vmcnt(0)
	v_or_b32_e32 v0, s86, v2
	s_delay_alu instid0(VALU_DEP_2) | instskip(NEXT) | instid1(VALU_DEP_2)
	v_cmp_gt_i32_e32 vcc_lo, s8, v1
	v_cmp_gt_i32_e64 s4, s33, v0
	s_delay_alu instid0(VALU_DEP_1) | instskip(NEXT) | instid1(SALU_CYCLE_1)
	s_and_b32 s4, vcc_lo, s4
	s_and_b32 exec_lo, exec_lo, s4
	s_cbranch_execz .LBB19_203
; %bb.202:                              ;   in Loop: Header=BB19_10 Depth=1
	s_clause 0x2
	scratch_load_b32 v0, off, off offset:924
	scratch_load_b32 v2, off, off offset:928
	scratch_load_b64 v[6:7], off, off offset:880
	s_waitcnt vmcnt(2)
	v_add_nc_u32_e32 v0, 0, v0
	s_waitcnt vmcnt(1)
	v_add_nc_u32_e32 v4, 0x80, v2
	s_waitcnt vmcnt(0)
	v_mad_u64_u32 v[2:3], null, v1, s9, v[6:7]
	v_add_nc_u32_e32 v5, 0xe0, v0
	ds_load_2addr_stride64_b32 v[0:1], v4 offset1:15
	ds_load_2addr_stride64_b32 v[3:4], v5 offset1:15
	scratch_load_b32 v5, off, off offset:404 ; 4-byte Folded Reload
	v_mul_lo_u32 v2, v2, 56
	s_delay_alu instid0(VALU_DEP_1) | instskip(SKIP_3) | instid1(VALU_DEP_2)
	v_ashrrev_i32_e32 v6, 31, v2
	s_waitcnt lgkmcnt(0)
	v_fma_mix_f32 v7, v3, v0, 0 op_sel_hi:[0,1,0]
	v_fma_mix_f32 v8, v3, v0, 0 op_sel:[0,1,0] op_sel_hi:[0,1,0]
	v_fma_mix_f32 v0, v4, v1, v7 op_sel_hi:[0,1,0]
	s_delay_alu instid0(VALU_DEP_2) | instskip(SKIP_3) | instid1(VALU_DEP_1)
	v_fma_mix_f32 v1, v4, v1, v8 op_sel:[0,1,0] op_sel_hi:[0,1,0]
	s_waitcnt vmcnt(0)
	v_add_co_u32 v5, vcc_lo, v2, v5
	v_add_co_ci_u32_e32 v6, vcc_lo, 0, v6, vcc_lo
	v_lshlrev_b64 v[2:3], 3, v[5:6]
	s_delay_alu instid0(VALU_DEP_1) | instskip(NEXT) | instid1(VALU_DEP_2)
	v_add_co_u32 v2, vcc_lo, s41, v2
	v_add_co_ci_u32_e32 v3, vcc_lo, s59, v3, vcc_lo
	global_store_b64 v[2:3], v[0:1], off offset:256
.LBB19_203:                             ;   in Loop: Header=BB19_10 Depth=1
	s_or_b32 exec_lo, exec_lo, s7
	s_clause 0x1
	scratch_load_b32 v0, off, off offset:352
	scratch_load_b64 v[2:3], off, off offset:292
	s_waitcnt vmcnt(1)
	v_add_nc_u32_e32 v1, s103, v0
	s_waitcnt vmcnt(0)
	v_or_b32_e32 v0, s86, v2
	v_mov_b32_e32 v2, 0x47
	s_delay_alu instid0(VALU_DEP_3) | instskip(NEXT) | instid1(VALU_DEP_3)
	v_cmp_gt_i32_e64 s4, s8, v1
	v_cmp_gt_i32_e32 vcc_lo, s33, v0
	s_delay_alu instid0(VALU_DEP_2) | instskip(NEXT) | instid1(SALU_CYCLE_1)
	s_and_b32 s4, s4, vcc_lo
	s_and_saveexec_b32 s5, s4
	s_cbranch_execz .LBB19_205
; %bb.204:                              ;   in Loop: Header=BB19_10 Depth=1
	s_clause 0x2
	scratch_load_b32 v0, off, off offset:448
	scratch_load_b32 v2, off, off offset:452
	scratch_load_b64 v[6:7], off, off offset:292
	s_waitcnt vmcnt(2)
	v_add_nc_u32_e32 v0, 0, v0
	s_waitcnt vmcnt(1)
	v_add_nc_u32_e32 v4, 0xc0, v2
	s_waitcnt vmcnt(0)
	v_mad_u64_u32 v[2:3], null, v1, s9, v[6:7]
	v_add_nc_u32_e32 v5, 0xe0, v0
	ds_load_2addr_stride64_b32 v[0:1], v4 offset1:15
	ds_load_2addr_stride64_b32 v[3:4], v5 offset1:15
	scratch_load_b32 v5, off, off offset:284 ; 4-byte Folded Reload
	v_mul_lo_u32 v2, v2, 56
	s_delay_alu instid0(VALU_DEP_1) | instskip(NEXT) | instid1(VALU_DEP_1)
	v_ashrrev_i32_e32 v6, 31, v2
	v_or_b32_e32 v6, 0, v6
	s_waitcnt lgkmcnt(0)
	v_fma_mix_f32 v7, v3, v0, 0 op_sel_hi:[0,1,0]
	v_fma_mix_f32 v8, v3, v0, 0 op_sel:[0,1,0] op_sel_hi:[0,1,0]
	s_delay_alu instid0(VALU_DEP_2) | instskip(NEXT) | instid1(VALU_DEP_2)
	v_fma_mix_f32 v0, v4, v1, v7 op_sel_hi:[0,1,0]
	v_fma_mix_f32 v1, v4, v1, v8 op_sel:[0,1,0] op_sel_hi:[0,1,0]
	s_waitcnt vmcnt(0)
	v_or_b32_e32 v5, v2, v5
	s_delay_alu instid0(VALU_DEP_1) | instskip(NEXT) | instid1(VALU_DEP_1)
	v_lshlrev_b64 v[2:3], 3, v[5:6]
	v_add_co_u32 v4, s4, s41, v2
	v_mov_b32_e32 v2, 0
	s_delay_alu instid0(VALU_DEP_3)
	v_add_co_ci_u32_e64 v5, s4, s59, v3, s4
	global_store_b64 v[4:5], v[0:1], off offset:384
.LBB19_205:                             ;   in Loop: Header=BB19_10 Depth=1
	s_or_b32 exec_lo, exec_lo, s5
	s_mov_b32 s5, -1
	s_mov_b32 s7, exec_lo
	v_cmpx_gt_i32_e32 0x47, v2
; %bb.206:                              ;   in Loop: Header=BB19_10 Depth=1
	v_cmp_eq_u32_e64 s4, 0, v2
	s_delay_alu instid0(VALU_DEP_1)
	s_or_not1_b32 s5, s4, exec_lo
; %bb.207:                              ;   in Loop: Header=BB19_10 Depth=1
	s_or_b32 exec_lo, exec_lo, s7
	s_delay_alu instid0(SALU_CYCLE_1)
	s_and_b32 exec_lo, exec_lo, s5
	s_cbranch_execz .LBB19_220
; %bb.208:                              ;   in Loop: Header=BB19_10 Depth=1
	s_clause 0x1
	scratch_load_b32 v0, off, off offset:464
	scratch_load_b64 v[2:3], off, off offset:424
	s_waitcnt vmcnt(1)
	v_add_nc_u32_e32 v1, s103, v0
	s_waitcnt vmcnt(0)
	v_or_b32_e32 v0, s86, v2
	v_mov_b32_e32 v2, 0x47
	s_delay_alu instid0(VALU_DEP_3) | instskip(NEXT) | instid1(VALU_DEP_3)
	v_cmp_gt_i32_e64 s4, s8, v1
	v_cmp_gt_i32_e64 s5, s33, v0
	s_delay_alu instid0(VALU_DEP_1) | instskip(NEXT) | instid1(SALU_CYCLE_1)
	s_and_b32 s4, s4, s5
	s_and_saveexec_b32 s5, s4
	s_cbranch_execz .LBB19_210
; %bb.209:                              ;   in Loop: Header=BB19_10 Depth=1
	s_clause 0x2
	scratch_load_b32 v0, off, off offset:628
	scratch_load_b32 v2, off, off offset:632
	scratch_load_b64 v[6:7], off, off offset:424
	s_waitcnt vmcnt(2)
	v_add_nc_u32_e32 v0, 0, v0
	s_waitcnt vmcnt(1)
	v_add_nc_u32_e32 v4, 0xc0, v2
	s_waitcnt vmcnt(0)
	v_mad_u64_u32 v[2:3], null, v1, s9, v[6:7]
	v_add_nc_u32_e32 v5, 0xe0, v0
	ds_load_2addr_stride64_b32 v[0:1], v4 offset1:15
	ds_load_2addr_stride64_b32 v[3:4], v5 offset1:15
	scratch_load_b32 v5, off, off offset:284 ; 4-byte Folded Reload
	v_mul_lo_u32 v2, v2, 56
	s_delay_alu instid0(VALU_DEP_1) | instskip(NEXT) | instid1(VALU_DEP_1)
	v_ashrrev_i32_e32 v6, 31, v2
	v_or_b32_e32 v6, 0, v6
	s_waitcnt lgkmcnt(0)
	v_fma_mix_f32 v7, v3, v0, 0 op_sel_hi:[0,1,0]
	v_fma_mix_f32 v8, v3, v0, 0 op_sel:[0,1,0] op_sel_hi:[0,1,0]
	s_delay_alu instid0(VALU_DEP_2) | instskip(NEXT) | instid1(VALU_DEP_2)
	v_fma_mix_f32 v0, v4, v1, v7 op_sel_hi:[0,1,0]
	v_fma_mix_f32 v1, v4, v1, v8 op_sel:[0,1,0] op_sel_hi:[0,1,0]
	s_waitcnt vmcnt(0)
	v_or_b32_e32 v5, v2, v5
	s_delay_alu instid0(VALU_DEP_1) | instskip(NEXT) | instid1(VALU_DEP_1)
	v_lshlrev_b64 v[2:3], 3, v[5:6]
	v_add_co_u32 v4, s4, s41, v2
	v_mov_b32_e32 v2, 0
	s_delay_alu instid0(VALU_DEP_3)
	v_add_co_ci_u32_e64 v5, s4, s59, v3, s4
	global_store_b64 v[4:5], v[0:1], off offset:384
.LBB19_210:                             ;   in Loop: Header=BB19_10 Depth=1
	s_or_b32 exec_lo, exec_lo, s5
	s_mov_b32 s5, -1
	s_mov_b32 s7, exec_lo
	v_cmpx_gt_i32_e32 0x47, v2
; %bb.211:                              ;   in Loop: Header=BB19_10 Depth=1
	v_cmp_eq_u32_e64 s4, 0, v2
	s_delay_alu instid0(VALU_DEP_1)
	s_or_not1_b32 s5, s4, exec_lo
; %bb.212:                              ;   in Loop: Header=BB19_10 Depth=1
	s_or_b32 exec_lo, exec_lo, s7
	s_delay_alu instid0(SALU_CYCLE_1)
	s_and_b32 exec_lo, exec_lo, s5
	s_cbranch_execz .LBB19_220
; %bb.213:                              ;   in Loop: Header=BB19_10 Depth=1
	scratch_load_b32 v0, off, off offset:636 ; 4-byte Folded Reload
	s_waitcnt vmcnt(0)
	v_dual_mov_b32 v1, 0x47 :: v_dual_add_nc_u32 v2, s103, v0
	s_delay_alu instid0(VALU_DEP_1) | instskip(NEXT) | instid1(VALU_DEP_1)
	v_cmp_gt_i32_e64 s4, s8, v2
	s_and_b32 s5, s4, vcc_lo
	s_delay_alu instid0(SALU_CYCLE_1)
	s_and_saveexec_b32 s4, s5
	s_cbranch_execz .LBB19_215
; %bb.214:                              ;   in Loop: Header=BB19_10 Depth=1
	s_clause 0x2
	scratch_load_b32 v0, off, off offset:688
	scratch_load_b32 v1, off, off offset:692
	scratch_load_b64 v[5:6], off, off offset:292
	s_waitcnt vmcnt(2)
	v_add_nc_u32_e32 v0, 0, v0
	s_waitcnt vmcnt(1)
	v_add_nc_u32_e32 v3, 0xc0, v1
	s_delay_alu instid0(VALU_DEP_2)
	v_add_nc_u32_e32 v4, 0xe0, v0
	s_waitcnt vmcnt(0)
	v_mad_u64_u32 v[0:1], null, v2, s9, v[5:6]
	ds_load_2addr_stride64_b32 v[1:2], v3 offset1:15
	ds_load_2addr_stride64_b32 v[3:4], v4 offset1:15
	scratch_load_b32 v5, off, off offset:284 ; 4-byte Folded Reload
	v_mul_lo_u32 v0, v0, 56
	s_delay_alu instid0(VALU_DEP_1) | instskip(NEXT) | instid1(VALU_DEP_1)
	v_ashrrev_i32_e32 v6, 31, v0
	v_or_b32_e32 v6, 0, v6
	s_waitcnt lgkmcnt(0)
	v_fma_mix_f32 v7, v3, v1, 0 op_sel_hi:[0,1,0]
	v_fma_mix_f32 v8, v3, v1, 0 op_sel:[0,1,0] op_sel_hi:[0,1,0]
	s_delay_alu instid0(VALU_DEP_2) | instskip(NEXT) | instid1(VALU_DEP_2)
	v_fma_mix_f32 v3, v4, v2, v7 op_sel_hi:[0,1,0]
	v_fma_mix_f32 v4, v4, v2, v8 op_sel:[0,1,0] op_sel_hi:[0,1,0]
	s_waitcnt vmcnt(0)
	v_or_b32_e32 v5, v0, v5
	s_delay_alu instid0(VALU_DEP_1) | instskip(NEXT) | instid1(VALU_DEP_1)
	v_lshlrev_b64 v[0:1], 3, v[5:6]
	v_add_co_u32 v5, vcc_lo, s41, v0
	s_delay_alu instid0(VALU_DEP_2)
	v_add_co_ci_u32_e32 v6, vcc_lo, s59, v1, vcc_lo
	v_mov_b32_e32 v1, 0
	global_store_b64 v[5:6], v[3:4], off offset:384
.LBB19_215:                             ;   in Loop: Header=BB19_10 Depth=1
	s_or_b32 exec_lo, exec_lo, s4
	s_mov_b32 s4, -1
	s_mov_b32 s5, exec_lo
	v_cmpx_gt_i32_e32 0x47, v1
; %bb.216:                              ;   in Loop: Header=BB19_10 Depth=1
	v_cmp_eq_u32_e32 vcc_lo, 0, v1
	s_or_not1_b32 s4, vcc_lo, exec_lo
; %bb.217:                              ;   in Loop: Header=BB19_10 Depth=1
	s_or_b32 exec_lo, exec_lo, s5
	s_delay_alu instid0(SALU_CYCLE_1)
	s_and_b32 exec_lo, exec_lo, s4
	s_cbranch_execz .LBB19_220
; %bb.218:                              ;   in Loop: Header=BB19_10 Depth=1
	s_clause 0x1
	scratch_load_b32 v0, off, off offset:704
	scratch_load_b64 v[2:3], off, off offset:664
	s_waitcnt vmcnt(1)
	v_add_nc_u32_e32 v1, s103, v0
	s_waitcnt vmcnt(0)
	v_or_b32_e32 v0, s86, v2
	s_delay_alu instid0(VALU_DEP_2) | instskip(NEXT) | instid1(VALU_DEP_2)
	v_cmp_gt_i32_e32 vcc_lo, s8, v1
	v_cmp_gt_i32_e64 s4, s33, v0
	s_delay_alu instid0(VALU_DEP_1) | instskip(NEXT) | instid1(SALU_CYCLE_1)
	s_and_b32 s4, vcc_lo, s4
	s_and_b32 exec_lo, exec_lo, s4
	s_cbranch_execz .LBB19_220
; %bb.219:                              ;   in Loop: Header=BB19_10 Depth=1
	s_clause 0x2
	scratch_load_b32 v0, off, off offset:744
	scratch_load_b32 v2, off, off offset:748
	scratch_load_b64 v[6:7], off, off offset:664
	s_waitcnt vmcnt(2)
	v_add_nc_u32_e32 v0, 0, v0
	s_waitcnt vmcnt(1)
	v_add_nc_u32_e32 v4, 0xc0, v2
	s_waitcnt vmcnt(0)
	v_mad_u64_u32 v[2:3], null, v1, s9, v[6:7]
	v_add_nc_u32_e32 v5, 0xe0, v0
	ds_load_2addr_stride64_b32 v[0:1], v4 offset1:15
	ds_load_2addr_stride64_b32 v[3:4], v5 offset1:15
	scratch_load_b32 v5, off, off offset:284 ; 4-byte Folded Reload
	v_mul_lo_u32 v2, v2, 56
	s_delay_alu instid0(VALU_DEP_1) | instskip(NEXT) | instid1(VALU_DEP_1)
	v_ashrrev_i32_e32 v6, 31, v2
	v_or_b32_e32 v6, 0, v6
	s_waitcnt lgkmcnt(0)
	v_fma_mix_f32 v7, v3, v0, 0 op_sel_hi:[0,1,0]
	v_fma_mix_f32 v8, v3, v0, 0 op_sel:[0,1,0] op_sel_hi:[0,1,0]
	s_delay_alu instid0(VALU_DEP_2) | instskip(NEXT) | instid1(VALU_DEP_2)
	v_fma_mix_f32 v0, v4, v1, v7 op_sel_hi:[0,1,0]
	v_fma_mix_f32 v1, v4, v1, v8 op_sel:[0,1,0] op_sel_hi:[0,1,0]
	s_waitcnt vmcnt(0)
	v_or_b32_e32 v5, v2, v5
	s_delay_alu instid0(VALU_DEP_1) | instskip(NEXT) | instid1(VALU_DEP_1)
	v_lshlrev_b64 v[2:3], 3, v[5:6]
	v_add_co_u32 v2, vcc_lo, s41, v2
	s_delay_alu instid0(VALU_DEP_2)
	v_add_co_ci_u32_e32 v3, vcc_lo, s59, v3, vcc_lo
	global_store_b64 v[2:3], v[0:1], off offset:384
.LBB19_220:                             ;   in Loop: Header=BB19_10 Depth=1
	s_or_b32 exec_lo, exec_lo, s6
	s_waitcnt_vscnt null, 0x0
	s_barrier
	s_branch .LBB19_426
.LBB19_221:                             ;   in Loop: Header=BB19_10 Depth=1
	scratch_load_b32 v0, off, off offset:160 ; 4-byte Folded Reload
	s_lshl_b32 s66, s89, 1
	v_cmp_gt_i32_e32 vcc_lo, s33, v178
	s_xor_b32 s5, vcc_lo, -1
	s_waitcnt vmcnt(0)
	v_add_nc_u32_e32 v1, s66, v0
	s_delay_alu instid0(VALU_DEP_1) | instskip(NEXT) | instid1(VALU_DEP_1)
	v_cmp_le_i32_e64 s4, s8, v1
	s_or_b32 s4, s4, s5
	s_delay_alu instid0(SALU_CYCLE_1) | instskip(NEXT) | instid1(SALU_CYCLE_1)
	s_and_saveexec_b32 s6, s4
	s_xor_b32 s4, exec_lo, s6
	s_cbranch_execz .LBB19_223
; %bb.222:                              ;   in Loop: Header=BB19_10 Depth=1
	ds_store_b32 v238, v206
                                        ; implicit-def: $vgpr1
.LBB19_223:                             ;   in Loop: Header=BB19_10 Depth=1
	s_and_not1_saveexec_b32 s4, s4
	s_cbranch_execz .LBB19_225
; %bb.224:                              ;   in Loop: Header=BB19_10 Depth=1
	scratch_load_b64 v[4:5], off, off offset:276 ; 8-byte Folded Reload
	s_waitcnt vmcnt(0)
	v_mad_u64_u32 v[2:3], null, v1, s51, v[4:5]
	s_delay_alu instid0(VALU_DEP_1) | instskip(NEXT) | instid1(VALU_DEP_1)
	v_ashrrev_i32_e32 v3, 31, v2
	v_lshlrev_b64 v[0:1], 3, v[2:3]
	s_delay_alu instid0(VALU_DEP_1) | instskip(NEXT) | instid1(VALU_DEP_2)
	v_add_co_u32 v0, vcc_lo, s100, v0
	v_add_co_ci_u32_e32 v1, vcc_lo, s101, v1, vcc_lo
	global_load_b64 v[0:1], v[0:1], off
	s_waitcnt vmcnt(0)
	v_cvt_f16_f32_e32 v0, v0
	v_cvt_f16_f32_e32 v1, v1
	s_delay_alu instid0(VALU_DEP_1) | instskip(NEXT) | instid1(VALU_DEP_1)
	v_pack_b32_f16 v0, v0, v1
	v_pk_mul_f16 v0, v167, v0
	ds_store_b32 v238, v0
.LBB19_225:                             ;   in Loop: Header=BB19_10 Depth=1
	s_or_b32 exec_lo, exec_lo, s4
	scratch_load_b32 v0, off, off offset:216 ; 4-byte Folded Reload
	s_waitcnt vmcnt(0)
	v_add_nc_u32_e32 v1, s66, v0
	scratch_load_b32 v0, off, off offset:220 ; 4-byte Folded Reload
	v_cmp_le_i32_e32 vcc_lo, s8, v1
	s_waitcnt vmcnt(0)
	v_or_b32_e32 v0, s86, v0
	s_delay_alu instid0(VALU_DEP_1) | instskip(NEXT) | instid1(VALU_DEP_1)
	v_cmp_le_i32_e64 s4, s33, v0
	s_or_b32 s4, vcc_lo, s4
	s_delay_alu instid0(SALU_CYCLE_1) | instskip(NEXT) | instid1(SALU_CYCLE_1)
	s_and_saveexec_b32 s6, s4
	s_xor_b32 s4, exec_lo, s6
	s_cbranch_execz .LBB19_227
; %bb.226:                              ;   in Loop: Header=BB19_10 Depth=1
	ds_store_b32 v238, v206 offset:480
                                        ; implicit-def: $vgpr1
.LBB19_227:                             ;   in Loop: Header=BB19_10 Depth=1
	s_and_not1_saveexec_b32 s4, s4
	s_cbranch_execz .LBB19_229
; %bb.228:                              ;   in Loop: Header=BB19_10 Depth=1
	scratch_load_b64 v[4:5], off, off offset:356 ; 8-byte Folded Reload
	s_waitcnt vmcnt(0)
	v_mad_u64_u32 v[2:3], null, v1, s51, v[4:5]
	s_delay_alu instid0(VALU_DEP_1) | instskip(NEXT) | instid1(VALU_DEP_1)
	v_ashrrev_i32_e32 v3, 31, v2
	v_lshlrev_b64 v[0:1], 3, v[2:3]
	s_delay_alu instid0(VALU_DEP_1) | instskip(NEXT) | instid1(VALU_DEP_2)
	v_add_co_u32 v0, vcc_lo, s100, v0
	v_add_co_ci_u32_e32 v1, vcc_lo, s101, v1, vcc_lo
	global_load_b64 v[0:1], v[0:1], off
	s_waitcnt vmcnt(0)
	v_cvt_f16_f32_e32 v0, v0
	v_cvt_f16_f32_e32 v1, v1
	s_delay_alu instid0(VALU_DEP_1) | instskip(NEXT) | instid1(VALU_DEP_1)
	v_pack_b32_f16 v0, v0, v1
	v_pk_mul_f16 v0, v167, v0
	ds_store_b32 v238, v0 offset:480
.LBB19_229:                             ;   in Loop: Header=BB19_10 Depth=1
	s_or_b32 exec_lo, exec_lo, s4
	scratch_load_b32 v0, off, off offset:224 ; 4-byte Folded Reload
	s_waitcnt vmcnt(0)
	v_add_nc_u32_e32 v1, s66, v0
	scratch_load_b32 v0, off, off offset:228 ; 4-byte Folded Reload
	v_cmp_le_i32_e32 vcc_lo, s8, v1
	s_waitcnt vmcnt(0)
	v_or_b32_e32 v0, s86, v0
	s_delay_alu instid0(VALU_DEP_1) | instskip(NEXT) | instid1(VALU_DEP_1)
	v_cmp_le_i32_e64 s4, s33, v0
	s_or_b32 s4, vcc_lo, s4
	s_delay_alu instid0(SALU_CYCLE_1) | instskip(NEXT) | instid1(SALU_CYCLE_1)
	s_and_saveexec_b32 s6, s4
	s_xor_b32 s4, exec_lo, s6
	s_cbranch_execz .LBB19_231
; %bb.230:                              ;   in Loop: Header=BB19_10 Depth=1
	ds_store_b32 v238, v206 offset:960
                                        ; implicit-def: $vgpr1
.LBB19_231:                             ;   in Loop: Header=BB19_10 Depth=1
	s_and_not1_saveexec_b32 s4, s4
	s_cbranch_execz .LBB19_233
; %bb.232:                              ;   in Loop: Header=BB19_10 Depth=1
	scratch_load_b64 v[4:5], off, off offset:364 ; 8-byte Folded Reload
	s_waitcnt vmcnt(0)
	v_mad_u64_u32 v[2:3], null, v1, s51, v[4:5]
	s_delay_alu instid0(VALU_DEP_1) | instskip(NEXT) | instid1(VALU_DEP_1)
	v_ashrrev_i32_e32 v3, 31, v2
	v_lshlrev_b64 v[0:1], 3, v[2:3]
	s_delay_alu instid0(VALU_DEP_1) | instskip(NEXT) | instid1(VALU_DEP_2)
	v_add_co_u32 v0, vcc_lo, s100, v0
	v_add_co_ci_u32_e32 v1, vcc_lo, s101, v1, vcc_lo
	global_load_b64 v[0:1], v[0:1], off
	s_waitcnt vmcnt(0)
	v_cvt_f16_f32_e32 v0, v0
	v_cvt_f16_f32_e32 v1, v1
	s_delay_alu instid0(VALU_DEP_1) | instskip(NEXT) | instid1(VALU_DEP_1)
	v_pack_b32_f16 v0, v0, v1
	v_pk_mul_f16 v0, v167, v0
	ds_store_b32 v238, v0 offset:960
.LBB19_233:                             ;   in Loop: Header=BB19_10 Depth=1
	;; [unrolled: 40-line block ×3, first 2 shown]
	s_or_b32 exec_lo, exec_lo, s4
	scratch_load_b32 v0, off, off offset:240 ; 4-byte Folded Reload
	s_waitcnt vmcnt(0)
	v_add_nc_u32_e32 v1, s66, v0
	s_delay_alu instid0(VALU_DEP_1) | instskip(SKIP_1) | instid1(SALU_CYCLE_1)
	v_cmp_le_i32_e32 vcc_lo, s8, v1
	s_or_b32 s4, vcc_lo, s5
	s_and_saveexec_b32 s5, s4
	s_delay_alu instid0(SALU_CYCLE_1)
	s_xor_b32 s4, exec_lo, s5
	s_cbranch_execz .LBB19_239
; %bb.238:                              ;   in Loop: Header=BB19_10 Depth=1
	ds_store_b32 v238, v206 offset:1920
                                        ; implicit-def: $vgpr1
.LBB19_239:                             ;   in Loop: Header=BB19_10 Depth=1
	s_and_not1_saveexec_b32 s4, s4
	s_cbranch_execz .LBB19_241
; %bb.240:                              ;   in Loop: Header=BB19_10 Depth=1
	scratch_load_b64 v[4:5], off, off offset:276 ; 8-byte Folded Reload
	s_waitcnt vmcnt(0)
	v_mad_u64_u32 v[2:3], null, v1, s51, v[4:5]
	s_delay_alu instid0(VALU_DEP_1) | instskip(NEXT) | instid1(VALU_DEP_1)
	v_ashrrev_i32_e32 v3, 31, v2
	v_lshlrev_b64 v[0:1], 3, v[2:3]
	s_delay_alu instid0(VALU_DEP_1) | instskip(NEXT) | instid1(VALU_DEP_2)
	v_add_co_u32 v0, vcc_lo, s100, v0
	v_add_co_ci_u32_e32 v1, vcc_lo, s101, v1, vcc_lo
	global_load_b64 v[0:1], v[0:1], off
	s_waitcnt vmcnt(0)
	v_cvt_f16_f32_e32 v0, v0
	v_cvt_f16_f32_e32 v1, v1
	s_delay_alu instid0(VALU_DEP_1) | instskip(NEXT) | instid1(VALU_DEP_1)
	v_pack_b32_f16 v0, v0, v1
	v_pk_mul_f16 v0, v167, v0
	ds_store_b32 v238, v0 offset:1920
.LBB19_241:                             ;   in Loop: Header=BB19_10 Depth=1
	s_or_b32 exec_lo, exec_lo, s4
	scratch_load_b32 v0, off, off offset:244 ; 4-byte Folded Reload
	s_waitcnt vmcnt(0)
	v_add_nc_u32_e32 v1, s66, v0
	scratch_load_b32 v0, off, off offset:248 ; 4-byte Folded Reload
	v_cmp_le_i32_e32 vcc_lo, s8, v1
	s_waitcnt vmcnt(0)
	v_or_b32_e32 v0, s86, v0
	s_delay_alu instid0(VALU_DEP_1) | instskip(NEXT) | instid1(VALU_DEP_1)
	v_cmp_le_i32_e64 s4, s33, v0
	s_or_b32 s4, vcc_lo, s4
	s_delay_alu instid0(SALU_CYCLE_1) | instskip(NEXT) | instid1(SALU_CYCLE_1)
	s_and_saveexec_b32 s5, s4
	s_xor_b32 s4, exec_lo, s5
	s_cbranch_execz .LBB19_243
; %bb.242:                              ;   in Loop: Header=BB19_10 Depth=1
	ds_store_b32 v238, v206 offset:2400
                                        ; implicit-def: $vgpr1
.LBB19_243:                             ;   in Loop: Header=BB19_10 Depth=1
	s_and_not1_saveexec_b32 s4, s4
	s_cbranch_execz .LBB19_245
; %bb.244:                              ;   in Loop: Header=BB19_10 Depth=1
	scratch_load_b64 v[4:5], off, off offset:380 ; 8-byte Folded Reload
	s_waitcnt vmcnt(0)
	v_mad_u64_u32 v[2:3], null, v1, s51, v[4:5]
	s_delay_alu instid0(VALU_DEP_1) | instskip(NEXT) | instid1(VALU_DEP_1)
	v_ashrrev_i32_e32 v3, 31, v2
	v_lshlrev_b64 v[0:1], 3, v[2:3]
	s_delay_alu instid0(VALU_DEP_1) | instskip(NEXT) | instid1(VALU_DEP_2)
	v_add_co_u32 v0, vcc_lo, s100, v0
	v_add_co_ci_u32_e32 v1, vcc_lo, s101, v1, vcc_lo
	global_load_b64 v[0:1], v[0:1], off
	s_waitcnt vmcnt(0)
	v_cvt_f16_f32_e32 v0, v0
	v_cvt_f16_f32_e32 v1, v1
	s_delay_alu instid0(VALU_DEP_1) | instskip(NEXT) | instid1(VALU_DEP_1)
	v_pack_b32_f16 v0, v0, v1
	v_pk_mul_f16 v0, v167, v0
	ds_store_b32 v238, v0 offset:2400
.LBB19_245:                             ;   in Loop: Header=BB19_10 Depth=1
	s_or_b32 exec_lo, exec_lo, s4
	scratch_load_b32 v0, off, off offset:252 ; 4-byte Folded Reload
	s_waitcnt vmcnt(0)
	v_add_nc_u32_e32 v1, s66, v0
	scratch_load_b32 v0, off, off offset:256 ; 4-byte Folded Reload
	v_cmp_le_i32_e32 vcc_lo, s8, v1
	s_waitcnt vmcnt(0)
	v_or_b32_e32 v0, s86, v0
	s_delay_alu instid0(VALU_DEP_1) | instskip(NEXT) | instid1(VALU_DEP_1)
	v_cmp_le_i32_e64 s4, s33, v0
	s_or_b32 s4, vcc_lo, s4
	s_delay_alu instid0(SALU_CYCLE_1) | instskip(NEXT) | instid1(SALU_CYCLE_1)
	s_and_saveexec_b32 s5, s4
	;; [unrolled: 40-line block ×3, first 2 shown]
	s_xor_b32 s4, exec_lo, s5
	s_cbranch_execz .LBB19_251
; %bb.250:                              ;   in Loop: Header=BB19_10 Depth=1
	ds_store_b32 v238, v206 offset:3360
                                        ; implicit-def: $vgpr1
.LBB19_251:                             ;   in Loop: Header=BB19_10 Depth=1
	s_and_not1_saveexec_b32 s4, s4
	s_cbranch_execz .LBB19_253
; %bb.252:                              ;   in Loop: Header=BB19_10 Depth=1
	scratch_load_b64 v[4:5], off, off offset:396 ; 8-byte Folded Reload
	s_waitcnt vmcnt(0)
	v_mad_u64_u32 v[2:3], null, v1, s51, v[4:5]
	s_delay_alu instid0(VALU_DEP_1) | instskip(NEXT) | instid1(VALU_DEP_1)
	v_ashrrev_i32_e32 v3, 31, v2
	v_lshlrev_b64 v[0:1], 3, v[2:3]
	s_delay_alu instid0(VALU_DEP_1) | instskip(NEXT) | instid1(VALU_DEP_2)
	v_add_co_u32 v0, vcc_lo, s100, v0
	v_add_co_ci_u32_e32 v1, vcc_lo, s101, v1, vcc_lo
	global_load_b64 v[0:1], v[0:1], off
	s_waitcnt vmcnt(0)
	v_cvt_f16_f32_e32 v0, v0
	v_cvt_f16_f32_e32 v1, v1
	s_delay_alu instid0(VALU_DEP_1) | instskip(NEXT) | instid1(VALU_DEP_1)
	v_pack_b32_f16 v0, v0, v1
	v_pk_mul_f16 v0, v167, v0
	ds_store_b32 v238, v0 offset:3360
.LBB19_253:                             ;   in Loop: Header=BB19_10 Depth=1
	s_or_b32 exec_lo, exec_lo, s4
	s_clause 0x1
	scratch_load_b32 v0, off, off offset:176
	scratch_load_b32 v1, off, off offset:172
	s_waitcnt vmcnt(1)
	v_or_b32_e32 v0, s86, v0
	s_waitcnt vmcnt(0)
	v_add_nc_u32_e32 v1, s66, v1
	s_delay_alu instid0(VALU_DEP_2) | instskip(NEXT) | instid1(VALU_DEP_2)
	v_cmp_gt_i32_e32 vcc_lo, s33, v0
	v_cmp_le_i32_e64 s4, s8, v1
	s_xor_b32 s5, vcc_lo, -1
	s_delay_alu instid0(VALU_DEP_1) | instid1(SALU_CYCLE_1)
	s_or_b32 s4, s4, s5
	s_delay_alu instid0(SALU_CYCLE_1) | instskip(NEXT) | instid1(SALU_CYCLE_1)
	s_and_saveexec_b32 s6, s4
	s_xor_b32 s4, exec_lo, s6
	s_cbranch_execz .LBB19_255
; %bb.254:                              ;   in Loop: Header=BB19_10 Depth=1
	ds_store_b32 v183, v206 offset:128
                                        ; implicit-def: $vgpr1
.LBB19_255:                             ;   in Loop: Header=BB19_10 Depth=1
	s_and_not1_saveexec_b32 s4, s4
	s_cbranch_execz .LBB19_257
; %bb.256:                              ;   in Loop: Header=BB19_10 Depth=1
	v_mad_u64_u32 v[2:3], null, v1, s51, v[162:163]
	s_delay_alu instid0(VALU_DEP_1) | instskip(NEXT) | instid1(VALU_DEP_1)
	v_ashrrev_i32_e32 v3, 31, v2
	v_lshlrev_b64 v[0:1], 3, v[2:3]
	s_delay_alu instid0(VALU_DEP_1) | instskip(NEXT) | instid1(VALU_DEP_2)
	v_add_co_u32 v0, vcc_lo, s100, v0
	v_add_co_ci_u32_e32 v1, vcc_lo, s101, v1, vcc_lo
	global_load_b64 v[0:1], v[0:1], off
	s_waitcnt vmcnt(0)
	v_cvt_f16_f32_e32 v0, v0
	v_cvt_f16_f32_e32 v1, v1
	s_delay_alu instid0(VALU_DEP_1) | instskip(NEXT) | instid1(VALU_DEP_1)
	v_pack_b32_f16 v0, v0, v1
	v_pk_mul_f16 v0, v167, v0
	ds_store_b32 v183, v0 offset:128
.LBB19_257:                             ;   in Loop: Header=BB19_10 Depth=1
	s_or_b32 exec_lo, exec_lo, s4
	scratch_load_b32 v0, off, off offset:180 ; 4-byte Folded Reload
	s_waitcnt vmcnt(0)
	v_add_nc_u32_e32 v1, s66, v0
	scratch_load_b32 v0, off, off offset:184 ; 4-byte Folded Reload
	v_cmp_le_i32_e32 vcc_lo, s8, v1
	s_waitcnt vmcnt(0)
	v_or_b32_e32 v0, s86, v0
	s_delay_alu instid0(VALU_DEP_1) | instskip(NEXT) | instid1(VALU_DEP_1)
	v_cmp_le_i32_e64 s4, s33, v0
	s_or_b32 s4, vcc_lo, s4
	s_delay_alu instid0(SALU_CYCLE_1) | instskip(NEXT) | instid1(SALU_CYCLE_1)
	s_and_saveexec_b32 s6, s4
	s_xor_b32 s4, exec_lo, s6
	s_cbranch_execz .LBB19_259
; %bb.258:                              ;   in Loop: Header=BB19_10 Depth=1
	ds_store_b32 v183, v206 offset:1088
                                        ; implicit-def: $vgpr1
.LBB19_259:                             ;   in Loop: Header=BB19_10 Depth=1
	s_and_not1_saveexec_b32 s4, s4
	s_cbranch_execz .LBB19_261
; %bb.260:                              ;   in Loop: Header=BB19_10 Depth=1
	scratch_load_b64 v[4:5], off, off offset:328 ; 8-byte Folded Reload
	s_waitcnt vmcnt(0)
	v_mad_u64_u32 v[2:3], null, v1, s51, v[4:5]
	s_delay_alu instid0(VALU_DEP_1) | instskip(NEXT) | instid1(VALU_DEP_1)
	v_ashrrev_i32_e32 v3, 31, v2
	v_lshlrev_b64 v[0:1], 3, v[2:3]
	s_delay_alu instid0(VALU_DEP_1) | instskip(NEXT) | instid1(VALU_DEP_2)
	v_add_co_u32 v0, vcc_lo, s100, v0
	v_add_co_ci_u32_e32 v1, vcc_lo, s101, v1, vcc_lo
	global_load_b64 v[0:1], v[0:1], off
	s_waitcnt vmcnt(0)
	v_cvt_f16_f32_e32 v0, v0
	v_cvt_f16_f32_e32 v1, v1
	s_delay_alu instid0(VALU_DEP_1) | instskip(NEXT) | instid1(VALU_DEP_1)
	v_pack_b32_f16 v0, v0, v1
	v_pk_mul_f16 v0, v167, v0
	ds_store_b32 v183, v0 offset:1088
.LBB19_261:                             ;   in Loop: Header=BB19_10 Depth=1
	s_or_b32 exec_lo, exec_lo, s4
	scratch_load_b32 v0, off, off offset:188 ; 4-byte Folded Reload
	s_waitcnt vmcnt(0)
	v_add_nc_u32_e32 v1, s66, v0
	s_delay_alu instid0(VALU_DEP_1) | instskip(SKIP_1) | instid1(SALU_CYCLE_1)
	v_cmp_le_i32_e32 vcc_lo, s8, v1
	s_or_b32 s4, vcc_lo, s5
	s_and_saveexec_b32 s5, s4
	s_delay_alu instid0(SALU_CYCLE_1)
	s_xor_b32 s4, exec_lo, s5
	s_cbranch_execz .LBB19_263
; %bb.262:                              ;   in Loop: Header=BB19_10 Depth=1
	ds_store_b32 v183, v206 offset:2048
                                        ; implicit-def: $vgpr1
.LBB19_263:                             ;   in Loop: Header=BB19_10 Depth=1
	s_and_not1_saveexec_b32 s4, s4
	s_cbranch_execz .LBB19_265
; %bb.264:                              ;   in Loop: Header=BB19_10 Depth=1
	v_mad_u64_u32 v[2:3], null, v1, s51, v[162:163]
	s_delay_alu instid0(VALU_DEP_1) | instskip(NEXT) | instid1(VALU_DEP_1)
	v_ashrrev_i32_e32 v3, 31, v2
	v_lshlrev_b64 v[0:1], 3, v[2:3]
	s_delay_alu instid0(VALU_DEP_1) | instskip(NEXT) | instid1(VALU_DEP_2)
	v_add_co_u32 v0, vcc_lo, s100, v0
	v_add_co_ci_u32_e32 v1, vcc_lo, s101, v1, vcc_lo
	global_load_b64 v[0:1], v[0:1], off
	s_waitcnt vmcnt(0)
	v_cvt_f16_f32_e32 v0, v0
	v_cvt_f16_f32_e32 v1, v1
	s_delay_alu instid0(VALU_DEP_1) | instskip(NEXT) | instid1(VALU_DEP_1)
	v_pack_b32_f16 v0, v0, v1
	v_pk_mul_f16 v0, v167, v0
	ds_store_b32 v183, v0 offset:2048
.LBB19_265:                             ;   in Loop: Header=BB19_10 Depth=1
	s_or_b32 exec_lo, exec_lo, s4
	scratch_load_b32 v0, off, off offset:192 ; 4-byte Folded Reload
	s_waitcnt vmcnt(0)
	v_add_nc_u32_e32 v1, s66, v0
	scratch_load_b32 v0, off, off offset:196 ; 4-byte Folded Reload
	v_cmp_le_i32_e32 vcc_lo, s8, v1
	s_waitcnt vmcnt(0)
	v_or_b32_e32 v0, s86, v0
	s_delay_alu instid0(VALU_DEP_1) | instskip(NEXT) | instid1(VALU_DEP_1)
	v_cmp_le_i32_e64 s4, s33, v0
	s_or_b32 s4, vcc_lo, s4
	s_delay_alu instid0(SALU_CYCLE_1) | instskip(NEXT) | instid1(SALU_CYCLE_1)
	s_and_saveexec_b32 s5, s4
	s_xor_b32 s4, exec_lo, s5
	s_cbranch_execz .LBB19_267
; %bb.266:                              ;   in Loop: Header=BB19_10 Depth=1
	ds_store_b32 v183, v206 offset:3008
                                        ; implicit-def: $vgpr1
.LBB19_267:                             ;   in Loop: Header=BB19_10 Depth=1
	s_and_not1_saveexec_b32 s4, s4
	s_cbranch_execz .LBB19_269
; %bb.268:                              ;   in Loop: Header=BB19_10 Depth=1
	scratch_load_b64 v[4:5], off, off offset:336 ; 8-byte Folded Reload
	s_waitcnt vmcnt(0)
	v_mad_u64_u32 v[2:3], null, v1, s51, v[4:5]
	s_delay_alu instid0(VALU_DEP_1) | instskip(NEXT) | instid1(VALU_DEP_1)
	v_ashrrev_i32_e32 v3, 31, v2
	v_lshlrev_b64 v[0:1], 3, v[2:3]
	s_delay_alu instid0(VALU_DEP_1) | instskip(NEXT) | instid1(VALU_DEP_2)
	v_add_co_u32 v0, vcc_lo, s100, v0
	v_add_co_ci_u32_e32 v1, vcc_lo, s101, v1, vcc_lo
	global_load_b64 v[0:1], v[0:1], off
	s_waitcnt vmcnt(0)
	v_cvt_f16_f32_e32 v0, v0
	v_cvt_f16_f32_e32 v1, v1
	s_delay_alu instid0(VALU_DEP_1) | instskip(NEXT) | instid1(VALU_DEP_1)
	v_pack_b32_f16 v0, v0, v1
	v_pk_mul_f16 v0, v167, v0
	ds_store_b32 v183, v0 offset:3008
.LBB19_269:                             ;   in Loop: Header=BB19_10 Depth=1
	s_or_b32 exec_lo, exec_lo, s4
	s_clause 0x1
	scratch_load_b32 v0, off, off offset:204
	scratch_load_b32 v1, off, off offset:200
	s_waitcnt vmcnt(1)
	v_or_b32_e32 v0, s86, v0
	s_waitcnt vmcnt(0)
	v_add_nc_u32_e32 v1, s66, v1
	s_delay_alu instid0(VALU_DEP_2) | instskip(NEXT) | instid1(VALU_DEP_2)
	v_cmp_gt_i32_e32 vcc_lo, s33, v0
	v_cmp_le_i32_e64 s4, s8, v1
	s_xor_b32 s5, vcc_lo, -1
	s_delay_alu instid0(VALU_DEP_1) | instid1(SALU_CYCLE_1)
	s_or_b32 s4, s4, s5
	s_delay_alu instid0(SALU_CYCLE_1) | instskip(NEXT) | instid1(SALU_CYCLE_1)
	s_and_saveexec_b32 s6, s4
	s_xor_b32 s4, exec_lo, s6
	s_cbranch_execz .LBB19_271
; %bb.270:                              ;   in Loop: Header=BB19_10 Depth=1
	scratch_load_b32 v0, off, off offset:152 ; 4-byte Folded Reload
                                        ; implicit-def: $vgpr1
	s_waitcnt vmcnt(0)
	ds_store_b32 v0, v206 offset:192
.LBB19_271:                             ;   in Loop: Header=BB19_10 Depth=1
	s_and_not1_saveexec_b32 s4, s4
	s_cbranch_execz .LBB19_273
; %bb.272:                              ;   in Loop: Header=BB19_10 Depth=1
	scratch_load_b64 v[4:5], off, off offset:268 ; 8-byte Folded Reload
	s_waitcnt vmcnt(0)
	v_mad_u64_u32 v[2:3], null, v1, s51, v[4:5]
	s_delay_alu instid0(VALU_DEP_1) | instskip(NEXT) | instid1(VALU_DEP_1)
	v_ashrrev_i32_e32 v3, 31, v2
	v_lshlrev_b64 v[0:1], 3, v[2:3]
	s_delay_alu instid0(VALU_DEP_1) | instskip(NEXT) | instid1(VALU_DEP_2)
	v_add_co_u32 v0, vcc_lo, s100, v0
	v_add_co_ci_u32_e32 v1, vcc_lo, s101, v1, vcc_lo
	global_load_b64 v[0:1], v[0:1], off
	s_waitcnt vmcnt(0)
	v_cvt_f16_f32_e32 v0, v0
	v_cvt_f16_f32_e32 v1, v1
	s_delay_alu instid0(VALU_DEP_1)
	v_pack_b32_f16 v0, v0, v1
	scratch_load_b32 v1, off, off offset:152 ; 4-byte Folded Reload
	v_pk_mul_f16 v0, v167, v0
	s_waitcnt vmcnt(0)
	ds_store_b32 v1, v0 offset:192
.LBB19_273:                             ;   in Loop: Header=BB19_10 Depth=1
	s_or_b32 exec_lo, exec_lo, s4
	scratch_load_b32 v0, off, off offset:208 ; 4-byte Folded Reload
	s_waitcnt vmcnt(0)
	v_add_nc_u32_e32 v1, s66, v0
	s_delay_alu instid0(VALU_DEP_1) | instskip(SKIP_1) | instid1(SALU_CYCLE_1)
	v_cmp_le_i32_e32 vcc_lo, s8, v1
	s_or_b32 s4, vcc_lo, s5
	s_and_saveexec_b32 s5, s4
	s_delay_alu instid0(SALU_CYCLE_1)
	s_xor_b32 s4, exec_lo, s5
	s_cbranch_execz .LBB19_275
; %bb.274:                              ;   in Loop: Header=BB19_10 Depth=1
	scratch_load_b32 v0, off, off offset:152 ; 4-byte Folded Reload
                                        ; implicit-def: $vgpr1
	s_waitcnt vmcnt(0)
	ds_store_b32 v0, v206 offset:2112
.LBB19_275:                             ;   in Loop: Header=BB19_10 Depth=1
	s_and_not1_saveexec_b32 s4, s4
	s_cbranch_execz .LBB19_277
; %bb.276:                              ;   in Loop: Header=BB19_10 Depth=1
	scratch_load_b64 v[4:5], off, off offset:268 ; 8-byte Folded Reload
	s_waitcnt vmcnt(0)
	v_mad_u64_u32 v[2:3], null, v1, s51, v[4:5]
	s_delay_alu instid0(VALU_DEP_1) | instskip(NEXT) | instid1(VALU_DEP_1)
	v_ashrrev_i32_e32 v3, 31, v2
	v_lshlrev_b64 v[0:1], 3, v[2:3]
	s_delay_alu instid0(VALU_DEP_1) | instskip(NEXT) | instid1(VALU_DEP_2)
	v_add_co_u32 v0, vcc_lo, s100, v0
	v_add_co_ci_u32_e32 v1, vcc_lo, s101, v1, vcc_lo
	global_load_b64 v[0:1], v[0:1], off
	s_waitcnt vmcnt(0)
	v_cvt_f16_f32_e32 v0, v0
	v_cvt_f16_f32_e32 v1, v1
	s_delay_alu instid0(VALU_DEP_1)
	v_pack_b32_f16 v0, v0, v1
	scratch_load_b32 v1, off, off offset:152 ; 4-byte Folded Reload
	v_pk_mul_f16 v0, v167, v0
	s_waitcnt vmcnt(0)
	ds_store_b32 v1, v0 offset:2112
.LBB19_277:                             ;   in Loop: Header=BB19_10 Depth=1
	s_or_b32 exec_lo, exec_lo, s4
	s_clause 0x1
	scratch_load_b32 v0, off, off offset:164
	scratch_load_b32 v1, off, off offset:212
	s_waitcnt vmcnt(0) lgkmcnt(0)
	s_waitcnt_vscnt null, 0x0
	s_barrier
	buffer_gl0_inv
	v_xor_b32_e32 v180, 16, v174
	s_cmp_lt_i32 s92, 2
	v_dual_mov_b32 v15, 0 :: v_dual_add_nc_u32 v0, v0, v1
	ds_load_b128 v[1:4], v0
	ds_load_b128 v[5:8], v0 offset:16
	s_waitcnt lgkmcnt(0)
	s_clause 0x1
	scratch_store_b128 off, v[1:4], off offset:88
	scratch_store_b128 off, v[5:8], off offset:104
	ds_load_b128 v[1:4], v0 offset:32
	ds_load_b128 v[5:8], v0 offset:48
	s_waitcnt lgkmcnt(0)
	s_clause 0x1
	scratch_store_b128 off, v[1:4], off offset:56
	scratch_store_b128 off, v[5:8], off offset:72
	ds_load_b128 v[1:4], v0 offset:64
	;; [unrolled: 6-line block ×3, first 2 shown]
	ds_load_b128 v[92:95], v0 offset:112
	ds_load_b128 v[96:99], v0 offset:128
	;; [unrolled: 1-line block ×7, first 2 shown]
	s_waitcnt lgkmcnt(0)
	s_waitcnt_vscnt null, 0x0
	s_barrier
	buffer_gl0_inv
	s_cbranch_scc1 .LBB19_282
; %bb.278:                              ;   in Loop: Header=BB19_10 Depth=1
	s_clause 0x1
	scratch_load_b32 v0, off, off offset:156
	scratch_load_b32 v3, off, off offset:468
	v_cmp_gt_i32_e32 vcc_lo, 32, v180
	s_add_i32 s67, s92, -1
	s_add_u32 s4, s97, s56
	v_mov_b32_e32 v186, 0
	s_addc_u32 s5, s98, s99
	v_dual_cndmask_b32 v2, v174, v180 :: v_dual_mov_b32 v215, 0xfeffffff
	s_add_u32 s6, s93, s95
	s_addc_u32 s7, s94, s96
	s_mov_b32 s56, s67
	v_mov_b32_e32 v17, v186
	v_dual_mov_b32 v40, 0 :: v_dual_lshlrev_b32 v205, 2, v2
	v_mov_b32_e32 v48, 0
	v_mov_b32_e32 v56, 0
	;; [unrolled: 1-line block ×3, first 2 shown]
	s_waitcnt vmcnt(1)
	v_add_nc_u32_e32 v0, s89, v0
	s_waitcnt vmcnt(0)
	v_add_co_u32 v197, vcc_lo, v3, s4
	scratch_load_b32 v3, off, off offset:472 ; 4-byte Folded Reload
	v_lshl_add_u32 v0, v0, 1, v216
	s_delay_alu instid0(VALU_DEP_1) | instskip(NEXT) | instid1(VALU_DEP_1)
	v_mul_hi_u32 v1, s34, v0
	v_dual_mov_b32 v16, 0 :: v_dual_add_nc_u32 v1, v0, v1
	v_dual_mov_b32 v19, v186 :: v_dual_mov_b32 v24, 0
	v_mov_b32_e32 v21, v186
	s_delay_alu instid0(VALU_DEP_3) | instskip(SKIP_3) | instid1(VALU_DEP_4)
	v_lshrrev_b32_e32 v1, s35, v1
	v_dual_mov_b32 v32, 0 :: v_dual_mov_b32 v23, v186
	v_mov_b32_e32 v18, v186
	v_mov_b32_e32 v20, v186
	v_mul_lo_u32 v1, v1, s8
	v_mov_b32_e32 v22, v186
	v_mov_b32_e32 v25, v186
	;; [unrolled: 1-line block ×43, first 2 shown]
	s_waitcnt vmcnt(0)
	v_add_co_ci_u32_e32 v198, vcc_lo, s5, v3, vcc_lo
	v_sub_nc_u32_e32 v3, v0, v1
	s_delay_alu instid0(VALU_DEP_1)
	v_mad_i64_i32 v[0:1], null, s58, v3, v[181:182]
	scratch_load_b32 v3, off, off offset:516 ; 4-byte Folded Reload
	s_waitcnt vmcnt(0)
	v_add_co_u32 v195, vcc_lo, v3, v0
	scratch_load_b32 v0, off, off offset:520 ; 4-byte Folded Reload
	s_waitcnt vmcnt(0)
	v_add_co_ci_u32_e32 v196, vcc_lo, v0, v1, vcc_lo
	scratch_load_b32 v0, off, off offset:492 ; 4-byte Folded Reload
	s_waitcnt vmcnt(0)
	v_add_co_u32 v199, vcc_lo, v0, s6
	scratch_load_b32 v0, off, off offset:496 ; 4-byte Folded Reload
	s_waitcnt vmcnt(0)
	v_add_co_ci_u32_e32 v200, vcc_lo, s7, v0, vcc_lo
	;; [unrolled: 6-line block ×14, first 2 shown]
	s_and_saveexec_b32 s4, s0
	s_cbranch_execz .LBB19_280
.LBB19_279:                             ;   in Loop: Header=BB19_10 Depth=1
	global_load_b32 v0, v[195:196], off
	s_waitcnt vmcnt(0)
	ds_store_b32 v169, v0 offset:7680
.LBB19_280:                             ;   Parent Loop BB19_10 Depth=1
                                        ; =>  This Inner Loop Header: Depth=2
	s_or_b32 exec_lo, exec_lo, s4
	global_load_b128 v[1:4], v[199:200], off
	v_add_co_u32 v0, vcc_lo, v218, v175
	v_mov_b32_e32 v207, v206
	v_mov_b32_e32 v208, v206
	;; [unrolled: 1-line block ×7, first 2 shown]
	v_cmp_eq_u32_e64 s5, 0, v216
	v_cmp_eq_u32_e64 s6, 1, v216
	s_add_i32 s56, s56, -1
	s_delay_alu instid0(SALU_CYCLE_1)
	s_cmp_lg_u32 s56, 0
	s_waitcnt vmcnt(0)
	ds_store_b128 v222, v[1:4]
	v_add_co_ci_u32_e32 v1, vcc_lo, 0, v177, vcc_lo
	v_add_co_u32 v4, vcc_lo, v184, v175
	v_add_co_ci_u32_e32 v5, vcc_lo, 0, v226, vcc_lo
	global_load_b128 v[0:3], v[0:1], off
	global_load_b128 v[4:7], v[4:5], off
	s_waitcnt vmcnt(1)
	ds_store_b128 v227, v[0:3]
	s_waitcnt vmcnt(0)
	ds_store_b128 v228, v[4:7]
	v_add_co_u32 v0, vcc_lo, v217, v129
	v_add_co_ci_u32_e32 v1, vcc_lo, 0, v225, vcc_lo
	v_add_co_u32 v4, vcc_lo, v237, v129
	v_add_co_ci_u32_e32 v5, vcc_lo, 0, v239, vcc_lo
	global_load_b128 v[0:3], v[0:1], off
	global_load_b128 v[4:7], v[4:5], off
	s_waitcnt vmcnt(1)
	ds_store_b128 v250, v[0:3]
	s_waitcnt vmcnt(0)
	ds_store_b128 v173, v[4:7]
	v_add_co_u32 v0, vcc_lo, v242, v129
	v_add_co_ci_u32_e32 v1, vcc_lo, 0, v244, vcc_lo
	v_add_co_u32 v4, vcc_lo, v245, v129
	v_add_co_ci_u32_e32 v5, vcc_lo, 0, v248, vcc_lo
	global_load_b128 v[0:3], v[0:1], off
	global_load_b128 v[4:7], v[4:5], off
	s_waitcnt vmcnt(1)
	ds_store_b128 v166, v[0:3]
	s_waitcnt vmcnt(0)
	ds_store_b128 v164, v[4:7]
	s_waitcnt lgkmcnt(0)
	s_barrier
	buffer_gl0_inv
	ds_load_b128 v[120:123], v230
	ds_load_b128 v[124:127], v230 offset:16
	s_clause 0x1
	scratch_load_b128 v[64:67], off, off offset:88
	scratch_load_b128 v[68:71], off, off offset:104
	v_dual_mov_b32 v0, v206 :: v_dual_mov_b32 v1, v207
	v_dual_mov_b32 v2, v208 :: v_dual_mov_b32 v3, v209
	;; [unrolled: 1-line block ×4, first 2 shown]
	s_waitcnt vmcnt(0) lgkmcnt(0)
	s_delay_alu instid0(VALU_DEP_1)
	v_wmma_f32_16x16x16_f16 v[0:7], v[120:127], v[64:71], v[0:7]
	ds_load_b128 v[120:123], v230 offset:32
	ds_load_b128 v[124:127], v230 offset:48
	s_clause 0x1
	scratch_load_b128 v[64:67], off, off offset:56
	scratch_load_b128 v[68:71], off, off offset:72
	s_waitcnt vmcnt(0) lgkmcnt(0)
	v_wmma_f32_16x16x16_f16 v[0:7], v[120:127], v[64:71], v[0:7]
	ds_load_b128 v[120:123], v230 offset:64
	ds_load_b128 v[124:127], v230 offset:80
	s_clause 0x1
	scratch_load_b128 v[64:67], off, off offset:120
	scratch_load_b128 v[68:71], off, off offset:136
	s_waitcnt vmcnt(0) lgkmcnt(0)
	v_wmma_f32_16x16x16_f16 v[0:7], v[120:127], v[64:71], v[0:7]
	ds_load_b128 v[120:123], v230 offset:96
	ds_load_b128 v[124:127], v230 offset:112
	s_waitcnt lgkmcnt(0)
	v_wmma_f32_16x16x16_f16 v[0:7], v[120:127], v[88:95], v[0:7]
	ds_load_b128 v[120:123], v230 offset:128
	ds_load_b128 v[124:127], v230 offset:144
	s_waitcnt lgkmcnt(0)
	v_wmma_f32_16x16x16_f16 v[0:7], v[120:127], v[96:103], v[0:7]
	ds_load_b128 v[120:123], v230 offset:160
	ds_load_b128 v[124:127], v230 offset:176
	s_waitcnt lgkmcnt(0)
	v_wmma_f32_16x16x16_f16 v[0:7], v[120:127], v[104:111], v[0:7]
	ds_load_b128 v[120:123], v230 offset:192
	ds_load_b128 v[124:127], v230 offset:208
	s_waitcnt lgkmcnt(0)
	s_barrier
	buffer_gl0_inv
	ds_load_u16 v64, v223 offset:7680
	ds_load_u16 v65, v223 offset:7684
	;; [unrolled: 1-line block ×8, first 2 shown]
	s_waitcnt lgkmcnt(7)
	v_cvt_f32_f16_e32 v64, v64
	s_waitcnt lgkmcnt(6)
	v_cvt_f32_f16_e32 v65, v65
	;; [unrolled: 2-line block ×3, first 2 shown]
	v_wmma_f32_16x16x16_f16 v[0:7], v[120:127], v[112:119], v[0:7]
	s_waitcnt lgkmcnt(4)
	v_cvt_f32_f16_e32 v67, v67
	s_waitcnt lgkmcnt(2)
	v_cvt_f32_f16_e32 v69, v69
	s_waitcnt lgkmcnt(1)
	v_cvt_f32_f16_e32 v70, v70
	v_cvt_f32_f16_e32 v68, v68
	v_dual_add_f32 v72, v0, v64 :: v_dual_add_f32 v73, v1, v65
	v_dual_add_f32 v74, v2, v66 :: v_dual_add_f32 v75, v3, v67
	global_load_b128 v[64:67], v[197:198], off
	v_dual_add_f32 v3, 0x40051340, v72 :: v_dual_add_f32 v2, v5, v69
	v_add_co_u32 v5, vcc_lo, v255, v175
	v_add_f32_e32 v0, v6, v70
	v_add_co_ci_u32_e32 v6, vcc_lo, 0, v176, vcc_lo
	v_add_f32_e32 v4, v4, v68
	v_add_co_u32 v68, vcc_lo, v168, v175
	s_waitcnt lgkmcnt(0)
	v_cvt_f32_f16_e32 v71, v71
	v_add_co_ci_u32_e32 v69, vcc_lo, 0, v182, vcc_lo
	s_delay_alu instid0(VALU_DEP_2)
	v_add_f32_e32 v1, v7, v71
	s_waitcnt vmcnt(0)
	ds_store_b128 v222, v[64:67]
	global_load_b128 v[64:67], v[5:6], off
	global_load_b128 v[68:71], v[68:69], off
	v_add_co_u32 v5, vcc_lo, v185, v129
	v_add_co_ci_u32_e32 v6, vcc_lo, 0, v128, vcc_lo
	s_waitcnt vmcnt(1)
	ds_store_b128 v227, v[64:67]
	s_waitcnt vmcnt(0)
	ds_store_b128 v228, v[68:71]
	v_add_co_u32 v68, vcc_lo, v171, v129
	v_add_co_ci_u32_e32 v69, vcc_lo, 0, v170, vcc_lo
	global_load_b128 v[64:67], v[5:6], off
	global_load_b128 v[68:71], v[68:69], off
	v_add_co_u32 v5, vcc_lo, v214, v129
	v_add_co_ci_u32_e32 v6, vcc_lo, 0, v163, vcc_lo
	s_waitcnt vmcnt(1)
	ds_store_b128 v250, v[64:67]
	s_waitcnt vmcnt(0)
	ds_store_b128 v173, v[68:71]
	v_add_co_u32 v68, vcc_lo, v178, v129
	v_add_co_ci_u32_e32 v69, vcc_lo, 0, v194, vcc_lo
	global_load_b128 v[64:67], v[5:6], off
	global_load_b128 v[68:71], v[68:69], off
	v_dual_add_f32 v5, 0x40051340, v73 :: v_dual_add_f32 v6, 0x40051340, v75
	s_waitcnt vmcnt(1)
	ds_store_b128 v166, v[64:67]
	s_waitcnt vmcnt(0)
	ds_store_b128 v164, v[68:71]
	v_max3_f32 v3, v215, v3, v5
	v_add_f32_e32 v5, 0x40051340, v74
	s_waitcnt lgkmcnt(0)
	s_barrier
	buffer_gl0_inv
	v_max3_f32 v3, v3, v5, v6
	v_dual_add_f32 v5, 0x40051340, v4 :: v_dual_add_f32 v6, 0x40051340, v2
	s_delay_alu instid0(VALU_DEP_1) | instskip(SKIP_1) | instid1(VALU_DEP_1)
	v_max3_f32 v3, v3, v5, v6
	v_dual_add_f32 v5, 0x40051340, v0 :: v_dual_add_f32 v6, 0x40051340, v1
	v_max3_f32 v3, v3, v5, v6
	ds_bpermute_b32 v5, v205, v3
	s_waitcnt lgkmcnt(0)
	v_max_f32_e32 v5, v5, v5
	s_delay_alu instid0(VALU_DEP_1) | instskip(NEXT) | instid1(VALU_DEP_1)
	v_max_f32_e32 v252, v3, v5
	v_sub_f32_e32 v3, v73, v252
	s_delay_alu instid0(VALU_DEP_1) | instskip(SKIP_2) | instid1(VALU_DEP_3)
	v_dual_mul_f32 v5, 0x3fb8aa3b, v3 :: v_dual_sub_f32 v2, v2, v252
	v_sub_f32_e32 v4, v4, v252
	v_sub_f32_e32 v0, v0, v252
	v_fma_f32 v6, 0x3fb8aa3b, v3, -v5
	v_rndne_f32_e32 v7, v5
	s_delay_alu instid0(VALU_DEP_2) | instskip(NEXT) | instid1(VALU_DEP_2)
	v_fmac_f32_e32 v6, 0x32a5705f, v3
	v_sub_f32_e32 v5, v5, v7
	v_cvt_i32_f32_e32 v7, v7
	s_delay_alu instid0(VALU_DEP_2) | instskip(NEXT) | instid1(VALU_DEP_1)
	v_dual_add_f32 v5, v5, v6 :: v_dual_sub_f32 v6, v72, v252
	v_mul_f32_e32 v64, 0x3fb8aa3b, v6
	v_cmp_ngt_f32_e32 vcc_lo, 0xc2ce8ed0, v3
	v_cmp_ngt_f32_e64 s4, 0xc2ce8ed0, v6
	s_delay_alu instid0(VALU_DEP_3) | instskip(SKIP_1) | instid1(VALU_DEP_2)
	v_fma_f32 v65, 0x3fb8aa3b, v6, -v64
	v_rndne_f32_e32 v66, v64
	v_fmac_f32_e32 v65, 0x32a5705f, v6
	s_delay_alu instid0(VALU_DEP_2) | instskip(NEXT) | instid1(VALU_DEP_1)
	v_sub_f32_e32 v64, v64, v66
	v_add_f32_e32 v64, v64, v65
	v_exp_f32_e32 v5, v5
	s_waitcnt_depctr 0xfff
	v_ldexp_f32 v5, v5, v7
	v_exp_f32_e32 v7, v64
	v_cvt_i32_f32_e32 v64, v66
	s_delay_alu instid0(VALU_DEP_2)
	v_cndmask_b32_e32 v5, 0, v5, vcc_lo
	v_cmp_nlt_f32_e32 vcc_lo, 0x42b17218, v3
	s_waitcnt_depctr 0xfff
	v_ldexp_f32 v7, v7, v64
	v_cndmask_b32_e32 v5, 0x7f800000, v5, vcc_lo
	v_cmp_eq_u32_e32 vcc_lo, 1, v179
	v_sub_f32_e32 v1, v1, v252
	s_delay_alu instid0(VALU_DEP_4)
	v_cndmask_b32_e64 v3, 0, v7, s4
	v_cmp_nlt_f32_e64 s4, 0x42b17218, v6
	ds_bpermute_b32 v64, v205, v5
	v_cndmask_b32_e64 v3, 0x7f800000, v3, s4
	v_cmp_eq_u32_e64 s4, 0, v179
	ds_bpermute_b32 v6, v205, v3
	s_waitcnt lgkmcnt(0)
	v_cndmask_b32_e32 v7, v3, v6, vcc_lo
	v_cndmask_b32_e64 v6, v3, v6, s4
	s_delay_alu instid0(VALU_DEP_2) | instskip(NEXT) | instid1(VALU_DEP_2)
	v_cndmask_b32_e64 v66, v7, v5, s6
	v_cndmask_b32_e64 v65, v6, v5, s5
	v_cvt_f16_f32_e32 v6, v6
	v_cvt_f16_f32_e32 v7, v7
	s_delay_alu instid0(VALU_DEP_3) | instskip(SKIP_1) | instid1(VALU_DEP_3)
	v_cndmask_b32_e64 v65, v65, v64, s4
	v_cndmask_b32_e32 v64, v66, v64, vcc_lo
	v_pack_b32_f16 v120, v6, v7
	v_sub_f32_e32 v6, v74, v252
	s_delay_alu instid0(VALU_DEP_4) | instskip(NEXT) | instid1(VALU_DEP_4)
	v_cvt_f16_f32_e32 v66, v65
	v_cvt_f16_f32_e32 v67, v64
	s_delay_alu instid0(VALU_DEP_3) | instskip(SKIP_1) | instid1(VALU_DEP_3)
	v_mul_f32_e32 v7, 0x3fb8aa3b, v6
	v_cmp_ngt_f32_e64 s7, 0xc2ce8ed0, v6
	v_pack_b32_f16 v121, v66, v67
	s_delay_alu instid0(VALU_DEP_3) | instskip(SKIP_1) | instid1(VALU_DEP_1)
	v_fma_f32 v66, 0x3fb8aa3b, v6, -v7
	v_rndne_f32_e32 v67, v7
	v_dual_fmac_f32 v66, 0x32a5705f, v6 :: v_dual_sub_f32 v7, v7, v67
	s_delay_alu instid0(VALU_DEP_1) | instskip(SKIP_1) | instid1(VALU_DEP_2)
	v_add_f32_e32 v7, v7, v66
	v_cvt_i32_f32_e32 v66, v67
	v_exp_f32_e32 v7, v7
	s_waitcnt_depctr 0xfff
	v_ldexp_f32 v7, v7, v66
	s_delay_alu instid0(VALU_DEP_1) | instskip(SKIP_1) | instid1(VALU_DEP_1)
	v_cndmask_b32_e64 v7, 0, v7, s7
	v_cmp_nlt_f32_e64 s7, 0x42b17218, v6
	v_cndmask_b32_e64 v7, 0x7f800000, v7, s7
	s_delay_alu instid0(VALU_DEP_1)
	v_cndmask_b32_e64 v6, v64, v7, s6
	v_cndmask_b32_e64 v64, v65, v7, s5
	ds_bpermute_b32 v65, v205, v7
	s_waitcnt lgkmcnt(0)
	v_cndmask_b32_e64 v64, v64, v65, s4
	v_cndmask_b32_e32 v6, v6, v65, vcc_lo
	s_delay_alu instid0(VALU_DEP_2) | instskip(NEXT) | instid1(VALU_DEP_2)
	v_cvt_f16_f32_e32 v65, v64
	v_cvt_f16_f32_e32 v66, v6
	s_delay_alu instid0(VALU_DEP_1) | instskip(SKIP_1) | instid1(VALU_DEP_1)
	v_pack_b32_f16 v122, v65, v66
	v_sub_f32_e32 v65, v75, v252
	v_mul_f32_e32 v66, 0x3fb8aa3b, v65
	v_cmp_ngt_f32_e64 s7, 0xc2ce8ed0, v65
	s_delay_alu instid0(VALU_DEP_2) | instskip(SKIP_1) | instid1(VALU_DEP_1)
	v_fma_f32 v67, 0x3fb8aa3b, v65, -v66
	v_rndne_f32_e32 v68, v66
	v_dual_fmac_f32 v67, 0x32a5705f, v65 :: v_dual_sub_f32 v66, v66, v68
	s_delay_alu instid0(VALU_DEP_1) | instskip(SKIP_1) | instid1(VALU_DEP_2)
	v_dual_add_f32 v3, v3, v5 :: v_dual_add_f32 v66, v66, v67
	v_cvt_i32_f32_e32 v67, v68
	v_add_f32_e32 v3, v7, v3
	s_delay_alu instid0(VALU_DEP_3) | instskip(SKIP_2) | instid1(VALU_DEP_1)
	v_exp_f32_e32 v66, v66
	s_waitcnt_depctr 0xfff
	v_ldexp_f32 v66, v66, v67
	v_cndmask_b32_e64 v66, 0, v66, s7
	v_cmp_nlt_f32_e64 s7, 0x42b17218, v65
	s_delay_alu instid0(VALU_DEP_1)
	v_cndmask_b32_e64 v181, 0x7f800000, v66, s7
	v_cmp_ngt_f32_e64 s7, 0xc2ce8ed0, v4
	ds_bpermute_b32 v65, v205, v181
	v_cndmask_b32_e64 v6, v6, v181, s6
	v_cndmask_b32_e64 v64, v64, v181, s5
	v_add_f32_e32 v3, v181, v3
	s_waitcnt lgkmcnt(0)
	s_delay_alu instid0(VALU_DEP_2) | instskip(SKIP_1) | instid1(VALU_DEP_2)
	v_cndmask_b32_e64 v64, v64, v65, s4
	v_cndmask_b32_e32 v6, v6, v65, vcc_lo
	v_cvt_f16_f32_e32 v65, v64
	s_delay_alu instid0(VALU_DEP_2) | instskip(NEXT) | instid1(VALU_DEP_1)
	v_cvt_f16_f32_e32 v66, v6
	v_pack_b32_f16 v123, v65, v66
	v_mul_f32_e32 v65, 0x3fb8aa3b, v4
	s_delay_alu instid0(VALU_DEP_1) | instskip(SKIP_1) | instid1(VALU_DEP_1)
	v_fma_f32 v66, 0x3fb8aa3b, v4, -v65
	v_rndne_f32_e32 v67, v65
	v_dual_fmac_f32 v66, 0x32a5705f, v4 :: v_dual_sub_f32 v65, v65, v67
	s_delay_alu instid0(VALU_DEP_1) | instskip(SKIP_1) | instid1(VALU_DEP_2)
	v_add_f32_e32 v65, v65, v66
	v_cvt_i32_f32_e32 v66, v67
	v_exp_f32_e32 v65, v65
	s_waitcnt_depctr 0xfff
	v_ldexp_f32 v65, v65, v66
	s_delay_alu instid0(VALU_DEP_1) | instskip(SKIP_1) | instid1(VALU_DEP_1)
	v_cndmask_b32_e64 v65, 0, v65, s7
	v_cmp_nlt_f32_e64 s7, 0x42b17218, v4
	v_cndmask_b32_e64 v4, 0x7f800000, v65, s7
	ds_bpermute_b32 v65, v205, v4
	v_cndmask_b32_e64 v6, v6, v4, s6
	v_cndmask_b32_e64 v64, v64, v4, s5
	v_add_f32_e32 v3, v4, v3
	s_waitcnt lgkmcnt(0)
	s_delay_alu instid0(VALU_DEP_2) | instskip(SKIP_1) | instid1(VALU_DEP_2)
	v_cndmask_b32_e64 v64, v64, v65, s4
	v_cndmask_b32_e32 v6, v6, v65, vcc_lo
	v_cvt_f16_f32_e32 v65, v64
	s_delay_alu instid0(VALU_DEP_2) | instskip(NEXT) | instid1(VALU_DEP_1)
	v_cvt_f16_f32_e32 v66, v6
	v_pack_b32_f16 v124, v65, v66
	v_mul_f32_e32 v65, 0x3fb8aa3b, v2
	s_delay_alu instid0(VALU_DEP_1) | instskip(SKIP_1) | instid1(VALU_DEP_1)
	v_fma_f32 v66, 0x3fb8aa3b, v2, -v65
	v_rndne_f32_e32 v67, v65
	v_dual_sub_f32 v65, v65, v67 :: v_dual_fmac_f32 v66, 0x32a5705f, v2
	v_cmp_ngt_f32_e64 s7, 0xc2ce8ed0, v2
	s_delay_alu instid0(VALU_DEP_2) | instskip(SKIP_1) | instid1(VALU_DEP_2)
	v_add_f32_e32 v65, v65, v66
	v_cvt_i32_f32_e32 v66, v67
	v_exp_f32_e32 v65, v65
	s_waitcnt_depctr 0xfff
	v_ldexp_f32 v65, v65, v66
	s_delay_alu instid0(VALU_DEP_1) | instskip(SKIP_1) | instid1(VALU_DEP_1)
	v_cndmask_b32_e64 v65, 0, v65, s7
	v_cmp_nlt_f32_e64 s7, 0x42b17218, v2
	v_cndmask_b32_e64 v2, 0x7f800000, v65, s7
	v_cmp_ngt_f32_e64 s7, 0xc2ce8ed0, v0
	ds_bpermute_b32 v65, v205, v2
	v_cndmask_b32_e64 v6, v6, v2, s6
	v_cndmask_b32_e64 v64, v64, v2, s5
	v_add_f32_e32 v2, v2, v3
	s_waitcnt lgkmcnt(0)
	s_delay_alu instid0(VALU_DEP_2) | instskip(SKIP_1) | instid1(VALU_DEP_2)
	v_cndmask_b32_e64 v64, v64, v65, s4
	v_cndmask_b32_e32 v6, v6, v65, vcc_lo
	v_cvt_f16_f32_e32 v65, v64
	s_delay_alu instid0(VALU_DEP_2) | instskip(NEXT) | instid1(VALU_DEP_1)
	v_cvt_f16_f32_e32 v66, v6
	v_pack_b32_f16 v125, v65, v66
	v_mul_f32_e32 v65, 0x3fb8aa3b, v0
	s_delay_alu instid0(VALU_DEP_1) | instskip(SKIP_1) | instid1(VALU_DEP_1)
	v_fma_f32 v66, 0x3fb8aa3b, v0, -v65
	v_rndne_f32_e32 v67, v65
	v_dual_fmac_f32 v66, 0x32a5705f, v0 :: v_dual_sub_f32 v65, v65, v67
	s_delay_alu instid0(VALU_DEP_1) | instskip(SKIP_1) | instid1(VALU_DEP_2)
	v_add_f32_e32 v65, v65, v66
	v_cvt_i32_f32_e32 v66, v67
	v_exp_f32_e32 v65, v65
	s_waitcnt_depctr 0xfff
	v_ldexp_f32 v65, v65, v66
	s_delay_alu instid0(VALU_DEP_1) | instskip(SKIP_1) | instid1(VALU_DEP_1)
	v_cndmask_b32_e64 v65, 0, v65, s7
	v_cmp_nlt_f32_e64 s7, 0x42b17218, v0
	v_cndmask_b32_e64 v0, 0x7f800000, v65, s7
	v_cmp_ngt_f32_e64 s7, 0xc2ce8ed0, v1
	ds_bpermute_b32 v65, v205, v0
	v_cndmask_b32_e64 v6, v6, v0, s6
	v_cndmask_b32_e64 v64, v64, v0, s5
	v_add_f32_e32 v0, v0, v2
	s_waitcnt lgkmcnt(0)
	s_delay_alu instid0(VALU_DEP_2) | instskip(SKIP_1) | instid1(VALU_DEP_2)
	v_cndmask_b32_e64 v64, v64, v65, s4
	v_cndmask_b32_e32 v6, v6, v65, vcc_lo
	v_cvt_f16_f32_e32 v65, v64
	s_delay_alu instid0(VALU_DEP_2) | instskip(NEXT) | instid1(VALU_DEP_1)
	v_cvt_f16_f32_e32 v66, v6
	v_pack_b32_f16 v126, v65, v66
	v_mul_f32_e32 v65, 0x3fb8aa3b, v1
	s_delay_alu instid0(VALU_DEP_1) | instskip(SKIP_1) | instid1(VALU_DEP_1)
	v_fma_f32 v66, 0x3fb8aa3b, v1, -v65
	v_rndne_f32_e32 v67, v65
	v_dual_fmac_f32 v66, 0x32a5705f, v1 :: v_dual_sub_f32 v65, v65, v67
	s_delay_alu instid0(VALU_DEP_1) | instskip(SKIP_1) | instid1(VALU_DEP_2)
	v_add_f32_e32 v65, v65, v66
	v_cvt_i32_f32_e32 v66, v67
	v_exp_f32_e32 v65, v65
	s_waitcnt_depctr 0xfff
	v_ldexp_f32 v65, v65, v66
	s_delay_alu instid0(VALU_DEP_1) | instskip(SKIP_1) | instid1(VALU_DEP_1)
	v_cndmask_b32_e64 v65, 0, v65, s7
	v_cmp_nlt_f32_e64 s7, 0x42b17218, v1
	v_cndmask_b32_e64 v1, 0x7f800000, v65, s7
	ds_bpermute_b32 v65, v205, v1
	v_cndmask_b32_e64 v6, v6, v1, s6
	v_cndmask_b32_e64 v64, v64, v1, s5
	s_waitcnt lgkmcnt(0)
	s_delay_alu instid0(VALU_DEP_1) | instskip(NEXT) | instid1(VALU_DEP_3)
	v_cndmask_b32_e64 v64, v64, v65, s4
	v_cndmask_b32_e32 v6, v6, v65, vcc_lo
	s_delay_alu instid0(VALU_DEP_2) | instskip(NEXT) | instid1(VALU_DEP_2)
	v_cvt_f16_f32_e32 v64, v64
	v_cvt_f16_f32_e32 v6, v6
	s_delay_alu instid0(VALU_DEP_1) | instskip(SKIP_1) | instid1(VALU_DEP_1)
	v_pack_b32_f16 v127, v64, v6
	v_sub_f32_e32 v6, v215, v252
	v_mul_f32_e32 v64, 0x3fb8aa3b, v6
	v_cmp_ngt_f32_e32 vcc_lo, 0xc2ce8ed0, v6
	s_delay_alu instid0(VALU_DEP_2) | instskip(SKIP_1) | instid1(VALU_DEP_2)
	v_fma_f32 v65, 0x3fb8aa3b, v6, -v64
	v_rndne_f32_e32 v66, v64
	v_fmac_f32_e32 v65, 0x32a5705f, v6
	s_delay_alu instid0(VALU_DEP_2) | instskip(NEXT) | instid1(VALU_DEP_1)
	v_sub_f32_e32 v64, v64, v66
	v_add_f32_e32 v64, v64, v65
	v_cvt_i32_f32_e32 v65, v66
	s_delay_alu instid0(VALU_DEP_2) | instskip(SKIP_2) | instid1(VALU_DEP_1)
	v_exp_f32_e32 v64, v64
	s_waitcnt_depctr 0xfff
	v_ldexp_f32 v64, v64, v65
	v_cndmask_b32_e32 v64, 0, v64, vcc_lo
	v_cmp_nlt_f32_e32 vcc_lo, 0x42b17218, v6
	s_delay_alu instid0(VALU_DEP_2) | instskip(SKIP_1) | instid1(VALU_DEP_2)
	v_cndmask_b32_e32 v64, 0x7f800000, v64, vcc_lo
	v_cmp_le_f32_e32 vcc_lo, 0xc1a00000, v6
	v_cndmask_b32_e32 v6, 0, v64, vcc_lo
	ds_load_u16 v132, v203 offset:960
	ds_load_u16 v133, v203 offset:1440
	;; [unrolled: 1-line block ×34, first 2 shown]
	ds_load_u16 v130, v203
	ds_load_u16 v138, v203 offset:32
	ds_load_u16 v146, v203 offset:64
	;; [unrolled: 1-line block ×17, first 2 shown]
	v_add_co_u32 v195, vcc_lo, v195, 64
	v_add_co_ci_u32_e32 v196, vcc_lo, 0, v196, vcc_lo
	v_mul_f32_e32 v59, v59, v6
	v_add_co_u32 v255, vcc_lo, v255, s60
	v_add_co_ci_u32_e32 v176, vcc_lo, s61, v176, vcc_lo
	v_add_co_u32 v168, vcc_lo, v168, s60
	v_add_co_ci_u32_e32 v182, vcc_lo, s61, v182, vcc_lo
	;; [unrolled: 2-line block ×3, first 2 shown]
	v_add_co_u32 v171, vcc_lo, v171, s60
	s_waitcnt lgkmcnt(49)
	ds_load_u16_d16_hi v140, v203 offset:1232
	s_waitcnt lgkmcnt(49)
	ds_load_u16_d16_hi v141, v203 offset:1712
	ds_load_u16 v134, v203 offset:1920
	s_waitcnt lgkmcnt(50)
	ds_load_u16_d16_hi v142, v203 offset:2192
	ds_load_u16 v135, v203 offset:2400
	;; [unrolled: 3-line block ×4, first 2 shown]
	s_waitcnt lgkmcnt(53)
	ds_load_u16_d16_hi v145, v203 offset:3632
	s_waitcnt lgkmcnt(18)
	ds_load_u16_d16_hi v81, v203 offset:912
	ds_load_u16_d16_hi v132, v203 offset:1200
	;; [unrolled: 1-line block ×6, first 2 shown]
	s_waitcnt lgkmcnt(23)
	ds_load_u16_d16_hi v82, v203 offset:1392
	ds_load_u16_d16_hi v133, v203 offset:1680
	;; [unrolled: 1-line block ×6, first 2 shown]
	s_waitcnt lgkmcnt(28)
	ds_load_u16_d16_hi v83, v203 offset:1872
	v_mul_f32_e32 v56, v56, v6
	v_add_co_ci_u32_e32 v170, vcc_lo, s61, v170, vcc_lo
	v_add_co_u32 v214, vcc_lo, v214, s60
	v_add_co_ci_u32_e32 v163, vcc_lo, s61, v163, vcc_lo
	v_add_co_u32 v178, vcc_lo, v178, s60
	s_waitcnt lgkmcnt(20)
	ds_load_u16_d16_hi v134, v203 offset:2160
	ds_load_u16_d16_hi v150, v203 offset:2224
	ds_load_u16_d16_hi v158, v203 offset:2256
	ds_load_u16_d16_hi v68, v203 offset:2288
	ds_load_u16_d16_hi v76, v203 offset:2320
	ds_load_u16_d16_hi v84, v203 offset:2352
	s_waitcnt lgkmcnt(24)
	ds_load_u16_d16_hi v135, v203 offset:2640
	ds_load_u16_d16_hi v151, v203 offset:2704
	ds_load_u16_d16_hi v159, v203 offset:2736
	ds_load_u16_d16_hi v69, v203 offset:2768
	ds_load_u16_d16_hi v77, v203 offset:2800
	ds_load_u16_d16_hi v85, v203 offset:2832
	;; [unrolled: 7-line block ×3, first 2 shown]
	s_waitcnt lgkmcnt(32)
	ds_load_u16_d16_hi v137, v203 offset:3600
	ds_load_u16_d16_hi v131, v203 offset:720
	;; [unrolled: 1-line block ×3, first 2 shown]
	v_mul_f32_e32 v58, v58, v6
	ds_load_u16_d16_hi v138, v203 offset:272
	ds_load_u16_d16_hi v146, v203 offset:304
	;; [unrolled: 1-line block ×16, first 2 shown]
	v_add_co_ci_u32_e32 v194, vcc_lo, s61, v194, vcc_lo
	v_add_co_u32 v199, vcc_lo, v199, s62
	v_add_co_ci_u32_e32 v200, vcc_lo, s63, v200, vcc_lo
	v_mul_f32_e32 v62, v62, v6
	v_add_co_u32 v218, vcc_lo, v218, s62
	v_add_co_ci_u32_e32 v177, vcc_lo, s63, v177, vcc_lo
	v_add_co_u32 v184, vcc_lo, v184, s62
	v_mul_f32_e32 v61, v61, v6
	v_add_co_ci_u32_e32 v226, vcc_lo, s63, v226, vcc_lo
	v_add_co_u32 v217, vcc_lo, v217, s62
	v_add_co_ci_u32_e32 v225, vcc_lo, s63, v225, vcc_lo
	v_add_co_u32 v237, vcc_lo, v237, s62
	v_mul_f32_e32 v57, v57, v6
	v_mul_f32_e32 v60, v60, v6
	;; [unrolled: 1-line block ×51, first 2 shown]
	v_add_co_ci_u32_e32 v239, vcc_lo, s63, v239, vcc_lo
	v_add_co_u32 v242, vcc_lo, v242, s62
	v_add_co_ci_u32_e32 v244, vcc_lo, s63, v244, vcc_lo
	s_waitcnt lgkmcnt(16)
	v_wmma_f32_16x16x16_f16 v[56:63], v[130:137], v[120:127], v[56:63]
	s_waitcnt lgkmcnt(4)
	v_wmma_f32_16x16x16_f16 v[48:55], v[138:145], v[120:127], v[48:55]
	;; [unrolled: 2-line block ×6, first 2 shown]
	v_wmma_f32_16x16x16_f16 v[8:15], v[80:87], v[120:127], v[8:15]
	v_add_f32_e32 v120, v1, v0
	v_add_co_u32 v197, vcc_lo, v197, s60
	v_add_co_ci_u32_e32 v198, vcc_lo, s61, v198, vcc_lo
	v_add_co_u32 v245, vcc_lo, v245, s62
	s_delay_alu instid0(VALU_DEP_4)
	v_fmac_f32_e32 v120, v186, v6
	v_add_co_ci_u32_e32 v248, vcc_lo, s63, v248, vcc_lo
	s_barrier
	buffer_gl0_inv
	s_cbranch_scc0 .LBB19_283
; %bb.281:                              ;   in Loop: Header=BB19_280 Depth=2
	v_mov_b32_e32 v186, v120
	v_mov_b32_e32 v215, v252
	s_and_saveexec_b32 s4, s0
	s_cbranch_execnz .LBB19_279
	s_branch .LBB19_280
.LBB19_282:                             ;   in Loop: Header=BB19_10 Depth=1
	v_dual_mov_b32 v14, 0 :: v_dual_mov_b32 v13, 0
	v_dual_mov_b32 v12, 0 :: v_dual_mov_b32 v11, 0
	;; [unrolled: 1-line block ×27, first 2 shown]
	v_mov_b32_e32 v16, 0
	v_mov_b32_e32 v252, 0xfeffffff
	;; [unrolled: 1-line block ×3, first 2 shown]
	s_mov_b32 s67, 0
.LBB19_283:                             ;   in Loop: Header=BB19_10 Depth=1
	s_delay_alu instid0(SALU_CYCLE_1)
	s_lshl_b32 s56, s67, 5
	s_and_saveexec_b32 s4, s0
	s_cbranch_execz .LBB19_285
; %bb.284:                              ;   in Loop: Header=BB19_10 Depth=1
	s_clause 0x1
	scratch_load_b32 v0, off, off offset:156
	scratch_load_b32 v4, off, off offset:300
	s_lshl_b64 s[6:7], s[56:57], 1
	s_waitcnt vmcnt(1)
	v_add_nc_u32_e32 v0, s89, v0
	s_waitcnt vmcnt(0)
	v_lshlrev_b32_e32 v4, 1, v4
	s_delay_alu instid0(VALU_DEP_2) | instskip(NEXT) | instid1(VALU_DEP_1)
	v_lshl_or_b32 v0, v0, 1, v216
	v_mul_hi_u32 v1, s34, v0
	s_delay_alu instid0(VALU_DEP_1) | instskip(NEXT) | instid1(VALU_DEP_1)
	v_add_nc_u32_e32 v1, v0, v1
	v_lshrrev_b32_e32 v1, s35, v1
	s_delay_alu instid0(VALU_DEP_1) | instskip(NEXT) | instid1(VALU_DEP_1)
	v_mul_lo_u32 v1, v1, s8
	v_sub_nc_u32_e32 v2, v0, v1
	s_delay_alu instid0(VALU_DEP_1) | instskip(SKIP_2) | instid1(VALU_DEP_3)
	v_mad_i64_i32 v[0:1], null, v2, s40, 0
	v_add_co_u32 v2, vcc_lo, v172, s6
	v_add_co_ci_u32_e32 v3, vcc_lo, s7, v165, vcc_lo
	v_lshlrev_b64 v[0:1], 1, v[0:1]
	s_delay_alu instid0(VALU_DEP_1) | instskip(NEXT) | instid1(VALU_DEP_2)
	v_add_co_u32 v0, vcc_lo, v2, v0
	v_add_co_ci_u32_e32 v1, vcc_lo, v3, v1, vcc_lo
	s_delay_alu instid0(VALU_DEP_2) | instskip(NEXT) | instid1(VALU_DEP_2)
	v_add_co_u32 v0, vcc_lo, v0, v4
	v_add_co_ci_u32_e32 v1, vcc_lo, 0, v1, vcc_lo
	global_load_b32 v0, v[0:1], off
	s_waitcnt vmcnt(0)
	ds_store_b32 v169, v0 offset:7680
.LBB19_285:                             ;   in Loop: Header=BB19_10 Depth=1
	s_or_b32 exec_lo, exec_lo, s4
	scratch_load_b64 v[0:1], off, off offset:24 ; 8-byte Folded Reload
	s_mul_i32 s5, s56, s13
	s_mul_hi_u32 s6, s56, s12
	s_mul_i32 s4, s56, s12
	s_add_i32 s5, s6, s5
	v_dual_mov_b32 v208, v206 :: v_dual_lshlrev_b32 v121, 2, v204
	s_lshl_b64 s[4:5], s[4:5], 2
	v_dual_mov_b32 v210, v206 :: v_dual_lshlrev_b32 v123, 2, v221
	s_add_u32 s4, s90, s4
	s_addc_u32 s5, s91, s5
	v_dual_mov_b32 v207, v206 :: v_dual_lshlrev_b32 v122, 2, v229
	v_mov_b32_e32 v209, v206
	v_mov_b32_e32 v211, v206
	;; [unrolled: 1-line block ×4, first 2 shown]
	v_dual_mov_b32 v72, v206 :: v_dual_mov_b32 v73, v207
	v_dual_mov_b32 v74, v208 :: v_dual_mov_b32 v75, v209
	;; [unrolled: 1-line block ×3, first 2 shown]
	s_delay_alu instid0(VALU_DEP_4) | instskip(SKIP_4) | instid1(VALU_DEP_2)
	v_dual_mov_b32 v78, v212 :: v_dual_mov_b32 v79, v213
	s_mul_hi_u32 s6, s56, s10
	s_waitcnt vmcnt(0)
	v_add_co_u32 v0, vcc_lo, s4, v0
	v_add_co_ci_u32_e32 v2, vcc_lo, s5, v1, vcc_lo
	v_add_co_u32 v1, vcc_lo, v0, v121
	s_delay_alu instid0(VALU_DEP_2) | instskip(SKIP_2) | instid1(VALU_DEP_2)
	v_add_co_ci_u32_e32 v2, vcc_lo, 0, v2, vcc_lo
	v_add_co_u32 v0, vcc_lo, s4, v189
	v_add_co_ci_u32_e32 v3, vcc_lo, s5, v190, vcc_lo
	v_add_co_u32 v4, vcc_lo, v0, v123
	s_delay_alu instid0(VALU_DEP_2)
	v_add_co_ci_u32_e32 v5, vcc_lo, 0, v3, vcc_lo
	s_clause 0x1
	global_load_b128 v[0:3], v[1:2], off offset:192
	global_load_b128 v[4:7], v[4:5], off offset:128
	s_waitcnt vmcnt(1)
	ds_store_b128 v222, v[0:3]
	v_add_co_u32 v0, vcc_lo, s4, v191
	v_add_co_ci_u32_e32 v1, vcc_lo, s5, v192, vcc_lo
	s_delay_alu instid0(VALU_DEP_2) | instskip(NEXT) | instid1(VALU_DEP_2)
	v_add_co_u32 v0, vcc_lo, v0, v123
	v_add_co_ci_u32_e32 v1, vcc_lo, 0, v1, vcc_lo
	v_add_co_u32 v2, vcc_lo, s4, v219
	v_add_co_ci_u32_e32 v3, vcc_lo, s5, v220, vcc_lo
	s_delay_alu instid0(VALU_DEP_2) | instskip(NEXT) | instid1(VALU_DEP_2)
	v_add_co_u32 v64, vcc_lo, v2, v122
	v_add_co_ci_u32_e32 v65, vcc_lo, 0, v3, vcc_lo
	s_clause 0x1
	global_load_b128 v[0:3], v[0:1], off offset:128
	global_load_b128 v[64:67], v[64:65], off
	s_waitcnt vmcnt(2)
	ds_store_b128 v227, v[4:7]
	s_waitcnt vmcnt(1)
	ds_store_b128 v228, v[0:3]
	v_add_co_u32 v0, vcc_lo, s4, v187
	v_add_co_ci_u32_e32 v1, vcc_lo, s5, v188, vcc_lo
	s_delay_alu instid0(VALU_DEP_2) | instskip(NEXT) | instid1(VALU_DEP_2)
	v_add_co_u32 v0, vcc_lo, v0, v122
	v_add_co_ci_u32_e32 v1, vcc_lo, 0, v1, vcc_lo
	v_add_co_u32 v2, vcc_lo, s4, v240
	v_add_co_ci_u32_e32 v3, vcc_lo, s5, v241, vcc_lo
	s_delay_alu instid0(VALU_DEP_2) | instskip(NEXT) | instid1(VALU_DEP_2)
	v_add_co_u32 v4, vcc_lo, v2, v122
	v_add_co_ci_u32_e32 v5, vcc_lo, 0, v3, vcc_lo
	s_clause 0x1
	global_load_b128 v[0:3], v[0:1], off
	global_load_b128 v[4:7], v[4:5], off
	s_waitcnt vmcnt(2)
	ds_store_b128 v250, v[64:67]
	s_waitcnt vmcnt(1)
	ds_store_b128 v173, v[0:3]
	v_add_co_u32 v0, vcc_lo, s4, v201
	v_add_co_ci_u32_e32 v1, vcc_lo, s5, v202, vcc_lo
	s_mul_i32 s5, s56, s11
	s_delay_alu instid0(VALU_DEP_2) | instskip(NEXT) | instid1(VALU_DEP_2)
	v_add_co_u32 v0, vcc_lo, v0, v122
	v_add_co_ci_u32_e32 v1, vcc_lo, 0, v1, vcc_lo
	v_cmp_gt_i32_e32 vcc_lo, 32, v180
	s_mul_i32 s4, s56, s10
	s_add_i32 s5, s6, s5
	global_load_b128 v[0:3], v[0:1], off
	s_lshl_b64 s[4:5], s[4:5], 2
	v_cmp_eq_u32_e64 s6, 1, v216
	s_add_u32 s4, s87, s4
	s_addc_u32 s5, s88, s5
	s_cmp_lg_u64 s[64:65], 0
	s_waitcnt vmcnt(1)
	ds_store_b128 v166, v[4:7]
	s_waitcnt vmcnt(0)
	ds_store_b128 v164, v[0:3]
	s_waitcnt lgkmcnt(0)
	s_barrier
	buffer_gl0_inv
	ds_load_b128 v[0:3], v230
	ds_load_b128 v[4:7], v230 offset:16
	s_clause 0x1
	scratch_load_b128 v[64:67], off, off offset:88
	scratch_load_b128 v[68:71], off, off offset:104
	s_waitcnt vmcnt(0) lgkmcnt(0)
	v_wmma_f32_16x16x16_f16 v[72:79], v[0:7], v[64:71], v[72:79]
	ds_load_b128 v[0:3], v230 offset:32
	ds_load_b128 v[4:7], v230 offset:48
	s_clause 0x1
	scratch_load_b128 v[64:67], off, off offset:56
	scratch_load_b128 v[68:71], off, off offset:72
	s_waitcnt vmcnt(0) lgkmcnt(0)
	v_wmma_f32_16x16x16_f16 v[72:79], v[0:7], v[64:71], v[72:79]
	ds_load_b128 v[0:3], v230 offset:64
	;; [unrolled: 7-line block ×3, first 2 shown]
	ds_load_b128 v[4:7], v230 offset:112
	s_waitcnt lgkmcnt(0)
	v_wmma_f32_16x16x16_f16 v[72:79], v[0:7], v[88:95], v[72:79]
	ds_load_b128 v[0:3], v230 offset:128
	ds_load_b128 v[4:7], v230 offset:144
	s_waitcnt lgkmcnt(0)
	v_wmma_f32_16x16x16_f16 v[72:79], v[0:7], v[96:103], v[72:79]
	ds_load_b128 v[0:3], v230 offset:160
	;; [unrolled: 4-line block ×3, first 2 shown]
	ds_load_b128 v[4:7], v230 offset:208
	s_waitcnt lgkmcnt(0)
	s_barrier
	buffer_gl0_inv
	v_wmma_f32_16x16x16_f16 v[72:79], v[0:7], v[112:119], v[72:79]
	ds_load_u16 v0, v223 offset:7680
	ds_load_u16 v1, v223 offset:7684
	;; [unrolled: 1-line block ×8, first 2 shown]
	s_waitcnt lgkmcnt(7)
	v_cvt_f32_f16_e32 v0, v0
	s_waitcnt lgkmcnt(6)
	v_cvt_f32_f16_e32 v1, v1
	;; [unrolled: 2-line block ×7, first 2 shown]
	v_dual_add_f32 v72, v72, v0 :: v_dual_add_f32 v73, v73, v1
	s_waitcnt lgkmcnt(0)
	v_cvt_f32_f16_e32 v7, v7
	v_dual_add_f32 v71, v74, v2 :: v_dual_add_f32 v70, v75, v3
	v_dual_add_f32 v68, v77, v5 :: v_dual_add_f32 v67, v78, v6
	;; [unrolled: 1-line block ×3, first 2 shown]
	s_delay_alu instid0(VALU_DEP_3) | instskip(SKIP_1) | instid1(VALU_DEP_3)
	v_dual_add_f32 v69, v76, v4 :: v_dual_add_f32 v2, 0x40051340, v70
	v_add_f32_e32 v66, v79, v7
	v_max3_f32 v0, v252, v0, v1
	v_add_f32_e32 v1, 0x40051340, v71
	s_delay_alu instid0(VALU_DEP_1) | instskip(SKIP_1) | instid1(VALU_DEP_1)
	v_max3_f32 v0, v0, v1, v2
	v_dual_add_f32 v1, 0x40051340, v69 :: v_dual_add_f32 v2, 0x40051340, v68
	v_max3_f32 v0, v0, v1, v2
	v_dual_add_f32 v1, 0x40051340, v67 :: v_dual_add_f32 v2, 0x40051340, v66
	s_delay_alu instid0(VALU_DEP_1) | instskip(SKIP_1) | instid1(VALU_DEP_1)
	v_max3_f32 v0, v0, v1, v2
	v_cndmask_b32_e32 v1, v174, v180, vcc_lo
	v_lshlrev_b32_e32 v64, 2, v1
	ds_bpermute_b32 v1, v64, v0
	s_waitcnt lgkmcnt(0)
	v_max_f32_e32 v1, v1, v1
	s_delay_alu instid0(VALU_DEP_1) | instskip(NEXT) | instid1(VALU_DEP_1)
	v_max_f32_e32 v65, v0, v1
	v_sub_f32_e32 v0, v252, v65
	s_delay_alu instid0(VALU_DEP_1) | instskip(SKIP_1) | instid1(VALU_DEP_2)
	v_mul_f32_e32 v1, 0x3fb8aa3b, v0
	v_cmp_ngt_f32_e32 vcc_lo, 0xc2ce8ed0, v0
	v_fma_f32 v2, 0x3fb8aa3b, v0, -v1
	v_rndne_f32_e32 v3, v1
	s_delay_alu instid0(VALU_DEP_1) | instskip(NEXT) | instid1(VALU_DEP_1)
	v_dual_fmac_f32 v2, 0x32a5705f, v0 :: v_dual_sub_f32 v1, v1, v3
	v_add_f32_e32 v1, v1, v2
	v_cvt_i32_f32_e32 v2, v3
	s_delay_alu instid0(VALU_DEP_2) | instskip(SKIP_2) | instid1(VALU_DEP_1)
	v_exp_f32_e32 v1, v1
	s_waitcnt_depctr 0xfff
	v_ldexp_f32 v1, v1, v2
	v_cndmask_b32_e32 v1, 0, v1, vcc_lo
	v_cmp_nlt_f32_e32 vcc_lo, 0x42b17218, v0
	s_delay_alu instid0(VALU_DEP_2) | instskip(SKIP_1) | instid1(VALU_DEP_2)
	v_cndmask_b32_e32 v1, 0x7f800000, v1, vcc_lo
	v_cmp_le_f32_e32 vcc_lo, 0xc1a00000, v0
	v_cndmask_b32_e32 v74, 0, v1, vcc_lo
	s_delay_alu instid0(VALU_DEP_1)
	v_mul_f32_e32 v58, v58, v74
	v_mul_f32_e32 v2, v9, v74
	;; [unrolled: 1-line block ×3, first 2 shown]
	scratch_load_b64 v[9:10], off, off      ; 8-byte Folded Reload
	v_mul_f32_e32 v4, v11, v74
	v_mul_f32_e32 v5, v12, v74
	scratch_load_b64 v[11:12], off, off offset:8 ; 8-byte Folded Reload
	v_mul_f32_e32 v6, v13, v74
	v_mul_f32_e32 v7, v14, v74
	v_sub_f32_e32 v67, v67, v65
	v_sub_f32_e32 v66, v66, v65
	s_waitcnt vmcnt(1)
	v_add_co_u32 v0, vcc_lo, s4, v9
	v_add_co_ci_u32_e32 v10, vcc_lo, s5, v10, vcc_lo
	s_delay_alu instid0(VALU_DEP_2) | instskip(NEXT) | instid1(VALU_DEP_2)
	v_add_co_u32 v9, vcc_lo, v0, v121
	v_add_co_ci_u32_e32 v10, vcc_lo, 0, v10, vcc_lo
	s_waitcnt vmcnt(0)
	v_add_co_u32 v0, vcc_lo, s4, v11
	v_add_co_ci_u32_e32 v11, vcc_lo, s5, v12, vcc_lo
	s_delay_alu instid0(VALU_DEP_2) | instskip(NEXT) | instid1(VALU_DEP_2)
	v_add_co_u32 v13, vcc_lo, v0, v123
	v_add_co_ci_u32_e32 v14, vcc_lo, 0, v11, vcc_lo
	s_clause 0x1
	global_load_b128 v[9:12], v[9:10], off offset:192
	global_load_b128 v[75:78], v[13:14], off offset:128
	s_waitcnt vmcnt(1)
	ds_store_b128 v222, v[9:12]
	s_clause 0x1
	scratch_load_b64 v[9:10], off, off offset:16
	scratch_load_b64 v[11:12], off, off offset:32
	s_waitcnt vmcnt(1)
	v_add_co_u32 v0, vcc_lo, s4, v9
	v_add_co_ci_u32_e32 v10, vcc_lo, s5, v10, vcc_lo
	s_delay_alu instid0(VALU_DEP_2) | instskip(NEXT) | instid1(VALU_DEP_2)
	v_add_co_u32 v9, vcc_lo, v0, v123
	v_add_co_ci_u32_e32 v10, vcc_lo, 0, v10, vcc_lo
	s_waitcnt vmcnt(0)
	v_add_co_u32 v0, vcc_lo, s4, v11
	v_add_co_ci_u32_e32 v11, vcc_lo, s5, v12, vcc_lo
	s_delay_alu instid0(VALU_DEP_2) | instskip(NEXT) | instid1(VALU_DEP_2)
	v_add_co_u32 v13, vcc_lo, v0, v122
	v_add_co_ci_u32_e32 v14, vcc_lo, 0, v11, vcc_lo
	s_clause 0x1
	global_load_b128 v[9:12], v[9:10], off offset:128
	global_load_b128 v[79:82], v[13:14], off
	ds_store_b128 v227, v[75:78]
	s_waitcnt vmcnt(1)
	ds_store_b128 v228, v[9:12]
	s_clause 0x1
	scratch_load_b64 v[9:10], off, off offset:40
	scratch_load_b64 v[11:12], off, off offset:48
	s_waitcnt vmcnt(1)
	v_add_co_u32 v0, vcc_lo, s4, v9
	v_add_co_ci_u32_e32 v10, vcc_lo, s5, v10, vcc_lo
	s_delay_alu instid0(VALU_DEP_2) | instskip(NEXT) | instid1(VALU_DEP_2)
	v_add_co_u32 v9, vcc_lo, v0, v122
	v_add_co_ci_u32_e32 v10, vcc_lo, 0, v10, vcc_lo
	s_waitcnt vmcnt(0)
	v_add_co_u32 v0, vcc_lo, s4, v11
	v_add_co_ci_u32_e32 v11, vcc_lo, s5, v12, vcc_lo
	s_delay_alu instid0(VALU_DEP_2) | instskip(NEXT) | instid1(VALU_DEP_2)
	v_add_co_u32 v13, vcc_lo, v0, v122
	v_add_co_ci_u32_e32 v14, vcc_lo, 0, v11, vcc_lo
	s_clause 0x1
	global_load_b128 v[9:12], v[9:10], off
	global_load_b128 v[75:78], v[13:14], off
	v_add_co_u32 v0, vcc_lo, s4, v253
	ds_store_b128 v250, v[79:82]
	s_waitcnt vmcnt(1)
	ds_store_b128 v173, v[9:12]
	v_add_co_ci_u32_e32 v10, vcc_lo, s5, v254, vcc_lo
	v_add_co_u32 v9, vcc_lo, v0, v122
	v_sub_f32_e32 v0, v73, v65
	s_delay_alu instid0(VALU_DEP_3) | instskip(SKIP_1) | instid1(VALU_DEP_3)
	v_add_co_ci_u32_e32 v10, vcc_lo, 0, v10, vcc_lo
	v_cmp_eq_u32_e64 s5, 0, v216
	v_cmp_ngt_f32_e32 vcc_lo, 0xc2ce8ed0, v0
	global_load_b128 v[9:12], v[9:10], off
	s_waitcnt vmcnt(1)
	ds_store_b128 v166, v[75:78]
	s_waitcnt vmcnt(0)
	ds_store_b128 v164, v[9:12]
	v_mul_f32_e32 v9, 0x3fb8aa3b, v0
	v_mul_f32_e32 v57, v57, v74
	;; [unrolled: 1-line block ×5, first 2 shown]
	v_fma_f32 v10, 0x3fb8aa3b, v0, -v9
	v_rndne_f32_e32 v11, v9
	v_mul_f32_e32 v52, v52, v74
	v_mul_f32_e32 v32, v32, v74
	s_delay_alu instid0(VALU_DEP_4) | instskip(NEXT) | instid1(VALU_DEP_4)
	v_dual_mul_f32 v55, v55, v74 :: v_dual_fmac_f32 v10, 0x32a5705f, v0
	v_sub_f32_e32 v9, v9, v11
	v_cvt_i32_f32_e32 v11, v11
	v_mul_f32_e32 v38, v38, v74
	v_mul_f32_e32 v24, v24, v74
	;; [unrolled: 1-line block ×3, first 2 shown]
	v_dual_add_f32 v9, v9, v10 :: v_dual_sub_f32 v10, v72, v65
	v_mul_f32_e32 v37, v37, v74
	s_waitcnt lgkmcnt(0)
	s_barrier
	s_delay_alu instid0(VALU_DEP_2)
	v_exp_f32_e32 v9, v9
	v_mul_f32_e32 v12, 0x3fb8aa3b, v10
	v_cmp_ngt_f32_e64 s4, 0xc2ce8ed0, v10
	buffer_gl0_inv
	v_mul_f32_e32 v56, v56, v74
	v_mul_f32_e32 v60, v60, v74
	v_fma_f32 v13, 0x3fb8aa3b, v10, -v12
	v_rndne_f32_e32 v14, v12
	v_mul_f32_e32 v62, v62, v74
	v_mul_f32_e32 v48, v48, v74
	v_ldexp_f32 v9, v9, v11
	v_fmac_f32_e32 v13, 0x32a5705f, v10
	v_sub_f32_e32 v12, v12, v14
	v_mul_f32_e32 v59, v59, v74
	s_delay_alu instid0(VALU_DEP_4) | instskip(SKIP_1) | instid1(VALU_DEP_4)
	v_dual_mul_f32 v54, v54, v74 :: v_dual_cndmask_b32 v9, 0, v9
	v_cmp_nlt_f32_e32 vcc_lo, 0x42b17218, v0
	v_add_f32_e32 v12, v12, v13
	v_mul_f32_e32 v40, v40, v74
	v_mul_f32_e32 v50, v50, v74
	v_dual_mul_f32 v16, v16, v74 :: v_dual_cndmask_b32 v9, 0x7f800000, v9
	s_delay_alu instid0(VALU_DEP_4)
	v_exp_f32_e32 v11, v12
	v_cvt_i32_f32_e32 v12, v14
	v_cmp_eq_u32_e32 vcc_lo, 0, v179
	v_mul_f32_e32 v19, v19, v74
	v_mul_f32_e32 v20, v20, v74
	;; [unrolled: 1-line block ×4, first 2 shown]
	s_delay_alu instid0(TRANS32_DEP_1) | instskip(SKIP_3) | instid1(VALU_DEP_1)
	v_ldexp_f32 v11, v11, v12
	ds_bpermute_b32 v12, v64, v9
	v_cndmask_b32_e64 v0, 0, v11, s4
	v_cmp_nlt_f32_e64 s4, 0x42b17218, v10
	v_cndmask_b32_e64 v0, 0x7f800000, v0, s4
	v_cmp_eq_u32_e64 s4, 1, v179
	v_mul_f32_e32 v39, v39, v74
	ds_bpermute_b32 v10, v64, v0
	s_waitcnt lgkmcnt(0)
	v_cndmask_b32_e64 v11, v0, v10, s4
	v_cndmask_b32_e32 v10, v0, v10, vcc_lo
	v_add_f32_e32 v0, v0, v9
	s_delay_alu instid0(VALU_DEP_3) | instskip(NEXT) | instid1(VALU_DEP_3)
	v_cndmask_b32_e64 v14, v11, v9, s6
	v_cndmask_b32_e64 v13, v10, v9, s5
	v_cvt_f16_f32_e32 v10, v10
	v_cvt_f16_f32_e32 v11, v11
	s_delay_alu instid0(VALU_DEP_3) | instskip(SKIP_1) | instid1(VALU_DEP_3)
	v_dual_mul_f32 v42, v42, v74 :: v_dual_cndmask_b32 v13, v13, v12
	v_cndmask_b32_e64 v12, v14, v12, s4
	v_pack_b32_f16 v75, v10, v11
	v_sub_f32_e32 v10, v71, v65
	s_delay_alu instid0(VALU_DEP_4) | instskip(NEXT) | instid1(VALU_DEP_4)
	v_cvt_f16_f32_e32 v14, v13
	v_cvt_f16_f32_e32 v15, v12
	s_delay_alu instid0(VALU_DEP_3) | instskip(SKIP_1) | instid1(VALU_DEP_3)
	v_mul_f32_e32 v11, 0x3fb8aa3b, v10
	v_cmp_ngt_f32_e64 s7, 0xc2ce8ed0, v10
	v_pack_b32_f16 v76, v14, v15
	s_delay_alu instid0(VALU_DEP_3) | instskip(SKIP_2) | instid1(VALU_DEP_2)
	v_fma_f32 v14, 0x3fb8aa3b, v10, -v11
	v_rndne_f32_e32 v15, v11
	v_mul_f32_e32 v44, v44, v74
	v_dual_fmac_f32 v14, 0x32a5705f, v10 :: v_dual_sub_f32 v11, v11, v15
	s_delay_alu instid0(VALU_DEP_1) | instskip(SKIP_1) | instid1(VALU_DEP_2)
	v_add_f32_e32 v11, v11, v14
	v_cvt_i32_f32_e32 v14, v15
	v_exp_f32_e32 v11, v11
	s_waitcnt_depctr 0xfff
	v_ldexp_f32 v11, v11, v14
	s_delay_alu instid0(VALU_DEP_1) | instskip(SKIP_1) | instid1(VALU_DEP_1)
	v_cndmask_b32_e64 v11, 0, v11, s7
	v_cmp_nlt_f32_e64 s7, 0x42b17218, v10
	v_cndmask_b32_e64 v10, 0x7f800000, v11, s7
	s_delay_alu instid0(VALU_DEP_1)
	v_dual_mul_f32 v25, v25, v74 :: v_dual_add_f32 v0, v10, v0
	v_cndmask_b32_e64 v11, v12, v10, s6
	v_cndmask_b32_e64 v12, v13, v10, s5
	ds_bpermute_b32 v13, v64, v10
	s_waitcnt lgkmcnt(0)
	v_dual_mul_f32 v63, v63, v74 :: v_dual_cndmask_b32 v12, v12, v13
	v_cndmask_b32_e64 v11, v11, v13, s4
	s_delay_alu instid0(VALU_DEP_2) | instskip(NEXT) | instid1(VALU_DEP_2)
	v_cvt_f16_f32_e32 v13, v12
	v_cvt_f16_f32_e32 v14, v11
	s_delay_alu instid0(VALU_DEP_1) | instskip(SKIP_1) | instid1(VALU_DEP_1)
	v_pack_b32_f16 v77, v13, v14
	v_sub_f32_e32 v13, v70, v65
	v_dual_mul_f32 v49, v49, v74 :: v_dual_mul_f32 v14, 0x3fb8aa3b, v13
	v_cmp_ngt_f32_e64 s7, 0xc2ce8ed0, v13
	s_delay_alu instid0(VALU_DEP_2) | instskip(SKIP_1) | instid1(VALU_DEP_2)
	v_fma_f32 v15, 0x3fb8aa3b, v13, -v14
	v_rndne_f32_e32 v70, v14
	v_dual_mul_f32 v46, v46, v74 :: v_dual_fmac_f32 v15, 0x32a5705f, v13
	s_delay_alu instid0(VALU_DEP_2) | instskip(NEXT) | instid1(VALU_DEP_1)
	v_sub_f32_e32 v14, v14, v70
	v_dual_mul_f32 v51, v51, v74 :: v_dual_add_f32 v14, v14, v15
	v_cvt_i32_f32_e32 v15, v70
	s_delay_alu instid0(VALU_DEP_2) | instskip(SKIP_2) | instid1(VALU_DEP_1)
	v_exp_f32_e32 v14, v14
	s_waitcnt_depctr 0xfff
	v_ldexp_f32 v14, v14, v15
	v_cndmask_b32_e64 v14, 0, v14, s7
	v_cmp_nlt_f32_e64 s7, 0x42b17218, v13
	s_delay_alu instid0(VALU_DEP_1) | instskip(NEXT) | instid1(VALU_DEP_1)
	v_cndmask_b32_e64 v13, 0x7f800000, v14, s7
	v_dual_mul_f32 v27, v27, v74 :: v_dual_add_f32 v0, v13, v0
	ds_bpermute_b32 v14, v64, v13
	v_cndmask_b32_e64 v11, v11, v13, s6
	v_cndmask_b32_e64 v12, v12, v13, s5
	s_waitcnt lgkmcnt(0)
	s_delay_alu instid0(VALU_DEP_1) | instskip(NEXT) | instid1(VALU_DEP_3)
	v_cndmask_b32_e32 v12, v12, v14, vcc_lo
	v_cndmask_b32_e64 v11, v11, v14, s4
	s_delay_alu instid0(VALU_DEP_2) | instskip(NEXT) | instid1(VALU_DEP_2)
	v_cvt_f16_f32_e32 v14, v12
	v_cvt_f16_f32_e32 v15, v11
	s_delay_alu instid0(VALU_DEP_1) | instskip(SKIP_1) | instid1(VALU_DEP_1)
	v_pack_b32_f16 v78, v14, v15
	v_sub_f32_e32 v14, v69, v65
	v_mul_f32_e32 v15, 0x3fb8aa3b, v14
	v_cmp_ngt_f32_e64 s7, 0xc2ce8ed0, v14
	s_delay_alu instid0(VALU_DEP_2) | instskip(SKIP_1) | instid1(VALU_DEP_2)
	v_fma_f32 v69, 0x3fb8aa3b, v14, -v15
	v_rndne_f32_e32 v70, v15
	v_fmac_f32_e32 v69, 0x32a5705f, v14
	s_delay_alu instid0(VALU_DEP_2) | instskip(NEXT) | instid1(VALU_DEP_1)
	v_sub_f32_e32 v15, v15, v70
	v_dual_mul_f32 v34, v34, v74 :: v_dual_add_f32 v15, v15, v69
	v_cvt_i32_f32_e32 v69, v70
	s_delay_alu instid0(VALU_DEP_2) | instskip(SKIP_2) | instid1(VALU_DEP_1)
	v_exp_f32_e32 v15, v15
	s_waitcnt_depctr 0xfff
	v_ldexp_f32 v15, v15, v69
	v_cndmask_b32_e64 v15, 0, v15, s7
	v_cmp_nlt_f32_e64 s7, 0x42b17218, v14
	s_delay_alu instid0(VALU_DEP_1) | instskip(NEXT) | instid1(VALU_DEP_1)
	v_cndmask_b32_e64 v14, 0x7f800000, v15, s7
	v_dual_mul_f32 v29, v29, v74 :: v_dual_add_f32 v0, v14, v0
	ds_bpermute_b32 v15, v64, v14
	v_cndmask_b32_e64 v11, v11, v14, s6
	v_cndmask_b32_e64 v12, v12, v14, s5
	s_waitcnt lgkmcnt(0)
	s_delay_alu instid0(VALU_DEP_1) | instskip(NEXT) | instid1(VALU_DEP_3)
	v_dual_mul_f32 v53, v53, v74 :: v_dual_cndmask_b32 v12, v12, v15
	v_cndmask_b32_e64 v11, v11, v15, s4
	s_delay_alu instid0(VALU_DEP_2) | instskip(NEXT) | instid1(VALU_DEP_2)
	v_cvt_f16_f32_e32 v15, v12
	v_cvt_f16_f32_e32 v69, v11
	s_delay_alu instid0(VALU_DEP_1) | instskip(SKIP_1) | instid1(VALU_DEP_1)
	v_pack_b32_f16 v79, v15, v69
	v_sub_f32_e32 v15, v68, v65
	v_dual_mul_f32 v41, v41, v74 :: v_dual_mul_f32 v68, 0x3fb8aa3b, v15
	v_cmp_ngt_f32_e64 s7, 0xc2ce8ed0, v15
	s_delay_alu instid0(VALU_DEP_2) | instskip(SKIP_1) | instid1(VALU_DEP_2)
	v_fma_f32 v69, 0x3fb8aa3b, v15, -v68
	v_rndne_f32_e32 v70, v68
	v_dual_mul_f32 v36, v36, v74 :: v_dual_fmac_f32 v69, 0x32a5705f, v15
	s_delay_alu instid0(VALU_DEP_2) | instskip(NEXT) | instid1(VALU_DEP_1)
	v_sub_f32_e32 v68, v68, v70
	v_dual_mul_f32 v43, v43, v74 :: v_dual_add_f32 v68, v68, v69
	v_cvt_i32_f32_e32 v69, v70
	s_delay_alu instid0(VALU_DEP_2) | instskip(SKIP_2) | instid1(VALU_DEP_1)
	v_exp_f32_e32 v68, v68
	s_waitcnt_depctr 0xfff
	v_ldexp_f32 v68, v68, v69
	v_cndmask_b32_e64 v68, 0, v68, s7
	v_cmp_nlt_f32_e64 s7, 0x42b17218, v15
	s_delay_alu instid0(VALU_DEP_1) | instskip(SKIP_1) | instid1(VALU_DEP_2)
	v_cndmask_b32_e64 v15, 0x7f800000, v68, s7
	v_cmp_ngt_f32_e64 s7, 0xc2ce8ed0, v67
	v_dual_mul_f32 v17, v17, v74 :: v_dual_add_f32 v0, v15, v0
	ds_bpermute_b32 v68, v64, v15
	v_cndmask_b32_e64 v11, v11, v15, s6
	v_cndmask_b32_e64 v12, v12, v15, s5
	s_waitcnt lgkmcnt(0)
	s_delay_alu instid0(VALU_DEP_1) | instskip(NEXT) | instid1(VALU_DEP_3)
	v_dual_mul_f32 v45, v45, v74 :: v_dual_cndmask_b32 v12, v12, v68
	v_cndmask_b32_e64 v11, v11, v68, s4
	s_delay_alu instid0(VALU_DEP_2) | instskip(NEXT) | instid1(VALU_DEP_2)
	v_cvt_f16_f32_e32 v68, v12
	v_cvt_f16_f32_e32 v69, v11
	s_delay_alu instid0(VALU_DEP_1) | instskip(SKIP_1) | instid1(VALU_DEP_1)
	v_pack_b32_f16 v80, v68, v69
	v_mul_f32_e32 v68, 0x3fb8aa3b, v67
	v_fma_f32 v69, 0x3fb8aa3b, v67, -v68
	v_rndne_f32_e32 v70, v68
	s_delay_alu instid0(VALU_DEP_2) | instskip(NEXT) | instid1(VALU_DEP_2)
	v_dual_mul_f32 v26, v26, v74 :: v_dual_fmac_f32 v69, 0x32a5705f, v67
	v_sub_f32_e32 v68, v68, v70
	s_delay_alu instid0(VALU_DEP_1) | instskip(SKIP_1) | instid1(VALU_DEP_2)
	v_dual_mul_f32 v33, v33, v74 :: v_dual_add_f32 v68, v68, v69
	v_cvt_i32_f32_e32 v69, v70
	v_exp_f32_e32 v68, v68
	s_waitcnt_depctr 0xfff
	v_ldexp_f32 v68, v68, v69
	s_delay_alu instid0(VALU_DEP_1) | instskip(SKIP_1) | instid1(VALU_DEP_1)
	v_cndmask_b32_e64 v68, 0, v68, s7
	v_cmp_nlt_f32_e64 s7, 0x42b17218, v67
	v_cndmask_b32_e64 v115, 0x7f800000, v68, s7
	v_cmp_ngt_f32_e64 s7, 0xc2ce8ed0, v66
	s_delay_alu instid0(VALU_DEP_2) | instskip(SKIP_4) | instid1(VALU_DEP_1)
	v_dual_mul_f32 v21, v21, v74 :: v_dual_add_f32 v0, v115, v0
	ds_bpermute_b32 v67, v64, v115
	v_cndmask_b32_e64 v11, v11, v115, s6
	v_cndmask_b32_e64 v12, v12, v115, s5
	s_waitcnt lgkmcnt(0)
	v_dual_mul_f32 v35, v35, v74 :: v_dual_cndmask_b32 v12, v12, v67
	s_delay_alu instid0(VALU_DEP_3) | instskip(NEXT) | instid1(VALU_DEP_2)
	v_cndmask_b32_e64 v11, v11, v67, s4
	v_cvt_f16_f32_e32 v67, v12
	s_delay_alu instid0(VALU_DEP_2) | instskip(NEXT) | instid1(VALU_DEP_1)
	v_cvt_f16_f32_e32 v68, v11
	v_pack_b32_f16 v81, v67, v68
	v_mul_f32_e32 v67, 0x3fb8aa3b, v66
	s_delay_alu instid0(VALU_DEP_1) | instskip(SKIP_2) | instid1(VALU_DEP_2)
	v_fma_f32 v68, 0x3fb8aa3b, v66, -v67
	v_rndne_f32_e32 v69, v67
	v_mul_f32_e32 v28, v28, v74
	v_dual_fmac_f32 v68, 0x32a5705f, v66 :: v_dual_sub_f32 v67, v67, v69
	s_delay_alu instid0(VALU_DEP_1) | instskip(SKIP_1) | instid1(VALU_DEP_2)
	v_dual_mul_f32 v30, v30, v74 :: v_dual_add_f32 v67, v67, v68
	v_cvt_i32_f32_e32 v68, v69
	v_exp_f32_e32 v67, v67
	s_waitcnt_depctr 0xfff
	v_ldexp_f32 v67, v67, v68
	s_delay_alu instid0(VALU_DEP_1) | instskip(SKIP_1) | instid1(VALU_DEP_1)
	v_cndmask_b32_e64 v67, 0, v67, s7
	v_cmp_nlt_f32_e64 s7, 0x42b17218, v66
	v_cndmask_b32_e64 v116, 0x7f800000, v67, s7
	s_delay_alu instid0(VALU_DEP_1)
	v_dual_mul_f32 v31, v31, v74 :: v_dual_add_f32 v0, v116, v0
	ds_bpermute_b32 v66, v64, v116
	v_cndmask_b32_e64 v11, v11, v116, s6
	v_cndmask_b32_e64 v12, v12, v116, s5
	v_fmac_f32_e32 v0, v120, v74
	ds_bpermute_b32 v9, v64, v0
	v_mul_f32_e32 v18, v18, v74
	s_waitcnt lgkmcnt(1)
	v_cndmask_b32_e32 v12, v12, v66, vcc_lo
	v_cndmask_b32_e64 v11, v11, v66, s4
	ds_load_u16 v68, v203 offset:960
	ds_load_u16 v69, v203 offset:1440
	;; [unrolled: 1-line block ×5, first 2 shown]
	ds_load_u16 v66, v203
	ds_load_u16 v67, v203 offset:480
	ds_load_u16 v85, v231 offset:960
	;; [unrolled: 1-line block ×49, first 2 shown]
	s_waitcnt lgkmcnt(43)
	ds_load_u16_d16_hi v89, v203 offset:3152
	s_waitcnt lgkmcnt(25)
	ds_load_u16_d16_hi v126, v203 offset:2832
	ds_load_u16_d16_hi v72, v203 offset:3120
	;; [unrolled: 1-line block ×3, first 2 shown]
	s_waitcnt lgkmcnt(19)
	ds_load_u16_d16_hi v127, v203 offset:3312
	ds_load_u16_d16_hi v73, v203 offset:3600
	;; [unrolled: 1-line block ×7, first 2 shown]
	ds_load_u16 v71, v203 offset:2400
	ds_load_u16_d16_hi v88, v203 offset:2672
	ds_load_u16_d16_hi v122, v203 offset:912
	ds_load_u16_d16_hi v68, v203 offset:1200
	ds_load_u16_d16_hi v93, v203 offset:1264
	ds_load_u16_d16_hi v101, v203 offset:1296
	ds_load_u16_d16_hi v132, v203 offset:1328
	s_waitcnt lgkmcnt(27)
	ds_load_u16_d16_hi v109, v203 offset:1360
	ds_load_u16_d16_hi v123, v203 offset:1392
	ds_load_u16_d16_hi v69, v203 offset:1680
	ds_load_u16_d16_hi v94, v203 offset:1744
	ds_load_u16_d16_hi v102, v203 offset:1776
	ds_load_u16_d16_hi v133, v203 offset:1808
	s_waitcnt lgkmcnt(32)
	;; [unrolled: 7-line block ×3, first 2 shown]
	ds_load_u16_d16_hi v111, v203 offset:2320
	ds_load_u16_d16_hi v125, v203 offset:2352
	v_add_f32_e32 v9, v0, v9
	s_waitcnt lgkmcnt(20)
	ds_load_u16_d16_hi v71, v203 offset:2640
	ds_load_u16_d16_hi v96, v203 offset:2704
	;; [unrolled: 1-line block ×25, first 2 shown]
	v_cvt_f16_f32_e32 v12, v12
	v_cvt_f16_f32_e32 v11, v11
	s_cselect_b32 s4, -1, 0
	s_waitcnt lgkmcnt(0)
	s_and_b32 s5, s1, s4
	s_barrier
	v_pack_b32_f16 v82, v12, v11
	buffer_gl0_inv
	v_wmma_f32_16x16x16_f16 v[56:63], v[66:73], v[75:82], v[56:63]
	v_wmma_f32_16x16x16_f16 v[48:55], v[83:90], v[75:82], v[48:55]
	v_wmma_f32_16x16x16_f16 v[40:47], v[91:98], v[75:82], v[40:47]
	v_wmma_f32_16x16x16_f16 v[32:39], v[99:106], v[75:82], v[32:39]
	v_wmma_f32_16x16x16_f16 v[24:31], v[130:137], v[75:82], v[24:31]
	v_wmma_f32_16x16x16_f16 v[16:23], v[107:114], v[75:82], v[16:23]
	v_wmma_f32_16x16x16_f16 v[1:8], v[121:128], v[75:82], v[1:8]
	s_and_saveexec_b32 s4, s5
	s_cbranch_execz .LBB19_287
; %bb.286:                              ;   in Loop: Header=BB19_10 Depth=1
	scratch_load_b32 v0, off, off offset:284 ; 4-byte Folded Reload
	s_waitcnt vmcnt(0)
	v_lshlrev_b32_e32 v0, 2, v0
	global_load_b32 v0, v0, s[64:65]
	s_waitcnt vmcnt(0)
	v_dual_max_f32 v10, v65, v65 :: v_dual_max_f32 v11, v0, v0
	s_delay_alu instid0(VALU_DEP_1) | instskip(NEXT) | instid1(VALU_DEP_1)
	v_max_f32_e32 v10, v10, v11
	v_sub_f32_e32 v0, v0, v10
	s_delay_alu instid0(VALU_DEP_1) | instskip(SKIP_1) | instid1(VALU_DEP_2)
	v_mul_f32_e32 v15, 0x3fb8aa3b, v0
	v_sub_f32_e32 v11, v65, v10
	v_rndne_f32_e32 v66, v15
	s_delay_alu instid0(VALU_DEP_2) | instskip(SKIP_1) | instid1(VALU_DEP_2)
	v_mul_f32_e32 v12, 0x3fb8aa3b, v11
	v_cmp_ngt_f32_e32 vcc_lo, 0xc2ce8ed0, v11
	v_fma_f32 v13, 0x3fb8aa3b, v11, -v12
	v_rndne_f32_e32 v14, v12
	s_delay_alu instid0(VALU_DEP_2) | instskip(SKIP_1) | instid1(VALU_DEP_3)
	v_fmac_f32_e32 v13, 0x32a5705f, v11
	v_fma_f32 v65, 0x3fb8aa3b, v0, -v15
	v_sub_f32_e32 v12, v12, v14
	v_cvt_i32_f32_e32 v14, v14
	s_delay_alu instid0(VALU_DEP_2) | instskip(SKIP_1) | instid1(VALU_DEP_2)
	v_dual_fmac_f32 v65, 0x32a5705f, v0 :: v_dual_add_f32 v12, v12, v13
	v_sub_f32_e32 v13, v15, v66
	v_exp_f32_e32 v12, v12
	s_waitcnt_depctr 0xfff
	v_ldexp_f32 v12, v12, v14
	v_add_f32_e32 v13, v13, v65
	v_cvt_i32_f32_e32 v14, v66
	s_delay_alu instid0(VALU_DEP_3) | instskip(NEXT) | instid1(VALU_DEP_3)
	v_dual_mov_b32 v65, v10 :: v_dual_cndmask_b32 v12, 0, v12
	v_exp_f32_e32 v13, v13
	v_cmp_nlt_f32_e32 vcc_lo, 0x42b17218, v11
	s_delay_alu instid0(VALU_DEP_2) | instskip(SKIP_3) | instid1(VALU_DEP_1)
	v_cndmask_b32_e32 v12, 0x7f800000, v12, vcc_lo
	v_cmp_ngt_f32_e32 vcc_lo, 0xc2ce8ed0, v0
	s_waitcnt_depctr 0xfff
	v_ldexp_f32 v13, v13, v14
	v_cndmask_b32_e32 v13, 0, v13, vcc_lo
	v_cmp_le_f32_e32 vcc_lo, 0xc1a00000, v11
	v_cndmask_b32_e32 v11, 0, v12, vcc_lo
	v_cmp_nlt_f32_e32 vcc_lo, 0x42b17218, v0
	s_delay_alu instid0(VALU_DEP_2) | instskip(SKIP_4) | instid1(VALU_DEP_4)
	v_mul_f32_e32 v56, v56, v11
	v_dual_cndmask_b32 v0, 0x7f800000, v13 :: v_dual_mul_f32 v61, v61, v11
	v_mul_f32_e32 v57, v57, v11
	v_mul_f32_e32 v59, v59, v11
	;; [unrolled: 1-line block ×3, first 2 shown]
	v_fmac_f32_e32 v0, v9, v11
	v_mul_f32_e32 v58, v58, v11
	v_mul_f32_e32 v62, v62, v11
	;; [unrolled: 1-line block ×4, first 2 shown]
	v_mov_b32_e32 v9, v0
	v_mul_f32_e32 v49, v49, v11
	v_mul_f32_e32 v50, v50, v11
	;; [unrolled: 1-line block ×47, first 2 shown]
.LBB19_287:                             ;   in Loop: Header=BB19_10 Depth=1
	s_or_b32 exec_lo, exec_lo, s4
	s_and_saveexec_b32 s4, s3
	s_cbranch_execz .LBB19_289
; %bb.288:                              ;   in Loop: Header=BB19_10 Depth=1
	scratch_load_b32 v0, off, off offset:168 ; 4-byte Folded Reload
	s_waitcnt vmcnt(0)
	v_add_nc_u32_e32 v0, 0, v0
	ds_store_2addr_b32 v0, v65, v9 offset0:56 offset1:57
.LBB19_289:                             ;   in Loop: Header=BB19_10 Depth=1
	s_or_b32 exec_lo, exec_lo, s4
	s_waitcnt lgkmcnt(0)
	s_barrier
	buffer_gl0_inv
	s_and_saveexec_b32 s4, s2
	s_delay_alu instid0(SALU_CYCLE_1)
	s_xor_b32 s4, exec_lo, s4
	s_cbranch_execz .LBB19_291
; %bb.290:                              ;   in Loop: Header=BB19_10 Depth=1
	s_barrier
	buffer_gl0_inv
                                        ; implicit-def: $vgpr64
.LBB19_291:                             ;   in Loop: Header=BB19_10 Depth=1
	s_and_not1_saveexec_b32 s4, s4
	s_cbranch_execz .LBB19_293
; %bb.292:                              ;   in Loop: Header=BB19_10 Depth=1
	scratch_load_b32 v0, off, off offset:168 ; 4-byte Folded Reload
	s_waitcnt vmcnt(0)
	v_add_nc_u32_e32 v0, 0, v0
	ds_load_b64 v[9:10], v0 offset:224
	s_waitcnt lgkmcnt(0)
	s_barrier
	buffer_gl0_inv
	ds_bpermute_b32 v11, v64, v9
	s_waitcnt lgkmcnt(0)
	v_dual_max_f32 v12, v9, v9 :: v_dual_max_f32 v11, v11, v11
	s_delay_alu instid0(VALU_DEP_1) | instskip(NEXT) | instid1(VALU_DEP_1)
	v_max_f32_e32 v11, v12, v11
	v_sub_f32_e32 v9, v9, v11
	s_delay_alu instid0(VALU_DEP_1) | instskip(SKIP_1) | instid1(VALU_DEP_2)
	v_mul_f32_e32 v11, 0x3fb8aa3b, v9
	v_cmp_ngt_f32_e32 vcc_lo, 0xc2ce8ed0, v9
	v_fma_f32 v12, 0x3fb8aa3b, v9, -v11
	v_rndne_f32_e32 v13, v11
	s_delay_alu instid0(VALU_DEP_2) | instskip(NEXT) | instid1(VALU_DEP_2)
	v_fmac_f32_e32 v12, 0x32a5705f, v9
	v_sub_f32_e32 v11, v11, v13
	s_delay_alu instid0(VALU_DEP_1) | instskip(SKIP_1) | instid1(VALU_DEP_2)
	v_add_f32_e32 v11, v11, v12
	v_cvt_i32_f32_e32 v12, v13
	v_exp_f32_e32 v11, v11
	s_waitcnt_depctr 0xfff
	v_ldexp_f32 v11, v11, v12
	s_delay_alu instid0(VALU_DEP_1) | instskip(SKIP_1) | instid1(VALU_DEP_2)
	v_cndmask_b32_e32 v11, 0, v11, vcc_lo
	v_cmp_nlt_f32_e32 vcc_lo, 0x42b17218, v9
	v_cndmask_b32_e32 v11, 0x7f800000, v11, vcc_lo
	s_delay_alu instid0(VALU_DEP_1)
	v_mul_f32_e32 v9, v10, v11
	ds_bpermute_b32 v12, v64, v9
	s_waitcnt lgkmcnt(0)
	v_fmac_f32_e32 v12, v10, v11
	ds_store_b64 v0, v[11:12] offset:224
.LBB19_293:                             ;   in Loop: Header=BB19_10 Depth=1
	s_or_b32 exec_lo, exec_lo, s4
	v_cvt_f16_f32_e32 v0, v56
	v_cvt_f16_f32_e32 v9, v57
	;; [unrolled: 1-line block ×8, first 2 shown]
	ds_store_b16 v224, v0
	ds_store_b16 v224, v9 offset:4
	ds_store_b16 v224, v10 offset:8
	ds_store_b16 v224, v11 offset:12
	ds_store_b16 v224, v12 offset:16
	ds_store_b16 v224, v13 offset:20
	ds_store_b16 v224, v14 offset:24
	ds_store_b16 v224, v15 offset:28
	v_cvt_f16_f32_e32 v0, v48
	v_cvt_f16_f32_e32 v9, v49
	v_cvt_f16_f32_e32 v10, v50
	v_cvt_f16_f32_e32 v11, v51
	v_cvt_f16_f32_e32 v12, v52
	v_cvt_f16_f32_e32 v13, v53
	v_cvt_f16_f32_e32 v14, v54
	v_cvt_f16_f32_e32 v15, v55
	ds_store_b16 v224, v0 offset:32
	ds_store_b16 v224, v9 offset:36
	ds_store_b16 v224, v10 offset:40
	ds_store_b16 v224, v11 offset:44
	ds_store_b16 v224, v12 offset:48
	ds_store_b16 v224, v13 offset:52
	ds_store_b16 v224, v14 offset:56
	ds_store_b16 v224, v15 offset:60
	v_cvt_f16_f32_e32 v0, v40
	v_cvt_f16_f32_e32 v9, v41
	v_cvt_f16_f32_e32 v10, v42
	v_cvt_f16_f32_e32 v11, v43
	v_cvt_f16_f32_e32 v12, v44
	v_cvt_f16_f32_e32 v13, v45
	v_cvt_f16_f32_e32 v14, v46
	v_cvt_f16_f32_e32 v15, v47
	ds_store_b16 v224, v0 offset:64
	;; [unrolled: 16-line block ×6, first 2 shown]
	ds_store_b16 v224, v1 offset:196
	ds_store_b16 v224, v2 offset:200
	;; [unrolled: 1-line block ×7, first 2 shown]
	s_waitcnt lgkmcnt(0)
	s_barrier
	buffer_gl0_inv
	s_and_saveexec_b32 s7, s1
	s_cbranch_execz .LBB19_425
; %bb.294:                              ;   in Loop: Header=BB19_10 Depth=1
	s_clause 0x1
	scratch_load_b32 v0, off, off offset:344
	scratch_load_b64 v[2:3], off, off offset:312
	s_waitcnt vmcnt(1)
	v_add_nc_u32_e32 v1, s66, v0
	s_waitcnt vmcnt(0)
	v_or_b32_e32 v0, s86, v2
	v_mov_b32_e32 v2, 0x47
	s_delay_alu instid0(VALU_DEP_3) | instskip(NEXT) | instid1(VALU_DEP_3)
	v_cmp_gt_i32_e32 vcc_lo, s8, v1
	v_cmp_gt_i32_e64 s4, s33, v0
	s_delay_alu instid0(VALU_DEP_1) | instskip(NEXT) | instid1(SALU_CYCLE_1)
	s_and_b32 s5, vcc_lo, s4
	s_and_saveexec_b32 s6, s5
	s_cbranch_execz .LBB19_296
; %bb.295:                              ;   in Loop: Header=BB19_10 Depth=1
	s_clause 0x1
	scratch_load_b32 v0, off, off offset:432
	scratch_load_b32 v2, off, off offset:436
	s_waitcnt vmcnt(1)
	v_add_nc_u32_e32 v0, 0, v0
	s_waitcnt vmcnt(0)
	ds_load_2addr_stride64_b32 v[2:3], v2 offset1:15
	ds_load_2addr_b32 v[4:5], v0 offset0:56 offset1:57
	ds_load_b32 v0, v0 offset:4064
	s_clause 0x1
	scratch_load_b64 v[13:14], off, off offset:312
	scratch_load_b64 v[16:17], off, off offset:320
	s_waitcnt lgkmcnt(1)
	v_fma_mix_f32 v6, v4, v2, 0 op_sel_hi:[0,1,0]
	v_fma_mix_f32 v2, v4, v2, 0 op_sel:[0,1,0] op_sel_hi:[0,1,0]
	s_waitcnt lgkmcnt(0)
	s_delay_alu instid0(VALU_DEP_2) | instskip(NEXT) | instid1(VALU_DEP_2)
	v_fma_mix_f32 v4, v0, v3, v6 op_sel_hi:[0,1,0]
	v_fma_mix_f32 v6, v0, v3, v2 op_sel:[0,1,0] op_sel_hi:[0,1,0]
	s_delay_alu instid0(VALU_DEP_2) | instskip(NEXT) | instid1(VALU_DEP_2)
	v_div_scale_f32 v7, null, v5, v5, v4
	v_div_scale_f32 v8, null, v5, v5, v6
	v_div_scale_f32 v11, vcc_lo, v4, v5, v4
	s_delay_alu instid0(VALU_DEP_3) | instskip(NEXT) | instid1(VALU_DEP_2)
	v_rcp_f32_e32 v9, v7
	v_rcp_f32_e32 v10, v8
	v_div_scale_f32 v12, s5, v6, v5, v6
	s_waitcnt_depctr 0xfff
	v_fma_f32 v0, -v7, v9, 1.0
	v_fma_f32 v2, -v8, v10, 1.0
	s_delay_alu instid0(VALU_DEP_1) | instskip(SKIP_2) | instid1(VALU_DEP_2)
	v_dual_fmac_f32 v9, v0, v9 :: v_dual_fmac_f32 v10, v2, v10
	s_waitcnt vmcnt(1)
	v_mad_u64_u32 v[2:3], null, v1, s9, v[13:14]
	v_mul_f32_e32 v3, v11, v9
	s_delay_alu instid0(VALU_DEP_3) | instskip(NEXT) | instid1(VALU_DEP_2)
	v_mul_f32_e32 v13, v12, v10
	v_fma_f32 v14, -v7, v3, v11
	s_waitcnt vmcnt(0)
	s_delay_alu instid0(VALU_DEP_4) | instskip(NEXT) | instid1(VALU_DEP_2)
	v_mad_u64_u32 v[0:1], null, v2, 56, v[16:17]
	v_fmac_f32_e32 v3, v14, v9
	s_delay_alu instid0(VALU_DEP_2) | instskip(NEXT) | instid1(VALU_DEP_2)
	v_ashrrev_i32_e32 v1, 31, v0
	v_fma_f32 v2, -v7, v3, v11
	s_delay_alu instid0(VALU_DEP_2) | instskip(NEXT) | instid1(VALU_DEP_2)
	v_lshlrev_b64 v[0:1], 3, v[0:1]
	v_div_fmas_f32 v2, v2, v9, v3
	s_mov_b32 vcc_lo, s5
	s_delay_alu instid0(VALU_DEP_1) | instskip(SKIP_2) | instid1(VALU_DEP_1)
	v_div_fixup_f32 v3, v2, v5, v4
	v_mov_b32_e32 v2, 0
	v_fma_f32 v15, -v8, v13, v12
	v_fmac_f32_e32 v13, v15, v10
	s_delay_alu instid0(VALU_DEP_1) | instskip(NEXT) | instid1(VALU_DEP_1)
	v_fma_f32 v7, -v8, v13, v12
	v_div_fmas_f32 v7, v7, v10, v13
	v_add_co_u32 v0, vcc_lo, s41, v0
	v_add_co_ci_u32_e32 v1, vcc_lo, s59, v1, vcc_lo
	s_delay_alu instid0(VALU_DEP_3)
	v_div_fixup_f32 v4, v7, v5, v6
	global_store_b64 v[0:1], v[3:4], off
.LBB19_296:                             ;   in Loop: Header=BB19_10 Depth=1
	s_or_b32 exec_lo, exec_lo, s6
	s_mov_b32 s5, -1
	s_mov_b32 s6, exec_lo
	v_cmpx_gt_i32_e32 0x47, v2
; %bb.297:                              ;   in Loop: Header=BB19_10 Depth=1
	v_cmp_eq_u32_e32 vcc_lo, 0, v2
	s_or_not1_b32 s5, vcc_lo, exec_lo
; %bb.298:                              ;   in Loop: Header=BB19_10 Depth=1
	s_or_b32 exec_lo, exec_lo, s6
	s_and_saveexec_b32 s6, s5
	s_cbranch_execz .LBB19_371
; %bb.299:                              ;   in Loop: Header=BB19_10 Depth=1
	s_clause 0x1
	scratch_load_b32 v0, off, off offset:456
	scratch_load_b64 v[2:3], off, off offset:408
	s_waitcnt vmcnt(1)
	v_add_nc_u32_e32 v1, s66, v0
	s_waitcnt vmcnt(0)
	v_or_b32_e32 v0, s86, v2
	v_mov_b32_e32 v2, 0x47
	s_delay_alu instid0(VALU_DEP_3) | instskip(NEXT) | instid1(VALU_DEP_3)
	v_cmp_gt_i32_e32 vcc_lo, s8, v1
	v_cmp_gt_i32_e64 s5, s33, v0
	s_delay_alu instid0(VALU_DEP_1) | instskip(NEXT) | instid1(SALU_CYCLE_1)
	s_and_b32 s5, vcc_lo, s5
	s_and_saveexec_b32 s56, s5
	s_cbranch_execz .LBB19_301
; %bb.300:                              ;   in Loop: Header=BB19_10 Depth=1
	s_clause 0x1
	scratch_load_b32 v0, off, off offset:612
	scratch_load_b32 v2, off, off offset:616
	s_waitcnt vmcnt(1)
	v_add_nc_u32_e32 v0, 0, v0
	s_waitcnt vmcnt(0)
	ds_load_2addr_stride64_b32 v[2:3], v2 offset1:15
	ds_load_2addr_b32 v[4:5], v0 offset0:56 offset1:57
	ds_load_b32 v0, v0 offset:4064
	s_clause 0x1
	scratch_load_b64 v[13:14], off, off offset:408
	scratch_load_b64 v[16:17], off, off offset:320
	s_waitcnt lgkmcnt(1)
	v_fma_mix_f32 v6, v4, v2, 0 op_sel_hi:[0,1,0]
	v_fma_mix_f32 v2, v4, v2, 0 op_sel:[0,1,0] op_sel_hi:[0,1,0]
	s_waitcnt lgkmcnt(0)
	s_delay_alu instid0(VALU_DEP_2) | instskip(NEXT) | instid1(VALU_DEP_2)
	v_fma_mix_f32 v4, v0, v3, v6 op_sel_hi:[0,1,0]
	v_fma_mix_f32 v6, v0, v3, v2 op_sel:[0,1,0] op_sel_hi:[0,1,0]
	s_delay_alu instid0(VALU_DEP_2) | instskip(NEXT) | instid1(VALU_DEP_2)
	v_div_scale_f32 v7, null, v5, v5, v4
	v_div_scale_f32 v8, null, v5, v5, v6
	v_div_scale_f32 v11, vcc_lo, v4, v5, v4
	s_delay_alu instid0(VALU_DEP_3) | instskip(NEXT) | instid1(VALU_DEP_2)
	v_rcp_f32_e32 v9, v7
	v_rcp_f32_e32 v10, v8
	v_div_scale_f32 v12, s5, v6, v5, v6
	s_waitcnt_depctr 0xfff
	v_fma_f32 v0, -v7, v9, 1.0
	v_fma_f32 v2, -v8, v10, 1.0
	s_delay_alu instid0(VALU_DEP_1) | instskip(SKIP_2) | instid1(VALU_DEP_2)
	v_dual_fmac_f32 v9, v0, v9 :: v_dual_fmac_f32 v10, v2, v10
	s_waitcnt vmcnt(1)
	v_mad_u64_u32 v[2:3], null, v1, s9, v[13:14]
	v_mul_f32_e32 v3, v11, v9
	s_delay_alu instid0(VALU_DEP_3) | instskip(NEXT) | instid1(VALU_DEP_2)
	v_mul_f32_e32 v13, v12, v10
	v_fma_f32 v14, -v7, v3, v11
	s_waitcnt vmcnt(0)
	s_delay_alu instid0(VALU_DEP_4) | instskip(NEXT) | instid1(VALU_DEP_2)
	v_mad_u64_u32 v[0:1], null, v2, 56, v[16:17]
	v_fmac_f32_e32 v3, v14, v9
	s_delay_alu instid0(VALU_DEP_2) | instskip(NEXT) | instid1(VALU_DEP_2)
	v_ashrrev_i32_e32 v1, 31, v0
	v_fma_f32 v2, -v7, v3, v11
	s_delay_alu instid0(VALU_DEP_2) | instskip(NEXT) | instid1(VALU_DEP_2)
	v_lshlrev_b64 v[0:1], 3, v[0:1]
	v_div_fmas_f32 v2, v2, v9, v3
	s_mov_b32 vcc_lo, s5
	s_delay_alu instid0(VALU_DEP_1) | instskip(SKIP_2) | instid1(VALU_DEP_1)
	v_div_fixup_f32 v3, v2, v5, v4
	v_mov_b32_e32 v2, 0
	v_fma_f32 v15, -v8, v13, v12
	v_fmac_f32_e32 v13, v15, v10
	s_delay_alu instid0(VALU_DEP_1) | instskip(NEXT) | instid1(VALU_DEP_1)
	v_fma_f32 v7, -v8, v13, v12
	v_div_fmas_f32 v7, v7, v10, v13
	v_add_co_u32 v0, vcc_lo, s41, v0
	v_add_co_ci_u32_e32 v1, vcc_lo, s59, v1, vcc_lo
	s_delay_alu instid0(VALU_DEP_3)
	v_div_fixup_f32 v4, v7, v5, v6
	global_store_b64 v[0:1], v[3:4], off
.LBB19_301:                             ;   in Loop: Header=BB19_10 Depth=1
	s_or_b32 exec_lo, exec_lo, s56
	s_mov_b32 s5, -1
	s_mov_b32 s56, exec_lo
	v_cmpx_gt_i32_e32 0x47, v2
; %bb.302:                              ;   in Loop: Header=BB19_10 Depth=1
	v_cmp_eq_u32_e32 vcc_lo, 0, v2
	s_or_not1_b32 s5, vcc_lo, exec_lo
; %bb.303:                              ;   in Loop: Header=BB19_10 Depth=1
	s_or_b32 exec_lo, exec_lo, s56
	s_delay_alu instid0(SALU_CYCLE_1)
	s_and_b32 exec_lo, exec_lo, s5
	s_cbranch_execz .LBB19_371
; %bb.304:                              ;   in Loop: Header=BB19_10 Depth=1
	s_clause 0x1
	scratch_load_b32 v0, off, off offset:640
	scratch_load_b64 v[2:3], off, off offset:588
	s_waitcnt vmcnt(1)
	v_add_nc_u32_e32 v1, s66, v0
	s_waitcnt vmcnt(0)
	v_or_b32_e32 v0, s86, v2
	v_mov_b32_e32 v2, 0x47
	s_delay_alu instid0(VALU_DEP_3) | instskip(NEXT) | instid1(VALU_DEP_3)
	v_cmp_gt_i32_e32 vcc_lo, s8, v1
	v_cmp_gt_i32_e64 s5, s33, v0
	s_delay_alu instid0(VALU_DEP_1) | instskip(NEXT) | instid1(SALU_CYCLE_1)
	s_and_b32 s5, vcc_lo, s5
	s_and_saveexec_b32 s56, s5
	s_cbranch_execz .LBB19_306
; %bb.305:                              ;   in Loop: Header=BB19_10 Depth=1
	s_clause 0x1
	scratch_load_b32 v0, off, off offset:672
	scratch_load_b32 v2, off, off offset:676
	s_waitcnt vmcnt(1)
	v_add_nc_u32_e32 v0, 0, v0
	s_waitcnt vmcnt(0)
	ds_load_2addr_stride64_b32 v[2:3], v2 offset1:15
	ds_load_2addr_b32 v[4:5], v0 offset0:56 offset1:57
	ds_load_b32 v0, v0 offset:4064
	s_clause 0x1
	scratch_load_b64 v[13:14], off, off offset:588
	scratch_load_b64 v[16:17], off, off offset:320
	s_waitcnt lgkmcnt(1)
	v_fma_mix_f32 v6, v4, v2, 0 op_sel_hi:[0,1,0]
	v_fma_mix_f32 v2, v4, v2, 0 op_sel:[0,1,0] op_sel_hi:[0,1,0]
	s_waitcnt lgkmcnt(0)
	s_delay_alu instid0(VALU_DEP_2) | instskip(NEXT) | instid1(VALU_DEP_2)
	v_fma_mix_f32 v4, v0, v3, v6 op_sel_hi:[0,1,0]
	v_fma_mix_f32 v6, v0, v3, v2 op_sel:[0,1,0] op_sel_hi:[0,1,0]
	s_delay_alu instid0(VALU_DEP_2) | instskip(NEXT) | instid1(VALU_DEP_2)
	v_div_scale_f32 v7, null, v5, v5, v4
	v_div_scale_f32 v8, null, v5, v5, v6
	v_div_scale_f32 v11, vcc_lo, v4, v5, v4
	s_delay_alu instid0(VALU_DEP_3) | instskip(NEXT) | instid1(VALU_DEP_2)
	v_rcp_f32_e32 v9, v7
	v_rcp_f32_e32 v10, v8
	v_div_scale_f32 v12, s5, v6, v5, v6
	s_waitcnt_depctr 0xfff
	v_fma_f32 v0, -v7, v9, 1.0
	v_fma_f32 v2, -v8, v10, 1.0
	s_delay_alu instid0(VALU_DEP_1) | instskip(SKIP_2) | instid1(VALU_DEP_2)
	v_dual_fmac_f32 v9, v0, v9 :: v_dual_fmac_f32 v10, v2, v10
	s_waitcnt vmcnt(1)
	v_mad_u64_u32 v[2:3], null, v1, s9, v[13:14]
	v_mul_f32_e32 v3, v11, v9
	s_delay_alu instid0(VALU_DEP_3) | instskip(NEXT) | instid1(VALU_DEP_2)
	v_mul_f32_e32 v13, v12, v10
	v_fma_f32 v14, -v7, v3, v11
	s_waitcnt vmcnt(0)
	s_delay_alu instid0(VALU_DEP_4) | instskip(NEXT) | instid1(VALU_DEP_2)
	v_mad_u64_u32 v[0:1], null, v2, 56, v[16:17]
	v_fmac_f32_e32 v3, v14, v9
	s_delay_alu instid0(VALU_DEP_2) | instskip(NEXT) | instid1(VALU_DEP_2)
	v_ashrrev_i32_e32 v1, 31, v0
	v_fma_f32 v2, -v7, v3, v11
	s_delay_alu instid0(VALU_DEP_2) | instskip(NEXT) | instid1(VALU_DEP_2)
	v_lshlrev_b64 v[0:1], 3, v[0:1]
	v_div_fmas_f32 v2, v2, v9, v3
	s_mov_b32 vcc_lo, s5
	s_delay_alu instid0(VALU_DEP_1) | instskip(SKIP_2) | instid1(VALU_DEP_1)
	v_div_fixup_f32 v3, v2, v5, v4
	v_mov_b32_e32 v2, 0
	v_fma_f32 v15, -v8, v13, v12
	v_fmac_f32_e32 v13, v15, v10
	s_delay_alu instid0(VALU_DEP_1) | instskip(NEXT) | instid1(VALU_DEP_1)
	v_fma_f32 v7, -v8, v13, v12
	v_div_fmas_f32 v7, v7, v10, v13
	v_add_co_u32 v0, vcc_lo, s41, v0
	v_add_co_ci_u32_e32 v1, vcc_lo, s59, v1, vcc_lo
	s_delay_alu instid0(VALU_DEP_3)
	v_div_fixup_f32 v4, v7, v5, v6
	global_store_b64 v[0:1], v[3:4], off
.LBB19_306:                             ;   in Loop: Header=BB19_10 Depth=1
	s_or_b32 exec_lo, exec_lo, s56
	s_mov_b32 s5, -1
	s_mov_b32 s56, exec_lo
	v_cmpx_gt_i32_e32 0x47, v2
; %bb.307:                              ;   in Loop: Header=BB19_10 Depth=1
	v_cmp_eq_u32_e32 vcc_lo, 0, v2
	s_or_not1_b32 s5, vcc_lo, exec_lo
; %bb.308:                              ;   in Loop: Header=BB19_10 Depth=1
	s_or_b32 exec_lo, exec_lo, s56
	s_delay_alu instid0(SALU_CYCLE_1)
	s_and_b32 exec_lo, exec_lo, s5
	s_cbranch_execz .LBB19_371
; %bb.309:                              ;   in Loop: Header=BB19_10 Depth=1
	s_clause 0x1
	scratch_load_b32 v0, off, off offset:696
	scratch_load_b64 v[2:3], off, off offset:648
	s_waitcnt vmcnt(1)
	v_add_nc_u32_e32 v1, s66, v0
	s_waitcnt vmcnt(0)
	v_or_b32_e32 v0, s86, v2
	v_mov_b32_e32 v2, 0x47
	s_delay_alu instid0(VALU_DEP_3) | instskip(NEXT) | instid1(VALU_DEP_3)
	v_cmp_gt_i32_e32 vcc_lo, s8, v1
	v_cmp_gt_i32_e64 s5, s33, v0
	s_delay_alu instid0(VALU_DEP_1) | instskip(NEXT) | instid1(SALU_CYCLE_1)
	s_and_b32 s5, vcc_lo, s5
	s_and_saveexec_b32 s56, s5
	s_cbranch_execz .LBB19_311
; %bb.310:                              ;   in Loop: Header=BB19_10 Depth=1
	s_clause 0x1
	scratch_load_b32 v0, off, off offset:724
	scratch_load_b32 v2, off, off offset:728
	s_waitcnt vmcnt(1)
	v_add_nc_u32_e32 v0, 0, v0
	s_waitcnt vmcnt(0)
	ds_load_2addr_stride64_b32 v[2:3], v2 offset1:15
	ds_load_2addr_b32 v[4:5], v0 offset0:56 offset1:57
	ds_load_b32 v0, v0 offset:4064
	s_clause 0x1
	scratch_load_b64 v[13:14], off, off offset:648
	scratch_load_b64 v[16:17], off, off offset:320
	s_waitcnt lgkmcnt(1)
	v_fma_mix_f32 v6, v4, v2, 0 op_sel_hi:[0,1,0]
	v_fma_mix_f32 v2, v4, v2, 0 op_sel:[0,1,0] op_sel_hi:[0,1,0]
	s_waitcnt lgkmcnt(0)
	s_delay_alu instid0(VALU_DEP_2) | instskip(NEXT) | instid1(VALU_DEP_2)
	v_fma_mix_f32 v4, v0, v3, v6 op_sel_hi:[0,1,0]
	v_fma_mix_f32 v6, v0, v3, v2 op_sel:[0,1,0] op_sel_hi:[0,1,0]
	s_delay_alu instid0(VALU_DEP_2) | instskip(NEXT) | instid1(VALU_DEP_2)
	v_div_scale_f32 v7, null, v5, v5, v4
	v_div_scale_f32 v8, null, v5, v5, v6
	v_div_scale_f32 v11, vcc_lo, v4, v5, v4
	s_delay_alu instid0(VALU_DEP_3) | instskip(NEXT) | instid1(VALU_DEP_2)
	v_rcp_f32_e32 v9, v7
	v_rcp_f32_e32 v10, v8
	v_div_scale_f32 v12, s5, v6, v5, v6
	s_waitcnt_depctr 0xfff
	v_fma_f32 v0, -v7, v9, 1.0
	v_fma_f32 v2, -v8, v10, 1.0
	s_delay_alu instid0(VALU_DEP_1) | instskip(SKIP_2) | instid1(VALU_DEP_2)
	v_dual_fmac_f32 v9, v0, v9 :: v_dual_fmac_f32 v10, v2, v10
	s_waitcnt vmcnt(1)
	v_mad_u64_u32 v[2:3], null, v1, s9, v[13:14]
	v_mul_f32_e32 v3, v11, v9
	s_delay_alu instid0(VALU_DEP_3) | instskip(NEXT) | instid1(VALU_DEP_2)
	v_mul_f32_e32 v13, v12, v10
	v_fma_f32 v14, -v7, v3, v11
	s_waitcnt vmcnt(0)
	s_delay_alu instid0(VALU_DEP_4) | instskip(NEXT) | instid1(VALU_DEP_2)
	v_mad_u64_u32 v[0:1], null, v2, 56, v[16:17]
	v_fmac_f32_e32 v3, v14, v9
	s_delay_alu instid0(VALU_DEP_2) | instskip(NEXT) | instid1(VALU_DEP_2)
	v_ashrrev_i32_e32 v1, 31, v0
	v_fma_f32 v2, -v7, v3, v11
	s_delay_alu instid0(VALU_DEP_2) | instskip(NEXT) | instid1(VALU_DEP_2)
	v_lshlrev_b64 v[0:1], 3, v[0:1]
	v_div_fmas_f32 v2, v2, v9, v3
	s_mov_b32 vcc_lo, s5
	s_delay_alu instid0(VALU_DEP_1) | instskip(SKIP_2) | instid1(VALU_DEP_1)
	v_div_fixup_f32 v3, v2, v5, v4
	v_mov_b32_e32 v2, 0
	v_fma_f32 v15, -v8, v13, v12
	v_fmac_f32_e32 v13, v15, v10
	s_delay_alu instid0(VALU_DEP_1) | instskip(NEXT) | instid1(VALU_DEP_1)
	v_fma_f32 v7, -v8, v13, v12
	v_div_fmas_f32 v7, v7, v10, v13
	v_add_co_u32 v0, vcc_lo, s41, v0
	v_add_co_ci_u32_e32 v1, vcc_lo, s59, v1, vcc_lo
	s_delay_alu instid0(VALU_DEP_3)
	v_div_fixup_f32 v4, v7, v5, v6
	global_store_b64 v[0:1], v[3:4], off
.LBB19_311:                             ;   in Loop: Header=BB19_10 Depth=1
	s_or_b32 exec_lo, exec_lo, s56
	s_mov_b32 s5, -1
	s_mov_b32 s56, exec_lo
	v_cmpx_gt_i32_e32 0x47, v2
; %bb.312:                              ;   in Loop: Header=BB19_10 Depth=1
	v_cmp_eq_u32_e32 vcc_lo, 0, v2
	s_or_not1_b32 s5, vcc_lo, exec_lo
; %bb.313:                              ;   in Loop: Header=BB19_10 Depth=1
	s_or_b32 exec_lo, exec_lo, s56
	s_delay_alu instid0(SALU_CYCLE_1)
	s_and_b32 exec_lo, exec_lo, s5
	s_cbranch_execz .LBB19_371
; %bb.314:                              ;   in Loop: Header=BB19_10 Depth=1
	s_clause 0x1
	scratch_load_b32 v0, off, off offset:752
	scratch_load_b64 v[2:3], off, off offset:712
	s_waitcnt vmcnt(1)
	v_add_nc_u32_e32 v1, s66, v0
	s_waitcnt vmcnt(0)
	v_or_b32_e32 v0, s86, v2
	v_mov_b32_e32 v2, 0x47
	s_delay_alu instid0(VALU_DEP_3) | instskip(NEXT) | instid1(VALU_DEP_3)
	v_cmp_gt_i32_e32 vcc_lo, s8, v1
	v_cmp_gt_i32_e64 s5, s33, v0
	s_delay_alu instid0(VALU_DEP_1) | instskip(NEXT) | instid1(SALU_CYCLE_1)
	s_and_b32 s5, vcc_lo, s5
	s_and_saveexec_b32 s56, s5
	s_cbranch_execz .LBB19_316
; %bb.315:                              ;   in Loop: Header=BB19_10 Depth=1
	s_clause 0x1
	scratch_load_b32 v0, off, off offset:808
	scratch_load_b32 v2, off, off offset:812
	s_waitcnt vmcnt(1)
	v_add_nc_u32_e32 v0, 0, v0
	s_waitcnt vmcnt(0)
	ds_load_2addr_stride64_b32 v[2:3], v2 offset1:15
	ds_load_2addr_b32 v[4:5], v0 offset0:56 offset1:57
	ds_load_b32 v0, v0 offset:4064
	s_clause 0x1
	scratch_load_b64 v[13:14], off, off offset:712
	scratch_load_b64 v[16:17], off, off offset:320
	s_waitcnt lgkmcnt(1)
	v_fma_mix_f32 v6, v4, v2, 0 op_sel_hi:[0,1,0]
	v_fma_mix_f32 v2, v4, v2, 0 op_sel:[0,1,0] op_sel_hi:[0,1,0]
	s_waitcnt lgkmcnt(0)
	s_delay_alu instid0(VALU_DEP_2) | instskip(NEXT) | instid1(VALU_DEP_2)
	v_fma_mix_f32 v4, v0, v3, v6 op_sel_hi:[0,1,0]
	v_fma_mix_f32 v6, v0, v3, v2 op_sel:[0,1,0] op_sel_hi:[0,1,0]
	s_delay_alu instid0(VALU_DEP_2) | instskip(NEXT) | instid1(VALU_DEP_2)
	v_div_scale_f32 v7, null, v5, v5, v4
	v_div_scale_f32 v8, null, v5, v5, v6
	v_div_scale_f32 v11, vcc_lo, v4, v5, v4
	s_delay_alu instid0(VALU_DEP_3) | instskip(NEXT) | instid1(VALU_DEP_2)
	v_rcp_f32_e32 v9, v7
	v_rcp_f32_e32 v10, v8
	v_div_scale_f32 v12, s5, v6, v5, v6
	s_waitcnt_depctr 0xfff
	v_fma_f32 v0, -v7, v9, 1.0
	v_fma_f32 v2, -v8, v10, 1.0
	s_delay_alu instid0(VALU_DEP_1) | instskip(SKIP_2) | instid1(VALU_DEP_2)
	v_dual_fmac_f32 v9, v0, v9 :: v_dual_fmac_f32 v10, v2, v10
	s_waitcnt vmcnt(1)
	v_mad_u64_u32 v[2:3], null, v1, s9, v[13:14]
	v_mul_f32_e32 v3, v11, v9
	s_delay_alu instid0(VALU_DEP_3) | instskip(NEXT) | instid1(VALU_DEP_2)
	v_mul_f32_e32 v13, v12, v10
	v_fma_f32 v14, -v7, v3, v11
	s_waitcnt vmcnt(0)
	s_delay_alu instid0(VALU_DEP_4) | instskip(NEXT) | instid1(VALU_DEP_2)
	v_mad_u64_u32 v[0:1], null, v2, 56, v[16:17]
	v_fmac_f32_e32 v3, v14, v9
	s_delay_alu instid0(VALU_DEP_2) | instskip(NEXT) | instid1(VALU_DEP_2)
	v_ashrrev_i32_e32 v1, 31, v0
	v_fma_f32 v2, -v7, v3, v11
	s_delay_alu instid0(VALU_DEP_2) | instskip(NEXT) | instid1(VALU_DEP_2)
	v_lshlrev_b64 v[0:1], 3, v[0:1]
	v_div_fmas_f32 v2, v2, v9, v3
	s_mov_b32 vcc_lo, s5
	s_delay_alu instid0(VALU_DEP_1) | instskip(SKIP_2) | instid1(VALU_DEP_1)
	v_div_fixup_f32 v3, v2, v5, v4
	v_mov_b32_e32 v2, 0
	v_fma_f32 v15, -v8, v13, v12
	v_fmac_f32_e32 v13, v15, v10
	s_delay_alu instid0(VALU_DEP_1) | instskip(NEXT) | instid1(VALU_DEP_1)
	v_fma_f32 v7, -v8, v13, v12
	v_div_fmas_f32 v7, v7, v10, v13
	v_add_co_u32 v0, vcc_lo, s41, v0
	v_add_co_ci_u32_e32 v1, vcc_lo, s59, v1, vcc_lo
	s_delay_alu instid0(VALU_DEP_3)
	v_div_fixup_f32 v4, v7, v5, v6
	global_store_b64 v[0:1], v[3:4], off
.LBB19_316:                             ;   in Loop: Header=BB19_10 Depth=1
	s_or_b32 exec_lo, exec_lo, s56
	s_mov_b32 s5, -1
	s_mov_b32 s56, exec_lo
	v_cmpx_gt_i32_e32 0x47, v2
; %bb.317:                              ;   in Loop: Header=BB19_10 Depth=1
	v_cmp_eq_u32_e32 vcc_lo, 0, v2
	s_or_not1_b32 s5, vcc_lo, exec_lo
; %bb.318:                              ;   in Loop: Header=BB19_10 Depth=1
	s_or_b32 exec_lo, exec_lo, s56
	s_delay_alu instid0(SALU_CYCLE_1)
	s_and_b32 exec_lo, exec_lo, s5
	s_cbranch_execz .LBB19_371
; %bb.319:                              ;   in Loop: Header=BB19_10 Depth=1
	s_clause 0x1
	scratch_load_b32 v0, off, off offset:824
	scratch_load_b64 v[2:3], off, off offset:792
	s_waitcnt vmcnt(1)
	v_add_nc_u32_e32 v1, s66, v0
	s_waitcnt vmcnt(0)
	v_or_b32_e32 v0, s86, v2
	v_mov_b32_e32 v2, 0x47
	s_delay_alu instid0(VALU_DEP_3) | instskip(NEXT) | instid1(VALU_DEP_3)
	v_cmp_gt_i32_e32 vcc_lo, s8, v1
	v_cmp_gt_i32_e64 s5, s33, v0
	s_delay_alu instid0(VALU_DEP_1) | instskip(NEXT) | instid1(SALU_CYCLE_1)
	s_and_b32 s5, vcc_lo, s5
	s_and_saveexec_b32 s56, s5
	s_cbranch_execz .LBB19_321
; %bb.320:                              ;   in Loop: Header=BB19_10 Depth=1
	s_clause 0x1
	scratch_load_b32 v0, off, off offset:848
	scratch_load_b32 v2, off, off offset:852
	s_waitcnt vmcnt(1)
	v_add_nc_u32_e32 v0, 0, v0
	s_waitcnt vmcnt(0)
	ds_load_2addr_stride64_b32 v[2:3], v2 offset1:15
	ds_load_2addr_b32 v[4:5], v0 offset0:56 offset1:57
	ds_load_b32 v0, v0 offset:4064
	s_clause 0x1
	scratch_load_b64 v[13:14], off, off offset:792
	scratch_load_b64 v[16:17], off, off offset:320
	s_waitcnt lgkmcnt(1)
	v_fma_mix_f32 v6, v4, v2, 0 op_sel_hi:[0,1,0]
	v_fma_mix_f32 v2, v4, v2, 0 op_sel:[0,1,0] op_sel_hi:[0,1,0]
	s_waitcnt lgkmcnt(0)
	s_delay_alu instid0(VALU_DEP_2) | instskip(NEXT) | instid1(VALU_DEP_2)
	v_fma_mix_f32 v4, v0, v3, v6 op_sel_hi:[0,1,0]
	v_fma_mix_f32 v6, v0, v3, v2 op_sel:[0,1,0] op_sel_hi:[0,1,0]
	s_delay_alu instid0(VALU_DEP_2) | instskip(NEXT) | instid1(VALU_DEP_2)
	v_div_scale_f32 v7, null, v5, v5, v4
	v_div_scale_f32 v8, null, v5, v5, v6
	v_div_scale_f32 v11, vcc_lo, v4, v5, v4
	s_delay_alu instid0(VALU_DEP_3) | instskip(NEXT) | instid1(VALU_DEP_2)
	v_rcp_f32_e32 v9, v7
	v_rcp_f32_e32 v10, v8
	v_div_scale_f32 v12, s5, v6, v5, v6
	s_waitcnt_depctr 0xfff
	v_fma_f32 v0, -v7, v9, 1.0
	v_fma_f32 v2, -v8, v10, 1.0
	s_delay_alu instid0(VALU_DEP_1) | instskip(SKIP_2) | instid1(VALU_DEP_2)
	v_dual_fmac_f32 v9, v0, v9 :: v_dual_fmac_f32 v10, v2, v10
	s_waitcnt vmcnt(1)
	v_mad_u64_u32 v[2:3], null, v1, s9, v[13:14]
	v_mul_f32_e32 v3, v11, v9
	s_delay_alu instid0(VALU_DEP_3) | instskip(NEXT) | instid1(VALU_DEP_2)
	v_mul_f32_e32 v13, v12, v10
	v_fma_f32 v14, -v7, v3, v11
	s_waitcnt vmcnt(0)
	s_delay_alu instid0(VALU_DEP_4) | instskip(NEXT) | instid1(VALU_DEP_2)
	v_mad_u64_u32 v[0:1], null, v2, 56, v[16:17]
	v_fmac_f32_e32 v3, v14, v9
	s_delay_alu instid0(VALU_DEP_2) | instskip(NEXT) | instid1(VALU_DEP_2)
	v_ashrrev_i32_e32 v1, 31, v0
	v_fma_f32 v2, -v7, v3, v11
	s_delay_alu instid0(VALU_DEP_2) | instskip(NEXT) | instid1(VALU_DEP_2)
	v_lshlrev_b64 v[0:1], 3, v[0:1]
	v_div_fmas_f32 v2, v2, v9, v3
	s_mov_b32 vcc_lo, s5
	s_delay_alu instid0(VALU_DEP_1) | instskip(SKIP_2) | instid1(VALU_DEP_1)
	v_div_fixup_f32 v3, v2, v5, v4
	v_mov_b32_e32 v2, 0
	v_fma_f32 v15, -v8, v13, v12
	v_fmac_f32_e32 v13, v15, v10
	s_delay_alu instid0(VALU_DEP_1) | instskip(NEXT) | instid1(VALU_DEP_1)
	v_fma_f32 v7, -v8, v13, v12
	v_div_fmas_f32 v7, v7, v10, v13
	v_add_co_u32 v0, vcc_lo, s41, v0
	v_add_co_ci_u32_e32 v1, vcc_lo, s59, v1, vcc_lo
	s_delay_alu instid0(VALU_DEP_3)
	v_div_fixup_f32 v4, v7, v5, v6
	global_store_b64 v[0:1], v[3:4], off
.LBB19_321:                             ;   in Loop: Header=BB19_10 Depth=1
	s_or_b32 exec_lo, exec_lo, s56
	s_mov_b32 s5, -1
	s_mov_b32 s56, exec_lo
	v_cmpx_gt_i32_e32 0x47, v2
; %bb.322:                              ;   in Loop: Header=BB19_10 Depth=1
	v_cmp_eq_u32_e32 vcc_lo, 0, v2
	s_or_not1_b32 s5, vcc_lo, exec_lo
; %bb.323:                              ;   in Loop: Header=BB19_10 Depth=1
	s_or_b32 exec_lo, exec_lo, s56
	s_delay_alu instid0(SALU_CYCLE_1)
	s_and_b32 exec_lo, exec_lo, s5
	s_cbranch_execz .LBB19_371
; %bb.324:                              ;   in Loop: Header=BB19_10 Depth=1
	s_clause 0x1
	scratch_load_b32 v0, off, off offset:864
	scratch_load_b64 v[2:3], off, off offset:832
	s_waitcnt vmcnt(1)
	v_add_nc_u32_e32 v1, s66, v0
	s_waitcnt vmcnt(0)
	v_or_b32_e32 v0, s86, v2
	v_mov_b32_e32 v2, 0x47
	s_delay_alu instid0(VALU_DEP_3) | instskip(NEXT) | instid1(VALU_DEP_3)
	v_cmp_gt_i32_e32 vcc_lo, s8, v1
	v_cmp_gt_i32_e64 s5, s33, v0
	s_delay_alu instid0(VALU_DEP_1) | instskip(NEXT) | instid1(SALU_CYCLE_1)
	s_and_b32 s5, vcc_lo, s5
	s_and_saveexec_b32 s56, s5
	s_cbranch_execz .LBB19_326
; %bb.325:                              ;   in Loop: Header=BB19_10 Depth=1
	s_clause 0x1
	scratch_load_b32 v0, off, off offset:888
	scratch_load_b32 v2, off, off offset:892
	s_waitcnt vmcnt(1)
	v_add_nc_u32_e32 v0, 0, v0
	s_waitcnt vmcnt(0)
	ds_load_2addr_stride64_b32 v[2:3], v2 offset1:15
	ds_load_2addr_b32 v[4:5], v0 offset0:56 offset1:57
	ds_load_b32 v0, v0 offset:4064
	s_clause 0x1
	scratch_load_b64 v[13:14], off, off offset:832
	scratch_load_b64 v[16:17], off, off offset:320
	s_waitcnt lgkmcnt(1)
	v_fma_mix_f32 v6, v4, v2, 0 op_sel_hi:[0,1,0]
	v_fma_mix_f32 v2, v4, v2, 0 op_sel:[0,1,0] op_sel_hi:[0,1,0]
	s_waitcnt lgkmcnt(0)
	s_delay_alu instid0(VALU_DEP_2) | instskip(NEXT) | instid1(VALU_DEP_2)
	v_fma_mix_f32 v4, v0, v3, v6 op_sel_hi:[0,1,0]
	v_fma_mix_f32 v6, v0, v3, v2 op_sel:[0,1,0] op_sel_hi:[0,1,0]
	s_delay_alu instid0(VALU_DEP_2) | instskip(NEXT) | instid1(VALU_DEP_2)
	v_div_scale_f32 v7, null, v5, v5, v4
	v_div_scale_f32 v8, null, v5, v5, v6
	v_div_scale_f32 v11, vcc_lo, v4, v5, v4
	s_delay_alu instid0(VALU_DEP_3) | instskip(NEXT) | instid1(VALU_DEP_2)
	v_rcp_f32_e32 v9, v7
	v_rcp_f32_e32 v10, v8
	v_div_scale_f32 v12, s5, v6, v5, v6
	s_waitcnt_depctr 0xfff
	v_fma_f32 v0, -v7, v9, 1.0
	v_fma_f32 v2, -v8, v10, 1.0
	s_delay_alu instid0(VALU_DEP_1) | instskip(SKIP_2) | instid1(VALU_DEP_2)
	v_dual_fmac_f32 v9, v0, v9 :: v_dual_fmac_f32 v10, v2, v10
	s_waitcnt vmcnt(1)
	v_mad_u64_u32 v[2:3], null, v1, s9, v[13:14]
	v_mul_f32_e32 v3, v11, v9
	s_delay_alu instid0(VALU_DEP_3) | instskip(NEXT) | instid1(VALU_DEP_2)
	v_mul_f32_e32 v13, v12, v10
	v_fma_f32 v14, -v7, v3, v11
	s_waitcnt vmcnt(0)
	s_delay_alu instid0(VALU_DEP_4) | instskip(NEXT) | instid1(VALU_DEP_2)
	v_mad_u64_u32 v[0:1], null, v2, 56, v[16:17]
	v_fmac_f32_e32 v3, v14, v9
	s_delay_alu instid0(VALU_DEP_2) | instskip(NEXT) | instid1(VALU_DEP_2)
	v_ashrrev_i32_e32 v1, 31, v0
	v_fma_f32 v2, -v7, v3, v11
	s_delay_alu instid0(VALU_DEP_2) | instskip(NEXT) | instid1(VALU_DEP_2)
	v_lshlrev_b64 v[0:1], 3, v[0:1]
	v_div_fmas_f32 v2, v2, v9, v3
	s_mov_b32 vcc_lo, s5
	s_delay_alu instid0(VALU_DEP_1) | instskip(SKIP_2) | instid1(VALU_DEP_1)
	v_div_fixup_f32 v3, v2, v5, v4
	v_mov_b32_e32 v2, 0
	v_fma_f32 v15, -v8, v13, v12
	v_fmac_f32_e32 v13, v15, v10
	s_delay_alu instid0(VALU_DEP_1) | instskip(NEXT) | instid1(VALU_DEP_1)
	v_fma_f32 v7, -v8, v13, v12
	v_div_fmas_f32 v7, v7, v10, v13
	v_add_co_u32 v0, vcc_lo, s41, v0
	v_add_co_ci_u32_e32 v1, vcc_lo, s59, v1, vcc_lo
	s_delay_alu instid0(VALU_DEP_3)
	v_div_fixup_f32 v4, v7, v5, v6
	global_store_b64 v[0:1], v[3:4], off
.LBB19_326:                             ;   in Loop: Header=BB19_10 Depth=1
	s_or_b32 exec_lo, exec_lo, s56
	s_mov_b32 s5, -1
	s_mov_b32 s56, exec_lo
	v_cmpx_gt_i32_e32 0x47, v2
; %bb.327:                              ;   in Loop: Header=BB19_10 Depth=1
	v_cmp_eq_u32_e32 vcc_lo, 0, v2
	s_or_not1_b32 s5, vcc_lo, exec_lo
; %bb.328:                              ;   in Loop: Header=BB19_10 Depth=1
	s_or_b32 exec_lo, exec_lo, s56
	s_delay_alu instid0(SALU_CYCLE_1)
	s_and_b32 exec_lo, exec_lo, s5
	s_cbranch_execz .LBB19_371
; %bb.329:                              ;   in Loop: Header=BB19_10 Depth=1
	s_clause 0x1
	scratch_load_b32 v0, off, off offset:904
	scratch_load_b64 v[2:3], off, off offset:872
	s_waitcnt vmcnt(1)
	v_add_nc_u32_e32 v1, s66, v0
	s_waitcnt vmcnt(0)
	v_or_b32_e32 v0, s86, v2
	v_mov_b32_e32 v2, 0x47
	s_delay_alu instid0(VALU_DEP_3) | instskip(NEXT) | instid1(VALU_DEP_3)
	v_cmp_gt_i32_e32 vcc_lo, s8, v1
	v_cmp_gt_i32_e64 s5, s33, v0
	s_delay_alu instid0(VALU_DEP_1) | instskip(NEXT) | instid1(SALU_CYCLE_1)
	s_and_b32 s5, vcc_lo, s5
	s_and_saveexec_b32 s56, s5
	s_cbranch_execz .LBB19_331
; %bb.330:                              ;   in Loop: Header=BB19_10 Depth=1
	s_clause 0x1
	scratch_load_b32 v0, off, off offset:912
	scratch_load_b32 v2, off, off offset:916
	s_waitcnt vmcnt(1)
	v_add_nc_u32_e32 v0, 0, v0
	s_waitcnt vmcnt(0)
	ds_load_2addr_stride64_b32 v[2:3], v2 offset1:15
	ds_load_2addr_b32 v[4:5], v0 offset0:56 offset1:57
	ds_load_b32 v0, v0 offset:4064
	s_clause 0x1
	scratch_load_b64 v[13:14], off, off offset:872
	scratch_load_b64 v[16:17], off, off offset:320
	s_waitcnt lgkmcnt(1)
	v_fma_mix_f32 v6, v4, v2, 0 op_sel_hi:[0,1,0]
	v_fma_mix_f32 v2, v4, v2, 0 op_sel:[0,1,0] op_sel_hi:[0,1,0]
	s_waitcnt lgkmcnt(0)
	s_delay_alu instid0(VALU_DEP_2) | instskip(NEXT) | instid1(VALU_DEP_2)
	v_fma_mix_f32 v4, v0, v3, v6 op_sel_hi:[0,1,0]
	v_fma_mix_f32 v6, v0, v3, v2 op_sel:[0,1,0] op_sel_hi:[0,1,0]
	s_delay_alu instid0(VALU_DEP_2) | instskip(NEXT) | instid1(VALU_DEP_2)
	v_div_scale_f32 v7, null, v5, v5, v4
	v_div_scale_f32 v8, null, v5, v5, v6
	v_div_scale_f32 v11, vcc_lo, v4, v5, v4
	s_delay_alu instid0(VALU_DEP_3) | instskip(NEXT) | instid1(VALU_DEP_2)
	v_rcp_f32_e32 v9, v7
	v_rcp_f32_e32 v10, v8
	v_div_scale_f32 v12, s5, v6, v5, v6
	s_waitcnt_depctr 0xfff
	v_fma_f32 v0, -v7, v9, 1.0
	v_fma_f32 v2, -v8, v10, 1.0
	s_delay_alu instid0(VALU_DEP_1) | instskip(SKIP_2) | instid1(VALU_DEP_2)
	v_dual_fmac_f32 v9, v0, v9 :: v_dual_fmac_f32 v10, v2, v10
	s_waitcnt vmcnt(1)
	v_mad_u64_u32 v[2:3], null, v1, s9, v[13:14]
	v_mul_f32_e32 v3, v11, v9
	s_delay_alu instid0(VALU_DEP_3) | instskip(NEXT) | instid1(VALU_DEP_2)
	v_mul_f32_e32 v13, v12, v10
	v_fma_f32 v14, -v7, v3, v11
	s_waitcnt vmcnt(0)
	s_delay_alu instid0(VALU_DEP_4) | instskip(NEXT) | instid1(VALU_DEP_2)
	v_mad_u64_u32 v[0:1], null, v2, 56, v[16:17]
	v_fmac_f32_e32 v3, v14, v9
	s_delay_alu instid0(VALU_DEP_2) | instskip(NEXT) | instid1(VALU_DEP_2)
	v_ashrrev_i32_e32 v1, 31, v0
	v_fma_f32 v2, -v7, v3, v11
	s_delay_alu instid0(VALU_DEP_2) | instskip(NEXT) | instid1(VALU_DEP_2)
	v_lshlrev_b64 v[0:1], 3, v[0:1]
	v_div_fmas_f32 v2, v2, v9, v3
	s_mov_b32 vcc_lo, s5
	s_delay_alu instid0(VALU_DEP_1) | instskip(SKIP_2) | instid1(VALU_DEP_1)
	v_div_fixup_f32 v3, v2, v5, v4
	v_mov_b32_e32 v2, 0
	v_fma_f32 v15, -v8, v13, v12
	v_fmac_f32_e32 v13, v15, v10
	s_delay_alu instid0(VALU_DEP_1) | instskip(NEXT) | instid1(VALU_DEP_1)
	v_fma_f32 v7, -v8, v13, v12
	v_div_fmas_f32 v7, v7, v10, v13
	v_add_co_u32 v0, vcc_lo, s41, v0
	v_add_co_ci_u32_e32 v1, vcc_lo, s59, v1, vcc_lo
	s_delay_alu instid0(VALU_DEP_3)
	v_div_fixup_f32 v4, v7, v5, v6
	global_store_b64 v[0:1], v[3:4], off
.LBB19_331:                             ;   in Loop: Header=BB19_10 Depth=1
	s_or_b32 exec_lo, exec_lo, s56
	s_mov_b32 s5, -1
	s_mov_b32 s56, exec_lo
	v_cmpx_gt_i32_e32 0x47, v2
; %bb.332:                              ;   in Loop: Header=BB19_10 Depth=1
	v_cmp_eq_u32_e32 vcc_lo, 0, v2
	s_or_not1_b32 s5, vcc_lo, exec_lo
; %bb.333:                              ;   in Loop: Header=BB19_10 Depth=1
	s_or_b32 exec_lo, exec_lo, s56
	s_delay_alu instid0(SALU_CYCLE_1)
	s_and_b32 exec_lo, exec_lo, s5
	s_cbranch_execz .LBB19_371
; %bb.334:                              ;   in Loop: Header=BB19_10 Depth=1
	scratch_load_b32 v0, off, off offset:920 ; 4-byte Folded Reload
	s_waitcnt vmcnt(0)
	v_dual_mov_b32 v2, 0x47 :: v_dual_add_nc_u32 v1, s66, v0
	s_delay_alu instid0(VALU_DEP_1) | instskip(SKIP_1) | instid1(SALU_CYCLE_1)
	v_cmp_gt_i32_e32 vcc_lo, s8, v1
	s_and_b32 s4, vcc_lo, s4
	s_and_saveexec_b32 s5, s4
	s_cbranch_execz .LBB19_336
; %bb.335:                              ;   in Loop: Header=BB19_10 Depth=1
	s_clause 0x1
	scratch_load_b32 v0, off, off offset:940
	scratch_load_b32 v2, off, off offset:944
	s_waitcnt vmcnt(1)
	v_add_nc_u32_e32 v0, 0, v0
	s_waitcnt vmcnt(0)
	ds_load_2addr_stride64_b32 v[2:3], v2 offset1:15
	ds_load_2addr_b32 v[4:5], v0 offset0:56 offset1:57
	ds_load_b32 v0, v0 offset:4064
	s_clause 0x1
	scratch_load_b64 v[13:14], off, off offset:312
	scratch_load_b64 v[16:17], off, off offset:320
	s_waitcnt lgkmcnt(1)
	v_fma_mix_f32 v6, v4, v2, 0 op_sel_hi:[0,1,0]
	v_fma_mix_f32 v2, v4, v2, 0 op_sel:[0,1,0] op_sel_hi:[0,1,0]
	s_waitcnt lgkmcnt(0)
	s_delay_alu instid0(VALU_DEP_2) | instskip(NEXT) | instid1(VALU_DEP_2)
	v_fma_mix_f32 v4, v0, v3, v6 op_sel_hi:[0,1,0]
	v_fma_mix_f32 v6, v0, v3, v2 op_sel:[0,1,0] op_sel_hi:[0,1,0]
	s_delay_alu instid0(VALU_DEP_2) | instskip(NEXT) | instid1(VALU_DEP_2)
	v_div_scale_f32 v7, null, v5, v5, v4
	v_div_scale_f32 v8, null, v5, v5, v6
	v_div_scale_f32 v11, vcc_lo, v4, v5, v4
	s_delay_alu instid0(VALU_DEP_3) | instskip(NEXT) | instid1(VALU_DEP_2)
	v_rcp_f32_e32 v9, v7
	v_rcp_f32_e32 v10, v8
	v_div_scale_f32 v12, s4, v6, v5, v6
	s_waitcnt_depctr 0xfff
	v_fma_f32 v0, -v7, v9, 1.0
	v_fma_f32 v2, -v8, v10, 1.0
	s_delay_alu instid0(VALU_DEP_1) | instskip(SKIP_2) | instid1(VALU_DEP_2)
	v_dual_fmac_f32 v9, v0, v9 :: v_dual_fmac_f32 v10, v2, v10
	s_waitcnt vmcnt(1)
	v_mad_u64_u32 v[2:3], null, v1, s9, v[13:14]
	v_mul_f32_e32 v3, v11, v9
	s_delay_alu instid0(VALU_DEP_3) | instskip(NEXT) | instid1(VALU_DEP_2)
	v_mul_f32_e32 v13, v12, v10
	v_fma_f32 v14, -v7, v3, v11
	s_waitcnt vmcnt(0)
	s_delay_alu instid0(VALU_DEP_4) | instskip(NEXT) | instid1(VALU_DEP_2)
	v_mad_u64_u32 v[0:1], null, v2, 56, v[16:17]
	v_fmac_f32_e32 v3, v14, v9
	s_delay_alu instid0(VALU_DEP_2) | instskip(NEXT) | instid1(VALU_DEP_2)
	v_ashrrev_i32_e32 v1, 31, v0
	v_fma_f32 v2, -v7, v3, v11
	s_delay_alu instid0(VALU_DEP_2) | instskip(NEXT) | instid1(VALU_DEP_2)
	v_lshlrev_b64 v[0:1], 3, v[0:1]
	v_div_fmas_f32 v2, v2, v9, v3
	s_mov_b32 vcc_lo, s4
	s_delay_alu instid0(VALU_DEP_1) | instskip(SKIP_2) | instid1(VALU_DEP_1)
	v_div_fixup_f32 v3, v2, v5, v4
	v_mov_b32_e32 v2, 0
	v_fma_f32 v15, -v8, v13, v12
	v_fmac_f32_e32 v13, v15, v10
	s_delay_alu instid0(VALU_DEP_1) | instskip(NEXT) | instid1(VALU_DEP_1)
	v_fma_f32 v7, -v8, v13, v12
	v_div_fmas_f32 v7, v7, v10, v13
	v_add_co_u32 v0, vcc_lo, s41, v0
	v_add_co_ci_u32_e32 v1, vcc_lo, s59, v1, vcc_lo
	s_delay_alu instid0(VALU_DEP_3)
	v_div_fixup_f32 v4, v7, v5, v6
	global_store_b64 v[0:1], v[3:4], off
.LBB19_336:                             ;   in Loop: Header=BB19_10 Depth=1
	s_or_b32 exec_lo, exec_lo, s5
	s_mov_b32 s4, -1
	s_mov_b32 s5, exec_lo
	v_cmpx_gt_i32_e32 0x47, v2
; %bb.337:                              ;   in Loop: Header=BB19_10 Depth=1
	v_cmp_eq_u32_e32 vcc_lo, 0, v2
	s_or_not1_b32 s4, vcc_lo, exec_lo
; %bb.338:                              ;   in Loop: Header=BB19_10 Depth=1
	s_or_b32 exec_lo, exec_lo, s5
	s_delay_alu instid0(SALU_CYCLE_1)
	s_and_b32 exec_lo, exec_lo, s4
	s_cbranch_execz .LBB19_371
; %bb.339:                              ;   in Loop: Header=BB19_10 Depth=1
	s_clause 0x1
	scratch_load_b32 v0, off, off offset:948
	scratch_load_b64 v[2:3], off, off offset:932
	s_waitcnt vmcnt(1)
	v_add_nc_u32_e32 v1, s66, v0
	s_waitcnt vmcnt(0)
	v_or_b32_e32 v0, s86, v2
	v_mov_b32_e32 v2, 0x47
	s_delay_alu instid0(VALU_DEP_3) | instskip(NEXT) | instid1(VALU_DEP_3)
	v_cmp_gt_i32_e32 vcc_lo, s8, v1
	v_cmp_gt_i32_e64 s4, s33, v0
	s_delay_alu instid0(VALU_DEP_1) | instskip(NEXT) | instid1(SALU_CYCLE_1)
	s_and_b32 s4, vcc_lo, s4
	s_and_saveexec_b32 s5, s4
	s_cbranch_execz .LBB19_341
; %bb.340:                              ;   in Loop: Header=BB19_10 Depth=1
	s_clause 0x1
	scratch_load_b32 v0, off, off offset:960
	scratch_load_b32 v2, off, off offset:964
	s_waitcnt vmcnt(1)
	v_add_nc_u32_e32 v0, 0, v0
	s_waitcnt vmcnt(0)
	ds_load_2addr_stride64_b32 v[2:3], v2 offset1:15
	ds_load_2addr_b32 v[4:5], v0 offset0:56 offset1:57
	ds_load_b32 v0, v0 offset:4064
	s_clause 0x1
	scratch_load_b64 v[13:14], off, off offset:932
	scratch_load_b64 v[16:17], off, off offset:320
	s_waitcnt lgkmcnt(1)
	v_fma_mix_f32 v6, v4, v2, 0 op_sel_hi:[0,1,0]
	v_fma_mix_f32 v2, v4, v2, 0 op_sel:[0,1,0] op_sel_hi:[0,1,0]
	s_waitcnt lgkmcnt(0)
	s_delay_alu instid0(VALU_DEP_2) | instskip(NEXT) | instid1(VALU_DEP_2)
	v_fma_mix_f32 v4, v0, v3, v6 op_sel_hi:[0,1,0]
	v_fma_mix_f32 v6, v0, v3, v2 op_sel:[0,1,0] op_sel_hi:[0,1,0]
	s_delay_alu instid0(VALU_DEP_2) | instskip(NEXT) | instid1(VALU_DEP_2)
	v_div_scale_f32 v7, null, v5, v5, v4
	v_div_scale_f32 v8, null, v5, v5, v6
	v_div_scale_f32 v11, vcc_lo, v4, v5, v4
	s_delay_alu instid0(VALU_DEP_3) | instskip(NEXT) | instid1(VALU_DEP_2)
	v_rcp_f32_e32 v9, v7
	v_rcp_f32_e32 v10, v8
	v_div_scale_f32 v12, s4, v6, v5, v6
	s_waitcnt_depctr 0xfff
	v_fma_f32 v0, -v7, v9, 1.0
	v_fma_f32 v2, -v8, v10, 1.0
	s_delay_alu instid0(VALU_DEP_1) | instskip(SKIP_2) | instid1(VALU_DEP_2)
	v_dual_fmac_f32 v9, v0, v9 :: v_dual_fmac_f32 v10, v2, v10
	s_waitcnt vmcnt(1)
	v_mad_u64_u32 v[2:3], null, v1, s9, v[13:14]
	v_mul_f32_e32 v3, v11, v9
	s_delay_alu instid0(VALU_DEP_3) | instskip(NEXT) | instid1(VALU_DEP_2)
	v_mul_f32_e32 v13, v12, v10
	v_fma_f32 v14, -v7, v3, v11
	s_waitcnt vmcnt(0)
	s_delay_alu instid0(VALU_DEP_4) | instskip(NEXT) | instid1(VALU_DEP_2)
	v_mad_u64_u32 v[0:1], null, v2, 56, v[16:17]
	v_fmac_f32_e32 v3, v14, v9
	s_delay_alu instid0(VALU_DEP_2) | instskip(NEXT) | instid1(VALU_DEP_2)
	v_ashrrev_i32_e32 v1, 31, v0
	v_fma_f32 v2, -v7, v3, v11
	s_delay_alu instid0(VALU_DEP_2) | instskip(NEXT) | instid1(VALU_DEP_2)
	v_lshlrev_b64 v[0:1], 3, v[0:1]
	v_div_fmas_f32 v2, v2, v9, v3
	s_mov_b32 vcc_lo, s4
	s_delay_alu instid0(VALU_DEP_1) | instskip(SKIP_2) | instid1(VALU_DEP_1)
	v_div_fixup_f32 v3, v2, v5, v4
	v_mov_b32_e32 v2, 0
	v_fma_f32 v15, -v8, v13, v12
	v_fmac_f32_e32 v13, v15, v10
	s_delay_alu instid0(VALU_DEP_1) | instskip(NEXT) | instid1(VALU_DEP_1)
	v_fma_f32 v7, -v8, v13, v12
	v_div_fmas_f32 v7, v7, v10, v13
	v_add_co_u32 v0, vcc_lo, s41, v0
	v_add_co_ci_u32_e32 v1, vcc_lo, s59, v1, vcc_lo
	s_delay_alu instid0(VALU_DEP_3)
	v_div_fixup_f32 v4, v7, v5, v6
	global_store_b64 v[0:1], v[3:4], off
.LBB19_341:                             ;   in Loop: Header=BB19_10 Depth=1
	s_or_b32 exec_lo, exec_lo, s5
	s_mov_b32 s4, -1
	s_mov_b32 s5, exec_lo
	v_cmpx_gt_i32_e32 0x47, v2
; %bb.342:                              ;   in Loop: Header=BB19_10 Depth=1
	v_cmp_eq_u32_e32 vcc_lo, 0, v2
	s_or_not1_b32 s4, vcc_lo, exec_lo
; %bb.343:                              ;   in Loop: Header=BB19_10 Depth=1
	s_or_b32 exec_lo, exec_lo, s5
	s_delay_alu instid0(SALU_CYCLE_1)
	s_and_b32 exec_lo, exec_lo, s4
	s_cbranch_execz .LBB19_371
; %bb.344:                              ;   in Loop: Header=BB19_10 Depth=1
	s_clause 0x1
	scratch_load_b32 v0, off, off offset:968
	scratch_load_b64 v[2:3], off, off offset:952
	s_waitcnt vmcnt(1)
	v_add_nc_u32_e32 v1, s66, v0
	s_waitcnt vmcnt(0)
	v_or_b32_e32 v0, s86, v2
	v_mov_b32_e32 v2, 0x47
	s_delay_alu instid0(VALU_DEP_3) | instskip(NEXT) | instid1(VALU_DEP_3)
	v_cmp_gt_i32_e32 vcc_lo, s8, v1
	v_cmp_gt_i32_e64 s4, s33, v0
	s_delay_alu instid0(VALU_DEP_1) | instskip(NEXT) | instid1(SALU_CYCLE_1)
	s_and_b32 s4, vcc_lo, s4
	s_and_saveexec_b32 s5, s4
	s_cbranch_execz .LBB19_346
; %bb.345:                              ;   in Loop: Header=BB19_10 Depth=1
	s_clause 0x1
	scratch_load_b32 v0, off, off offset:980
	scratch_load_b32 v2, off, off offset:984
	s_waitcnt vmcnt(1)
	v_add_nc_u32_e32 v0, 0, v0
	s_waitcnt vmcnt(0)
	ds_load_2addr_stride64_b32 v[2:3], v2 offset1:15
	ds_load_2addr_b32 v[4:5], v0 offset0:56 offset1:57
	ds_load_b32 v0, v0 offset:4064
	s_clause 0x1
	scratch_load_b64 v[13:14], off, off offset:952
	scratch_load_b64 v[16:17], off, off offset:320
	s_waitcnt lgkmcnt(1)
	v_fma_mix_f32 v6, v4, v2, 0 op_sel_hi:[0,1,0]
	v_fma_mix_f32 v2, v4, v2, 0 op_sel:[0,1,0] op_sel_hi:[0,1,0]
	s_waitcnt lgkmcnt(0)
	s_delay_alu instid0(VALU_DEP_2) | instskip(NEXT) | instid1(VALU_DEP_2)
	v_fma_mix_f32 v4, v0, v3, v6 op_sel_hi:[0,1,0]
	v_fma_mix_f32 v6, v0, v3, v2 op_sel:[0,1,0] op_sel_hi:[0,1,0]
	s_delay_alu instid0(VALU_DEP_2) | instskip(NEXT) | instid1(VALU_DEP_2)
	v_div_scale_f32 v7, null, v5, v5, v4
	v_div_scale_f32 v8, null, v5, v5, v6
	v_div_scale_f32 v11, vcc_lo, v4, v5, v4
	s_delay_alu instid0(VALU_DEP_3) | instskip(NEXT) | instid1(VALU_DEP_2)
	v_rcp_f32_e32 v9, v7
	v_rcp_f32_e32 v10, v8
	v_div_scale_f32 v12, s4, v6, v5, v6
	s_waitcnt_depctr 0xfff
	v_fma_f32 v0, -v7, v9, 1.0
	v_fma_f32 v2, -v8, v10, 1.0
	s_delay_alu instid0(VALU_DEP_1) | instskip(SKIP_2) | instid1(VALU_DEP_2)
	v_dual_fmac_f32 v9, v0, v9 :: v_dual_fmac_f32 v10, v2, v10
	s_waitcnt vmcnt(1)
	v_mad_u64_u32 v[2:3], null, v1, s9, v[13:14]
	v_mul_f32_e32 v3, v11, v9
	s_delay_alu instid0(VALU_DEP_3) | instskip(NEXT) | instid1(VALU_DEP_2)
	v_mul_f32_e32 v13, v12, v10
	v_fma_f32 v14, -v7, v3, v11
	s_waitcnt vmcnt(0)
	s_delay_alu instid0(VALU_DEP_4) | instskip(NEXT) | instid1(VALU_DEP_2)
	v_mad_u64_u32 v[0:1], null, v2, 56, v[16:17]
	v_fmac_f32_e32 v3, v14, v9
	s_delay_alu instid0(VALU_DEP_2) | instskip(NEXT) | instid1(VALU_DEP_2)
	v_ashrrev_i32_e32 v1, 31, v0
	v_fma_f32 v2, -v7, v3, v11
	s_delay_alu instid0(VALU_DEP_2) | instskip(NEXT) | instid1(VALU_DEP_2)
	v_lshlrev_b64 v[0:1], 3, v[0:1]
	v_div_fmas_f32 v2, v2, v9, v3
	s_mov_b32 vcc_lo, s4
	s_delay_alu instid0(VALU_DEP_1) | instskip(SKIP_2) | instid1(VALU_DEP_1)
	v_div_fixup_f32 v3, v2, v5, v4
	v_mov_b32_e32 v2, 0
	v_fma_f32 v15, -v8, v13, v12
	v_fmac_f32_e32 v13, v15, v10
	s_delay_alu instid0(VALU_DEP_1) | instskip(NEXT) | instid1(VALU_DEP_1)
	v_fma_f32 v7, -v8, v13, v12
	v_div_fmas_f32 v7, v7, v10, v13
	v_add_co_u32 v0, vcc_lo, s41, v0
	v_add_co_ci_u32_e32 v1, vcc_lo, s59, v1, vcc_lo
	s_delay_alu instid0(VALU_DEP_3)
	v_div_fixup_f32 v4, v7, v5, v6
	global_store_b64 v[0:1], v[3:4], off
.LBB19_346:                             ;   in Loop: Header=BB19_10 Depth=1
	s_or_b32 exec_lo, exec_lo, s5
	s_mov_b32 s4, -1
	s_mov_b32 s5, exec_lo
	v_cmpx_gt_i32_e32 0x47, v2
; %bb.347:                              ;   in Loop: Header=BB19_10 Depth=1
	v_cmp_eq_u32_e32 vcc_lo, 0, v2
	s_or_not1_b32 s4, vcc_lo, exec_lo
; %bb.348:                              ;   in Loop: Header=BB19_10 Depth=1
	s_or_b32 exec_lo, exec_lo, s5
	s_delay_alu instid0(SALU_CYCLE_1)
	s_and_b32 exec_lo, exec_lo, s4
	s_cbranch_execz .LBB19_371
; %bb.349:                              ;   in Loop: Header=BB19_10 Depth=1
	s_clause 0x1
	scratch_load_b32 v0, off, off offset:988
	scratch_load_b64 v[2:3], off, off offset:972
	s_waitcnt vmcnt(1)
	v_add_nc_u32_e32 v1, s66, v0
	s_waitcnt vmcnt(0)
	v_or_b32_e32 v0, s86, v2
	v_mov_b32_e32 v2, 0x47
	s_delay_alu instid0(VALU_DEP_3) | instskip(NEXT) | instid1(VALU_DEP_3)
	v_cmp_gt_i32_e32 vcc_lo, s8, v1
	v_cmp_gt_i32_e64 s4, s33, v0
	s_delay_alu instid0(VALU_DEP_1) | instskip(NEXT) | instid1(SALU_CYCLE_1)
	s_and_b32 s4, vcc_lo, s4
	s_and_saveexec_b32 s5, s4
	s_cbranch_execz .LBB19_351
; %bb.350:                              ;   in Loop: Header=BB19_10 Depth=1
	s_clause 0x1
	scratch_load_b32 v0, off, off offset:1000
	scratch_load_b32 v2, off, off offset:1004
	s_waitcnt vmcnt(1)
	v_add_nc_u32_e32 v0, 0, v0
	s_waitcnt vmcnt(0)
	ds_load_2addr_stride64_b32 v[2:3], v2 offset1:15
	ds_load_2addr_b32 v[4:5], v0 offset0:56 offset1:57
	ds_load_b32 v0, v0 offset:4064
	s_clause 0x1
	scratch_load_b64 v[13:14], off, off offset:972
	scratch_load_b64 v[16:17], off, off offset:320
	s_waitcnt lgkmcnt(1)
	v_fma_mix_f32 v6, v4, v2, 0 op_sel_hi:[0,1,0]
	v_fma_mix_f32 v2, v4, v2, 0 op_sel:[0,1,0] op_sel_hi:[0,1,0]
	s_waitcnt lgkmcnt(0)
	s_delay_alu instid0(VALU_DEP_2) | instskip(NEXT) | instid1(VALU_DEP_2)
	v_fma_mix_f32 v4, v0, v3, v6 op_sel_hi:[0,1,0]
	v_fma_mix_f32 v6, v0, v3, v2 op_sel:[0,1,0] op_sel_hi:[0,1,0]
	s_delay_alu instid0(VALU_DEP_2) | instskip(NEXT) | instid1(VALU_DEP_2)
	v_div_scale_f32 v7, null, v5, v5, v4
	v_div_scale_f32 v8, null, v5, v5, v6
	v_div_scale_f32 v11, vcc_lo, v4, v5, v4
	s_delay_alu instid0(VALU_DEP_3) | instskip(NEXT) | instid1(VALU_DEP_2)
	v_rcp_f32_e32 v9, v7
	v_rcp_f32_e32 v10, v8
	v_div_scale_f32 v12, s4, v6, v5, v6
	s_waitcnt_depctr 0xfff
	v_fma_f32 v0, -v7, v9, 1.0
	v_fma_f32 v2, -v8, v10, 1.0
	s_delay_alu instid0(VALU_DEP_1) | instskip(SKIP_2) | instid1(VALU_DEP_2)
	v_dual_fmac_f32 v9, v0, v9 :: v_dual_fmac_f32 v10, v2, v10
	s_waitcnt vmcnt(1)
	v_mad_u64_u32 v[2:3], null, v1, s9, v[13:14]
	v_mul_f32_e32 v3, v11, v9
	s_delay_alu instid0(VALU_DEP_3) | instskip(NEXT) | instid1(VALU_DEP_2)
	v_mul_f32_e32 v13, v12, v10
	v_fma_f32 v14, -v7, v3, v11
	s_waitcnt vmcnt(0)
	s_delay_alu instid0(VALU_DEP_4) | instskip(NEXT) | instid1(VALU_DEP_2)
	v_mad_u64_u32 v[0:1], null, v2, 56, v[16:17]
	v_fmac_f32_e32 v3, v14, v9
	s_delay_alu instid0(VALU_DEP_2) | instskip(NEXT) | instid1(VALU_DEP_2)
	v_ashrrev_i32_e32 v1, 31, v0
	v_fma_f32 v2, -v7, v3, v11
	s_delay_alu instid0(VALU_DEP_2) | instskip(NEXT) | instid1(VALU_DEP_2)
	v_lshlrev_b64 v[0:1], 3, v[0:1]
	v_div_fmas_f32 v2, v2, v9, v3
	s_mov_b32 vcc_lo, s4
	s_delay_alu instid0(VALU_DEP_1) | instskip(SKIP_2) | instid1(VALU_DEP_1)
	v_div_fixup_f32 v3, v2, v5, v4
	v_mov_b32_e32 v2, 0
	v_fma_f32 v15, -v8, v13, v12
	v_fmac_f32_e32 v13, v15, v10
	s_delay_alu instid0(VALU_DEP_1) | instskip(NEXT) | instid1(VALU_DEP_1)
	v_fma_f32 v7, -v8, v13, v12
	v_div_fmas_f32 v7, v7, v10, v13
	v_add_co_u32 v0, vcc_lo, s41, v0
	v_add_co_ci_u32_e32 v1, vcc_lo, s59, v1, vcc_lo
	s_delay_alu instid0(VALU_DEP_3)
	v_div_fixup_f32 v4, v7, v5, v6
	global_store_b64 v[0:1], v[3:4], off
.LBB19_351:                             ;   in Loop: Header=BB19_10 Depth=1
	s_or_b32 exec_lo, exec_lo, s5
	s_mov_b32 s4, -1
	s_mov_b32 s5, exec_lo
	v_cmpx_gt_i32_e32 0x47, v2
; %bb.352:                              ;   in Loop: Header=BB19_10 Depth=1
	v_cmp_eq_u32_e32 vcc_lo, 0, v2
	s_or_not1_b32 s4, vcc_lo, exec_lo
; %bb.353:                              ;   in Loop: Header=BB19_10 Depth=1
	s_or_b32 exec_lo, exec_lo, s5
	s_delay_alu instid0(SALU_CYCLE_1)
	s_and_b32 exec_lo, exec_lo, s4
	s_cbranch_execz .LBB19_371
; %bb.354:                              ;   in Loop: Header=BB19_10 Depth=1
	s_clause 0x1
	scratch_load_b32 v0, off, off offset:1008
	scratch_load_b64 v[2:3], off, off offset:992
	s_waitcnt vmcnt(1)
	v_add_nc_u32_e32 v1, s66, v0
	s_waitcnt vmcnt(0)
	v_or_b32_e32 v0, s86, v2
	v_mov_b32_e32 v2, 0x47
	s_delay_alu instid0(VALU_DEP_3) | instskip(NEXT) | instid1(VALU_DEP_3)
	v_cmp_gt_i32_e32 vcc_lo, s8, v1
	v_cmp_gt_i32_e64 s4, s33, v0
	s_delay_alu instid0(VALU_DEP_1) | instskip(NEXT) | instid1(SALU_CYCLE_1)
	s_and_b32 s4, vcc_lo, s4
	s_and_saveexec_b32 s5, s4
	s_cbranch_execz .LBB19_356
; %bb.355:                              ;   in Loop: Header=BB19_10 Depth=1
	s_clause 0x1
	scratch_load_b32 v0, off, off offset:1020
	scratch_load_b32 v2, off, off offset:1024
	s_waitcnt vmcnt(1)
	v_add_nc_u32_e32 v0, 0, v0
	s_waitcnt vmcnt(0)
	ds_load_2addr_stride64_b32 v[2:3], v2 offset1:15
	ds_load_2addr_b32 v[4:5], v0 offset0:56 offset1:57
	ds_load_b32 v0, v0 offset:4064
	s_clause 0x1
	scratch_load_b64 v[13:14], off, off offset:992
	scratch_load_b64 v[16:17], off, off offset:320
	s_waitcnt lgkmcnt(1)
	v_fma_mix_f32 v6, v4, v2, 0 op_sel_hi:[0,1,0]
	v_fma_mix_f32 v2, v4, v2, 0 op_sel:[0,1,0] op_sel_hi:[0,1,0]
	s_waitcnt lgkmcnt(0)
	s_delay_alu instid0(VALU_DEP_2) | instskip(NEXT) | instid1(VALU_DEP_2)
	v_fma_mix_f32 v4, v0, v3, v6 op_sel_hi:[0,1,0]
	v_fma_mix_f32 v6, v0, v3, v2 op_sel:[0,1,0] op_sel_hi:[0,1,0]
	s_delay_alu instid0(VALU_DEP_2) | instskip(NEXT) | instid1(VALU_DEP_2)
	v_div_scale_f32 v7, null, v5, v5, v4
	v_div_scale_f32 v8, null, v5, v5, v6
	v_div_scale_f32 v11, vcc_lo, v4, v5, v4
	s_delay_alu instid0(VALU_DEP_3) | instskip(NEXT) | instid1(VALU_DEP_2)
	v_rcp_f32_e32 v9, v7
	v_rcp_f32_e32 v10, v8
	v_div_scale_f32 v12, s4, v6, v5, v6
	s_waitcnt_depctr 0xfff
	v_fma_f32 v0, -v7, v9, 1.0
	v_fma_f32 v2, -v8, v10, 1.0
	s_delay_alu instid0(VALU_DEP_1) | instskip(SKIP_2) | instid1(VALU_DEP_2)
	v_dual_fmac_f32 v9, v0, v9 :: v_dual_fmac_f32 v10, v2, v10
	s_waitcnt vmcnt(1)
	v_mad_u64_u32 v[2:3], null, v1, s9, v[13:14]
	v_mul_f32_e32 v3, v11, v9
	s_delay_alu instid0(VALU_DEP_3) | instskip(NEXT) | instid1(VALU_DEP_2)
	v_mul_f32_e32 v13, v12, v10
	v_fma_f32 v14, -v7, v3, v11
	s_waitcnt vmcnt(0)
	s_delay_alu instid0(VALU_DEP_4) | instskip(NEXT) | instid1(VALU_DEP_2)
	v_mad_u64_u32 v[0:1], null, v2, 56, v[16:17]
	v_fmac_f32_e32 v3, v14, v9
	s_delay_alu instid0(VALU_DEP_2) | instskip(NEXT) | instid1(VALU_DEP_2)
	v_ashrrev_i32_e32 v1, 31, v0
	v_fma_f32 v2, -v7, v3, v11
	s_delay_alu instid0(VALU_DEP_2) | instskip(NEXT) | instid1(VALU_DEP_2)
	v_lshlrev_b64 v[0:1], 3, v[0:1]
	v_div_fmas_f32 v2, v2, v9, v3
	s_mov_b32 vcc_lo, s4
	s_delay_alu instid0(VALU_DEP_1) | instskip(SKIP_2) | instid1(VALU_DEP_1)
	v_div_fixup_f32 v3, v2, v5, v4
	v_mov_b32_e32 v2, 0
	v_fma_f32 v15, -v8, v13, v12
	v_fmac_f32_e32 v13, v15, v10
	s_delay_alu instid0(VALU_DEP_1) | instskip(NEXT) | instid1(VALU_DEP_1)
	v_fma_f32 v7, -v8, v13, v12
	v_div_fmas_f32 v7, v7, v10, v13
	v_add_co_u32 v0, vcc_lo, s41, v0
	v_add_co_ci_u32_e32 v1, vcc_lo, s59, v1, vcc_lo
	s_delay_alu instid0(VALU_DEP_3)
	v_div_fixup_f32 v4, v7, v5, v6
	global_store_b64 v[0:1], v[3:4], off
.LBB19_356:                             ;   in Loop: Header=BB19_10 Depth=1
	s_or_b32 exec_lo, exec_lo, s5
	s_mov_b32 s4, -1
	s_mov_b32 s5, exec_lo
	v_cmpx_gt_i32_e32 0x47, v2
; %bb.357:                              ;   in Loop: Header=BB19_10 Depth=1
	v_cmp_eq_u32_e32 vcc_lo, 0, v2
	s_or_not1_b32 s4, vcc_lo, exec_lo
; %bb.358:                              ;   in Loop: Header=BB19_10 Depth=1
	s_or_b32 exec_lo, exec_lo, s5
	s_delay_alu instid0(SALU_CYCLE_1)
	s_and_b32 exec_lo, exec_lo, s4
	s_cbranch_execz .LBB19_371
; %bb.359:                              ;   in Loop: Header=BB19_10 Depth=1
	s_clause 0x1
	scratch_load_b32 v0, off, off offset:1028
	scratch_load_b64 v[2:3], off, off offset:1012
	s_waitcnt vmcnt(1)
	v_add_nc_u32_e32 v1, s66, v0
	s_waitcnt vmcnt(0)
	v_or_b32_e32 v0, s86, v2
	v_mov_b32_e32 v2, 0x47
	s_delay_alu instid0(VALU_DEP_3) | instskip(NEXT) | instid1(VALU_DEP_3)
	v_cmp_gt_i32_e32 vcc_lo, s8, v1
	v_cmp_gt_i32_e64 s4, s33, v0
	s_delay_alu instid0(VALU_DEP_1) | instskip(NEXT) | instid1(SALU_CYCLE_1)
	s_and_b32 s4, vcc_lo, s4
	s_and_saveexec_b32 s5, s4
	s_cbranch_execz .LBB19_361
; %bb.360:                              ;   in Loop: Header=BB19_10 Depth=1
	s_clause 0x1
	scratch_load_b32 v0, off, off offset:1040
	scratch_load_b32 v2, off, off offset:1044
	s_waitcnt vmcnt(1)
	v_add_nc_u32_e32 v0, 0, v0
	s_waitcnt vmcnt(0)
	ds_load_2addr_stride64_b32 v[2:3], v2 offset1:15
	ds_load_2addr_b32 v[4:5], v0 offset0:56 offset1:57
	ds_load_b32 v0, v0 offset:4064
	s_clause 0x1
	scratch_load_b64 v[13:14], off, off offset:1012
	scratch_load_b64 v[16:17], off, off offset:320
	s_waitcnt lgkmcnt(1)
	v_fma_mix_f32 v6, v4, v2, 0 op_sel_hi:[0,1,0]
	v_fma_mix_f32 v2, v4, v2, 0 op_sel:[0,1,0] op_sel_hi:[0,1,0]
	s_waitcnt lgkmcnt(0)
	s_delay_alu instid0(VALU_DEP_2) | instskip(NEXT) | instid1(VALU_DEP_2)
	v_fma_mix_f32 v4, v0, v3, v6 op_sel_hi:[0,1,0]
	v_fma_mix_f32 v6, v0, v3, v2 op_sel:[0,1,0] op_sel_hi:[0,1,0]
	s_delay_alu instid0(VALU_DEP_2) | instskip(NEXT) | instid1(VALU_DEP_2)
	v_div_scale_f32 v7, null, v5, v5, v4
	v_div_scale_f32 v8, null, v5, v5, v6
	v_div_scale_f32 v11, vcc_lo, v4, v5, v4
	s_delay_alu instid0(VALU_DEP_3) | instskip(NEXT) | instid1(VALU_DEP_2)
	v_rcp_f32_e32 v9, v7
	v_rcp_f32_e32 v10, v8
	v_div_scale_f32 v12, s4, v6, v5, v6
	s_waitcnt_depctr 0xfff
	v_fma_f32 v0, -v7, v9, 1.0
	v_fma_f32 v2, -v8, v10, 1.0
	s_delay_alu instid0(VALU_DEP_1) | instskip(SKIP_2) | instid1(VALU_DEP_2)
	v_dual_fmac_f32 v9, v0, v9 :: v_dual_fmac_f32 v10, v2, v10
	s_waitcnt vmcnt(1)
	v_mad_u64_u32 v[2:3], null, v1, s9, v[13:14]
	v_mul_f32_e32 v3, v11, v9
	s_delay_alu instid0(VALU_DEP_3) | instskip(NEXT) | instid1(VALU_DEP_2)
	v_mul_f32_e32 v13, v12, v10
	v_fma_f32 v14, -v7, v3, v11
	s_waitcnt vmcnt(0)
	s_delay_alu instid0(VALU_DEP_4) | instskip(NEXT) | instid1(VALU_DEP_2)
	v_mad_u64_u32 v[0:1], null, v2, 56, v[16:17]
	v_fmac_f32_e32 v3, v14, v9
	s_delay_alu instid0(VALU_DEP_2) | instskip(NEXT) | instid1(VALU_DEP_2)
	v_ashrrev_i32_e32 v1, 31, v0
	v_fma_f32 v2, -v7, v3, v11
	s_delay_alu instid0(VALU_DEP_2) | instskip(NEXT) | instid1(VALU_DEP_2)
	v_lshlrev_b64 v[0:1], 3, v[0:1]
	v_div_fmas_f32 v2, v2, v9, v3
	s_mov_b32 vcc_lo, s4
	s_delay_alu instid0(VALU_DEP_1) | instskip(SKIP_2) | instid1(VALU_DEP_1)
	v_div_fixup_f32 v3, v2, v5, v4
	v_mov_b32_e32 v2, 0
	v_fma_f32 v15, -v8, v13, v12
	v_fmac_f32_e32 v13, v15, v10
	s_delay_alu instid0(VALU_DEP_1) | instskip(NEXT) | instid1(VALU_DEP_1)
	v_fma_f32 v7, -v8, v13, v12
	v_div_fmas_f32 v7, v7, v10, v13
	v_add_co_u32 v0, vcc_lo, s41, v0
	v_add_co_ci_u32_e32 v1, vcc_lo, s59, v1, vcc_lo
	s_delay_alu instid0(VALU_DEP_3)
	v_div_fixup_f32 v4, v7, v5, v6
	global_store_b64 v[0:1], v[3:4], off
.LBB19_361:                             ;   in Loop: Header=BB19_10 Depth=1
	s_or_b32 exec_lo, exec_lo, s5
	s_mov_b32 s4, -1
	s_mov_b32 s5, exec_lo
	v_cmpx_gt_i32_e32 0x47, v2
; %bb.362:                              ;   in Loop: Header=BB19_10 Depth=1
	v_cmp_eq_u32_e32 vcc_lo, 0, v2
	s_or_not1_b32 s4, vcc_lo, exec_lo
; %bb.363:                              ;   in Loop: Header=BB19_10 Depth=1
	s_or_b32 exec_lo, exec_lo, s5
	s_delay_alu instid0(SALU_CYCLE_1)
	s_and_b32 exec_lo, exec_lo, s4
	s_cbranch_execz .LBB19_371
; %bb.364:                              ;   in Loop: Header=BB19_10 Depth=1
	s_clause 0x1
	scratch_load_b32 v0, off, off offset:1048
	scratch_load_b64 v[2:3], off, off offset:1032
	s_waitcnt vmcnt(1)
	v_add_nc_u32_e32 v1, s66, v0
	s_waitcnt vmcnt(0)
	v_or_b32_e32 v0, s86, v2
	v_mov_b32_e32 v2, 0x47
	s_delay_alu instid0(VALU_DEP_3) | instskip(NEXT) | instid1(VALU_DEP_3)
	v_cmp_gt_i32_e32 vcc_lo, s8, v1
	v_cmp_gt_i32_e64 s4, s33, v0
	s_delay_alu instid0(VALU_DEP_1) | instskip(NEXT) | instid1(SALU_CYCLE_1)
	s_and_b32 s4, vcc_lo, s4
	s_and_saveexec_b32 s5, s4
	s_cbranch_execz .LBB19_366
; %bb.365:                              ;   in Loop: Header=BB19_10 Depth=1
	s_clause 0x1
	scratch_load_b32 v0, off, off offset:1060
	scratch_load_b32 v2, off, off offset:1064
	s_waitcnt vmcnt(1)
	v_add_nc_u32_e32 v0, 0, v0
	s_waitcnt vmcnt(0)
	ds_load_2addr_stride64_b32 v[2:3], v2 offset1:15
	ds_load_2addr_b32 v[4:5], v0 offset0:56 offset1:57
	ds_load_b32 v0, v0 offset:4064
	s_clause 0x1
	scratch_load_b64 v[13:14], off, off offset:1032
	scratch_load_b64 v[16:17], off, off offset:320
	s_waitcnt lgkmcnt(1)
	v_fma_mix_f32 v6, v4, v2, 0 op_sel_hi:[0,1,0]
	v_fma_mix_f32 v2, v4, v2, 0 op_sel:[0,1,0] op_sel_hi:[0,1,0]
	s_waitcnt lgkmcnt(0)
	s_delay_alu instid0(VALU_DEP_2) | instskip(NEXT) | instid1(VALU_DEP_2)
	v_fma_mix_f32 v4, v0, v3, v6 op_sel_hi:[0,1,0]
	v_fma_mix_f32 v6, v0, v3, v2 op_sel:[0,1,0] op_sel_hi:[0,1,0]
	s_delay_alu instid0(VALU_DEP_2) | instskip(NEXT) | instid1(VALU_DEP_2)
	v_div_scale_f32 v7, null, v5, v5, v4
	v_div_scale_f32 v8, null, v5, v5, v6
	v_div_scale_f32 v11, vcc_lo, v4, v5, v4
	s_delay_alu instid0(VALU_DEP_3) | instskip(NEXT) | instid1(VALU_DEP_2)
	v_rcp_f32_e32 v9, v7
	v_rcp_f32_e32 v10, v8
	v_div_scale_f32 v12, s4, v6, v5, v6
	s_waitcnt_depctr 0xfff
	v_fma_f32 v0, -v7, v9, 1.0
	v_fma_f32 v2, -v8, v10, 1.0
	s_delay_alu instid0(VALU_DEP_1) | instskip(SKIP_2) | instid1(VALU_DEP_2)
	v_dual_fmac_f32 v9, v0, v9 :: v_dual_fmac_f32 v10, v2, v10
	s_waitcnt vmcnt(1)
	v_mad_u64_u32 v[2:3], null, v1, s9, v[13:14]
	v_mul_f32_e32 v3, v11, v9
	s_delay_alu instid0(VALU_DEP_3) | instskip(NEXT) | instid1(VALU_DEP_2)
	v_mul_f32_e32 v13, v12, v10
	v_fma_f32 v14, -v7, v3, v11
	s_waitcnt vmcnt(0)
	s_delay_alu instid0(VALU_DEP_4) | instskip(NEXT) | instid1(VALU_DEP_2)
	v_mad_u64_u32 v[0:1], null, v2, 56, v[16:17]
	v_fmac_f32_e32 v3, v14, v9
	s_delay_alu instid0(VALU_DEP_2) | instskip(NEXT) | instid1(VALU_DEP_2)
	v_ashrrev_i32_e32 v1, 31, v0
	v_fma_f32 v2, -v7, v3, v11
	s_delay_alu instid0(VALU_DEP_2) | instskip(NEXT) | instid1(VALU_DEP_2)
	v_lshlrev_b64 v[0:1], 3, v[0:1]
	v_div_fmas_f32 v2, v2, v9, v3
	s_mov_b32 vcc_lo, s4
	s_delay_alu instid0(VALU_DEP_1) | instskip(SKIP_2) | instid1(VALU_DEP_1)
	v_div_fixup_f32 v3, v2, v5, v4
	v_mov_b32_e32 v2, 0
	v_fma_f32 v15, -v8, v13, v12
	v_fmac_f32_e32 v13, v15, v10
	s_delay_alu instid0(VALU_DEP_1) | instskip(NEXT) | instid1(VALU_DEP_1)
	v_fma_f32 v7, -v8, v13, v12
	v_div_fmas_f32 v7, v7, v10, v13
	v_add_co_u32 v0, vcc_lo, s41, v0
	v_add_co_ci_u32_e32 v1, vcc_lo, s59, v1, vcc_lo
	s_delay_alu instid0(VALU_DEP_3)
	v_div_fixup_f32 v4, v7, v5, v6
	global_store_b64 v[0:1], v[3:4], off
.LBB19_366:                             ;   in Loop: Header=BB19_10 Depth=1
	s_or_b32 exec_lo, exec_lo, s5
	s_mov_b32 s4, -1
	s_mov_b32 s5, exec_lo
	v_cmpx_gt_i32_e32 0x47, v2
; %bb.367:                              ;   in Loop: Header=BB19_10 Depth=1
	v_cmp_eq_u32_e32 vcc_lo, 0, v2
	s_or_not1_b32 s4, vcc_lo, exec_lo
; %bb.368:                              ;   in Loop: Header=BB19_10 Depth=1
	s_or_b32 exec_lo, exec_lo, s5
	s_delay_alu instid0(SALU_CYCLE_1)
	s_and_b32 exec_lo, exec_lo, s4
	s_cbranch_execz .LBB19_371
; %bb.369:                              ;   in Loop: Header=BB19_10 Depth=1
	s_clause 0x1
	scratch_load_b32 v0, off, off offset:1068
	scratch_load_b64 v[2:3], off, off offset:1052
	s_waitcnt vmcnt(1)
	v_add_nc_u32_e32 v1, s66, v0
	s_waitcnt vmcnt(0)
	v_or_b32_e32 v0, s86, v2
	s_delay_alu instid0(VALU_DEP_2) | instskip(NEXT) | instid1(VALU_DEP_2)
	v_cmp_gt_i32_e32 vcc_lo, s8, v1
	v_cmp_gt_i32_e64 s4, s33, v0
	s_delay_alu instid0(VALU_DEP_1) | instskip(NEXT) | instid1(SALU_CYCLE_1)
	s_and_b32 s4, vcc_lo, s4
	s_and_b32 exec_lo, exec_lo, s4
	s_cbranch_execz .LBB19_371
; %bb.370:                              ;   in Loop: Header=BB19_10 Depth=1
	s_clause 0x1
	scratch_load_b32 v0, off, off offset:1072
	scratch_load_b32 v2, off, off offset:1076
	s_waitcnt vmcnt(1)
	v_add_nc_u32_e32 v0, 0, v0
	s_waitcnt vmcnt(0)
	ds_load_2addr_stride64_b32 v[2:3], v2 offset1:15
	ds_load_2addr_b32 v[4:5], v0 offset0:56 offset1:57
	ds_load_b32 v0, v0 offset:4064
	s_clause 0x1
	scratch_load_b64 v[13:14], off, off offset:1052
	scratch_load_b64 v[16:17], off, off offset:320
	s_waitcnt lgkmcnt(1)
	v_fma_mix_f32 v6, v4, v2, 0 op_sel_hi:[0,1,0]
	v_fma_mix_f32 v2, v4, v2, 0 op_sel:[0,1,0] op_sel_hi:[0,1,0]
	s_waitcnt lgkmcnt(0)
	s_delay_alu instid0(VALU_DEP_2) | instskip(NEXT) | instid1(VALU_DEP_2)
	v_fma_mix_f32 v4, v0, v3, v6 op_sel_hi:[0,1,0]
	v_fma_mix_f32 v6, v0, v3, v2 op_sel:[0,1,0] op_sel_hi:[0,1,0]
	s_delay_alu instid0(VALU_DEP_2) | instskip(NEXT) | instid1(VALU_DEP_2)
	v_div_scale_f32 v7, null, v5, v5, v4
	v_div_scale_f32 v8, null, v5, v5, v6
	v_div_scale_f32 v11, vcc_lo, v4, v5, v4
	s_delay_alu instid0(VALU_DEP_3) | instskip(NEXT) | instid1(VALU_DEP_2)
	v_rcp_f32_e32 v9, v7
	v_rcp_f32_e32 v10, v8
	v_div_scale_f32 v12, s4, v6, v5, v6
	s_waitcnt_depctr 0xfff
	v_fma_f32 v0, -v7, v9, 1.0
	v_fma_f32 v2, -v8, v10, 1.0
	s_delay_alu instid0(VALU_DEP_1) | instskip(SKIP_2) | instid1(VALU_DEP_2)
	v_dual_fmac_f32 v9, v0, v9 :: v_dual_fmac_f32 v10, v2, v10
	s_waitcnt vmcnt(1)
	v_mad_u64_u32 v[2:3], null, v1, s9, v[13:14]
	v_mul_f32_e32 v3, v11, v9
	s_delay_alu instid0(VALU_DEP_3) | instskip(NEXT) | instid1(VALU_DEP_2)
	v_mul_f32_e32 v13, v12, v10
	v_fma_f32 v14, -v7, v3, v11
	s_waitcnt vmcnt(0)
	s_delay_alu instid0(VALU_DEP_4) | instskip(NEXT) | instid1(VALU_DEP_3)
	v_mad_u64_u32 v[0:1], null, v2, 56, v[16:17]
	v_fma_f32 v15, -v8, v13, v12
	s_delay_alu instid0(VALU_DEP_3) | instskip(NEXT) | instid1(VALU_DEP_2)
	v_fmac_f32_e32 v3, v14, v9
	v_fmac_f32_e32 v13, v15, v10
	s_delay_alu instid0(VALU_DEP_4) | instskip(NEXT) | instid1(VALU_DEP_3)
	v_ashrrev_i32_e32 v1, 31, v0
	v_fma_f32 v2, -v7, v3, v11
	s_delay_alu instid0(VALU_DEP_3) | instskip(NEXT) | instid1(VALU_DEP_3)
	v_fma_f32 v7, -v8, v13, v12
	v_lshlrev_b64 v[0:1], 3, v[0:1]
	s_delay_alu instid0(VALU_DEP_3) | instskip(SKIP_1) | instid1(VALU_DEP_3)
	v_div_fmas_f32 v2, v2, v9, v3
	s_mov_b32 vcc_lo, s4
	v_div_fmas_f32 v3, v7, v10, v13
	s_delay_alu instid0(VALU_DEP_3) | instskip(NEXT) | instid1(VALU_DEP_3)
	v_add_co_u32 v0, vcc_lo, s41, v0
	v_div_fixup_f32 v2, v2, v5, v4
	s_delay_alu instid0(VALU_DEP_3)
	v_div_fixup_f32 v3, v3, v5, v6
	v_add_co_ci_u32_e32 v1, vcc_lo, s59, v1, vcc_lo
	global_store_b64 v[0:1], v[2:3], off
.LBB19_371:                             ;   in Loop: Header=BB19_10 Depth=1
	s_or_b32 exec_lo, exec_lo, s6
	s_clause 0x1
	scratch_load_b32 v0, off, off offset:348
	scratch_load_b64 v[2:3], off, off offset:304
	s_waitcnt vmcnt(1)
	v_add_nc_u32_e32 v1, s66, v0
	s_waitcnt vmcnt(0)
	v_or_b32_e32 v0, s86, v2
	v_mov_b32_e32 v2, 0x47
	s_delay_alu instid0(VALU_DEP_3) | instskip(NEXT) | instid1(VALU_DEP_3)
	v_cmp_gt_i32_e32 vcc_lo, s8, v1
	v_cmp_gt_i32_e64 s4, s33, v0
	s_delay_alu instid0(VALU_DEP_1) | instskip(NEXT) | instid1(SALU_CYCLE_1)
	s_and_b32 s5, vcc_lo, s4
	s_and_saveexec_b32 s56, s5
	s_cbranch_execz .LBB19_373
; %bb.372:                              ;   in Loop: Header=BB19_10 Depth=1
	s_clause 0x1
	scratch_load_b32 v0, off, off offset:444
	scratch_load_b32 v2, off, off offset:440
	s_waitcnt vmcnt(1)
	v_add_nc_u32_e32 v0, 0x80, v0
	s_waitcnt vmcnt(0)
	v_add_nc_u32_e32 v6, 0, v2
	ds_load_2addr_stride64_b32 v[2:3], v0 offset1:15
	ds_load_2addr_b32 v[4:5], v6 offset0:56 offset1:57
	ds_load_b32 v0, v6 offset:4064
	scratch_load_b64 v[11:12], off, off offset:304 ; 8-byte Folded Reload
	s_waitcnt lgkmcnt(1)
	v_fma_mix_f32 v6, v4, v2, 0 op_sel_hi:[0,1,0]
	v_fma_mix_f32 v2, v4, v2, 0 op_sel:[0,1,0] op_sel_hi:[0,1,0]
	s_waitcnt lgkmcnt(0)
	s_delay_alu instid0(VALU_DEP_2) | instskip(NEXT) | instid1(VALU_DEP_2)
	v_fma_mix_f32 v4, v0, v3, v6 op_sel_hi:[0,1,0]
	v_fma_mix_f32 v6, v0, v3, v2 op_sel:[0,1,0] op_sel_hi:[0,1,0]
	s_delay_alu instid0(VALU_DEP_2) | instskip(NEXT) | instid1(VALU_DEP_2)
	v_div_scale_f32 v0, null, v5, v5, v4
	v_div_scale_f32 v7, null, v5, v5, v6
	s_delay_alu instid0(VALU_DEP_2) | instskip(NEXT) | instid1(VALU_DEP_1)
	v_rcp_f32_e32 v8, v0
	v_rcp_f32_e32 v9, v7
	s_waitcnt_depctr 0xfff
	v_fma_f32 v10, -v0, v8, 1.0
	s_waitcnt vmcnt(0)
	v_mad_u64_u32 v[2:3], null, v1, s9, v[11:12]
	v_fma_f32 v3, -v7, v9, 1.0
	v_div_scale_f32 v1, vcc_lo, v4, v5, v4
	s_delay_alu instid0(VALU_DEP_2) | instskip(SKIP_2) | instid1(VALU_DEP_2)
	v_dual_fmac_f32 v9, v3, v9 :: v_dual_fmac_f32 v8, v10, v8
	v_div_scale_f32 v10, s5, v6, v5, v6
	v_mul_lo_u32 v2, v2, 56
	v_mul_f32_e32 v11, v10, v9
	s_delay_alu instid0(VALU_DEP_1) | instskip(NEXT) | instid1(VALU_DEP_1)
	v_fma_f32 v13, -v7, v11, v10
	v_fmac_f32_e32 v11, v13, v9
	v_mul_f32_e32 v3, v1, v8
	s_delay_alu instid0(VALU_DEP_1) | instskip(NEXT) | instid1(VALU_DEP_1)
	v_fma_f32 v12, -v0, v3, v1
	v_fmac_f32_e32 v3, v12, v8
	v_ashrrev_i32_e32 v12, 31, v2
	s_delay_alu instid0(VALU_DEP_2) | instskip(SKIP_3) | instid1(VALU_DEP_1)
	v_fma_f32 v13, -v0, v3, v1
	scratch_load_b32 v0, off, off offset:404 ; 4-byte Folded Reload
	v_div_fmas_f32 v3, v13, v8, v3
	s_mov_b32 vcc_lo, s5
	v_div_fixup_f32 v3, v3, v5, v4
	s_waitcnt vmcnt(0)
	v_add_co_u32 v0, s6, v2, v0
	s_delay_alu instid0(VALU_DEP_1) | instskip(SKIP_1) | instid1(VALU_DEP_2)
	v_add_co_ci_u32_e64 v1, s6, 0, v12, s6
	v_fma_f32 v2, -v7, v11, v10
	v_lshlrev_b64 v[0:1], 3, v[0:1]
	s_delay_alu instid0(VALU_DEP_2) | instskip(NEXT) | instid1(VALU_DEP_2)
	v_div_fmas_f32 v2, v2, v9, v11
	v_add_co_u32 v0, vcc_lo, s41, v0
	s_delay_alu instid0(VALU_DEP_2)
	v_div_fixup_f32 v4, v2, v5, v6
	v_mov_b32_e32 v2, 0
	v_add_co_ci_u32_e32 v1, vcc_lo, s59, v1, vcc_lo
	global_store_b64 v[0:1], v[3:4], off offset:256
.LBB19_373:                             ;   in Loop: Header=BB19_10 Depth=1
	s_or_b32 exec_lo, exec_lo, s56
	s_mov_b32 s5, -1
	s_mov_b32 s6, exec_lo
	v_cmpx_gt_i32_e32 0x47, v2
; %bb.374:                              ;   in Loop: Header=BB19_10 Depth=1
	v_cmp_eq_u32_e32 vcc_lo, 0, v2
	s_or_not1_b32 s5, vcc_lo, exec_lo
; %bb.375:                              ;   in Loop: Header=BB19_10 Depth=1
	s_or_b32 exec_lo, exec_lo, s6
	s_and_saveexec_b32 s56, s5
	s_cbranch_execz .LBB19_408
; %bb.376:                              ;   in Loop: Header=BB19_10 Depth=1
	s_clause 0x1
	scratch_load_b32 v0, off, off offset:460
	scratch_load_b64 v[2:3], off, off offset:416
	s_waitcnt vmcnt(1)
	v_add_nc_u32_e32 v1, s66, v0
	s_waitcnt vmcnt(0)
	v_or_b32_e32 v0, s86, v2
	v_mov_b32_e32 v2, 0x47
	s_delay_alu instid0(VALU_DEP_3) | instskip(NEXT) | instid1(VALU_DEP_3)
	v_cmp_gt_i32_e32 vcc_lo, s8, v1
	v_cmp_gt_i32_e64 s5, s33, v0
	s_delay_alu instid0(VALU_DEP_1) | instskip(NEXT) | instid1(SALU_CYCLE_1)
	s_and_b32 s5, vcc_lo, s5
	s_and_saveexec_b32 s64, s5
	s_cbranch_execz .LBB19_378
; %bb.377:                              ;   in Loop: Header=BB19_10 Depth=1
	s_clause 0x1
	scratch_load_b32 v0, off, off offset:624
	scratch_load_b32 v2, off, off offset:620
	s_waitcnt vmcnt(1)
	v_add_nc_u32_e32 v0, 0x80, v0
	s_waitcnt vmcnt(0)
	v_add_nc_u32_e32 v6, 0, v2
	ds_load_2addr_stride64_b32 v[2:3], v0 offset1:15
	ds_load_2addr_b32 v[4:5], v6 offset0:56 offset1:57
	ds_load_b32 v0, v6 offset:4064
	scratch_load_b64 v[11:12], off, off offset:416 ; 8-byte Folded Reload
	s_waitcnt lgkmcnt(1)
	v_fma_mix_f32 v6, v4, v2, 0 op_sel_hi:[0,1,0]
	v_fma_mix_f32 v2, v4, v2, 0 op_sel:[0,1,0] op_sel_hi:[0,1,0]
	s_waitcnt lgkmcnt(0)
	s_delay_alu instid0(VALU_DEP_2) | instskip(NEXT) | instid1(VALU_DEP_2)
	v_fma_mix_f32 v4, v0, v3, v6 op_sel_hi:[0,1,0]
	v_fma_mix_f32 v6, v0, v3, v2 op_sel:[0,1,0] op_sel_hi:[0,1,0]
	s_delay_alu instid0(VALU_DEP_2) | instskip(NEXT) | instid1(VALU_DEP_2)
	v_div_scale_f32 v0, null, v5, v5, v4
	v_div_scale_f32 v7, null, v5, v5, v6
	s_delay_alu instid0(VALU_DEP_2) | instskip(NEXT) | instid1(VALU_DEP_1)
	v_rcp_f32_e32 v8, v0
	v_rcp_f32_e32 v9, v7
	s_waitcnt_depctr 0xfff
	v_fma_f32 v10, -v0, v8, 1.0
	s_waitcnt vmcnt(0)
	v_mad_u64_u32 v[2:3], null, v1, s9, v[11:12]
	v_fma_f32 v3, -v7, v9, 1.0
	v_div_scale_f32 v1, vcc_lo, v4, v5, v4
	s_delay_alu instid0(VALU_DEP_2) | instskip(SKIP_2) | instid1(VALU_DEP_2)
	v_dual_fmac_f32 v9, v3, v9 :: v_dual_fmac_f32 v8, v10, v8
	v_div_scale_f32 v10, s5, v6, v5, v6
	v_mul_lo_u32 v2, v2, 56
	v_mul_f32_e32 v11, v10, v9
	s_delay_alu instid0(VALU_DEP_1) | instskip(NEXT) | instid1(VALU_DEP_1)
	v_fma_f32 v13, -v7, v11, v10
	v_fmac_f32_e32 v11, v13, v9
	v_mul_f32_e32 v3, v1, v8
	s_delay_alu instid0(VALU_DEP_1) | instskip(NEXT) | instid1(VALU_DEP_1)
	v_fma_f32 v12, -v0, v3, v1
	v_fmac_f32_e32 v3, v12, v8
	v_ashrrev_i32_e32 v12, 31, v2
	s_delay_alu instid0(VALU_DEP_2) | instskip(SKIP_3) | instid1(VALU_DEP_1)
	v_fma_f32 v13, -v0, v3, v1
	scratch_load_b32 v0, off, off offset:404 ; 4-byte Folded Reload
	v_div_fmas_f32 v3, v13, v8, v3
	s_mov_b32 vcc_lo, s5
	v_div_fixup_f32 v3, v3, v5, v4
	s_waitcnt vmcnt(0)
	v_add_co_u32 v0, s6, v2, v0
	s_delay_alu instid0(VALU_DEP_1) | instskip(SKIP_1) | instid1(VALU_DEP_2)
	v_add_co_ci_u32_e64 v1, s6, 0, v12, s6
	v_fma_f32 v2, -v7, v11, v10
	v_lshlrev_b64 v[0:1], 3, v[0:1]
	s_delay_alu instid0(VALU_DEP_2) | instskip(NEXT) | instid1(VALU_DEP_2)
	v_div_fmas_f32 v2, v2, v9, v11
	v_add_co_u32 v0, vcc_lo, s41, v0
	s_delay_alu instid0(VALU_DEP_2)
	v_div_fixup_f32 v4, v2, v5, v6
	v_mov_b32_e32 v2, 0
	v_add_co_ci_u32_e32 v1, vcc_lo, s59, v1, vcc_lo
	global_store_b64 v[0:1], v[3:4], off offset:256
.LBB19_378:                             ;   in Loop: Header=BB19_10 Depth=1
	s_or_b32 exec_lo, exec_lo, s64
	s_mov_b32 s5, -1
	s_mov_b32 s6, exec_lo
	v_cmpx_gt_i32_e32 0x47, v2
; %bb.379:                              ;   in Loop: Header=BB19_10 Depth=1
	v_cmp_eq_u32_e32 vcc_lo, 0, v2
	s_or_not1_b32 s5, vcc_lo, exec_lo
; %bb.380:                              ;   in Loop: Header=BB19_10 Depth=1
	s_or_b32 exec_lo, exec_lo, s6
	s_delay_alu instid0(SALU_CYCLE_1)
	s_and_b32 exec_lo, exec_lo, s5
	s_cbranch_execz .LBB19_408
; %bb.381:                              ;   in Loop: Header=BB19_10 Depth=1
	s_clause 0x1
	scratch_load_b32 v0, off, off offset:644
	scratch_load_b64 v[2:3], off, off offset:596
	s_waitcnt vmcnt(1)
	v_add_nc_u32_e32 v1, s66, v0
	s_waitcnt vmcnt(0)
	v_or_b32_e32 v0, s86, v2
	v_mov_b32_e32 v2, 0x47
	s_delay_alu instid0(VALU_DEP_3) | instskip(NEXT) | instid1(VALU_DEP_3)
	v_cmp_gt_i32_e32 vcc_lo, s8, v1
	v_cmp_gt_i32_e64 s5, s33, v0
	s_delay_alu instid0(VALU_DEP_1) | instskip(NEXT) | instid1(SALU_CYCLE_1)
	s_and_b32 s5, vcc_lo, s5
	s_and_saveexec_b32 s64, s5
	s_cbranch_execz .LBB19_383
; %bb.382:                              ;   in Loop: Header=BB19_10 Depth=1
	s_clause 0x1
	scratch_load_b32 v0, off, off offset:684
	scratch_load_b32 v2, off, off offset:680
	s_waitcnt vmcnt(1)
	v_add_nc_u32_e32 v0, 0x80, v0
	s_waitcnt vmcnt(0)
	v_add_nc_u32_e32 v6, 0, v2
	ds_load_2addr_stride64_b32 v[2:3], v0 offset1:15
	ds_load_2addr_b32 v[4:5], v6 offset0:56 offset1:57
	ds_load_b32 v0, v6 offset:4064
	scratch_load_b64 v[11:12], off, off offset:596 ; 8-byte Folded Reload
	s_waitcnt lgkmcnt(1)
	v_fma_mix_f32 v6, v4, v2, 0 op_sel_hi:[0,1,0]
	v_fma_mix_f32 v2, v4, v2, 0 op_sel:[0,1,0] op_sel_hi:[0,1,0]
	s_waitcnt lgkmcnt(0)
	s_delay_alu instid0(VALU_DEP_2) | instskip(NEXT) | instid1(VALU_DEP_2)
	v_fma_mix_f32 v4, v0, v3, v6 op_sel_hi:[0,1,0]
	v_fma_mix_f32 v6, v0, v3, v2 op_sel:[0,1,0] op_sel_hi:[0,1,0]
	s_delay_alu instid0(VALU_DEP_2) | instskip(NEXT) | instid1(VALU_DEP_2)
	v_div_scale_f32 v0, null, v5, v5, v4
	v_div_scale_f32 v7, null, v5, v5, v6
	s_delay_alu instid0(VALU_DEP_2) | instskip(NEXT) | instid1(VALU_DEP_1)
	v_rcp_f32_e32 v8, v0
	v_rcp_f32_e32 v9, v7
	s_waitcnt_depctr 0xfff
	v_fma_f32 v10, -v0, v8, 1.0
	s_waitcnt vmcnt(0)
	v_mad_u64_u32 v[2:3], null, v1, s9, v[11:12]
	v_fma_f32 v3, -v7, v9, 1.0
	v_div_scale_f32 v1, vcc_lo, v4, v5, v4
	s_delay_alu instid0(VALU_DEP_2) | instskip(SKIP_2) | instid1(VALU_DEP_2)
	v_dual_fmac_f32 v9, v3, v9 :: v_dual_fmac_f32 v8, v10, v8
	v_div_scale_f32 v10, s5, v6, v5, v6
	v_mul_lo_u32 v2, v2, 56
	v_mul_f32_e32 v11, v10, v9
	s_delay_alu instid0(VALU_DEP_1) | instskip(NEXT) | instid1(VALU_DEP_1)
	v_fma_f32 v13, -v7, v11, v10
	v_fmac_f32_e32 v11, v13, v9
	v_mul_f32_e32 v3, v1, v8
	s_delay_alu instid0(VALU_DEP_1) | instskip(NEXT) | instid1(VALU_DEP_1)
	v_fma_f32 v12, -v0, v3, v1
	v_fmac_f32_e32 v3, v12, v8
	v_ashrrev_i32_e32 v12, 31, v2
	s_delay_alu instid0(VALU_DEP_2) | instskip(SKIP_3) | instid1(VALU_DEP_1)
	v_fma_f32 v13, -v0, v3, v1
	scratch_load_b32 v0, off, off offset:404 ; 4-byte Folded Reload
	v_div_fmas_f32 v3, v13, v8, v3
	s_mov_b32 vcc_lo, s5
	v_div_fixup_f32 v3, v3, v5, v4
	s_waitcnt vmcnt(0)
	v_add_co_u32 v0, s6, v2, v0
	s_delay_alu instid0(VALU_DEP_1) | instskip(SKIP_1) | instid1(VALU_DEP_2)
	v_add_co_ci_u32_e64 v1, s6, 0, v12, s6
	v_fma_f32 v2, -v7, v11, v10
	v_lshlrev_b64 v[0:1], 3, v[0:1]
	s_delay_alu instid0(VALU_DEP_2) | instskip(NEXT) | instid1(VALU_DEP_2)
	v_div_fmas_f32 v2, v2, v9, v11
	v_add_co_u32 v0, vcc_lo, s41, v0
	s_delay_alu instid0(VALU_DEP_2)
	v_div_fixup_f32 v4, v2, v5, v6
	v_mov_b32_e32 v2, 0
	v_add_co_ci_u32_e32 v1, vcc_lo, s59, v1, vcc_lo
	global_store_b64 v[0:1], v[3:4], off offset:256
.LBB19_383:                             ;   in Loop: Header=BB19_10 Depth=1
	s_or_b32 exec_lo, exec_lo, s64
	s_mov_b32 s5, -1
	s_mov_b32 s6, exec_lo
	v_cmpx_gt_i32_e32 0x47, v2
; %bb.384:                              ;   in Loop: Header=BB19_10 Depth=1
	v_cmp_eq_u32_e32 vcc_lo, 0, v2
	s_or_not1_b32 s5, vcc_lo, exec_lo
; %bb.385:                              ;   in Loop: Header=BB19_10 Depth=1
	s_or_b32 exec_lo, exec_lo, s6
	s_delay_alu instid0(SALU_CYCLE_1)
	s_and_b32 exec_lo, exec_lo, s5
	s_cbranch_execz .LBB19_408
; %bb.386:                              ;   in Loop: Header=BB19_10 Depth=1
	s_clause 0x1
	scratch_load_b32 v0, off, off offset:700
	scratch_load_b64 v[2:3], off, off offset:656
	s_waitcnt vmcnt(1)
	v_add_nc_u32_e32 v1, s66, v0
	s_waitcnt vmcnt(0)
	v_or_b32_e32 v0, s86, v2
	v_mov_b32_e32 v2, 0x47
	s_delay_alu instid0(VALU_DEP_3) | instskip(NEXT) | instid1(VALU_DEP_3)
	v_cmp_gt_i32_e32 vcc_lo, s8, v1
	v_cmp_gt_i32_e64 s5, s33, v0
	s_delay_alu instid0(VALU_DEP_1) | instskip(NEXT) | instid1(SALU_CYCLE_1)
	s_and_b32 s5, vcc_lo, s5
	s_and_saveexec_b32 s64, s5
	s_cbranch_execz .LBB19_388
; %bb.387:                              ;   in Loop: Header=BB19_10 Depth=1
	s_clause 0x1
	scratch_load_b32 v0, off, off offset:736
	scratch_load_b32 v2, off, off offset:732
	s_waitcnt vmcnt(1)
	v_add_nc_u32_e32 v0, 0x80, v0
	s_waitcnt vmcnt(0)
	v_add_nc_u32_e32 v6, 0, v2
	ds_load_2addr_stride64_b32 v[2:3], v0 offset1:15
	ds_load_2addr_b32 v[4:5], v6 offset0:56 offset1:57
	ds_load_b32 v0, v6 offset:4064
	scratch_load_b64 v[11:12], off, off offset:656 ; 8-byte Folded Reload
	s_waitcnt lgkmcnt(1)
	v_fma_mix_f32 v6, v4, v2, 0 op_sel_hi:[0,1,0]
	v_fma_mix_f32 v2, v4, v2, 0 op_sel:[0,1,0] op_sel_hi:[0,1,0]
	s_waitcnt lgkmcnt(0)
	s_delay_alu instid0(VALU_DEP_2) | instskip(NEXT) | instid1(VALU_DEP_2)
	v_fma_mix_f32 v4, v0, v3, v6 op_sel_hi:[0,1,0]
	v_fma_mix_f32 v6, v0, v3, v2 op_sel:[0,1,0] op_sel_hi:[0,1,0]
	s_delay_alu instid0(VALU_DEP_2) | instskip(NEXT) | instid1(VALU_DEP_2)
	v_div_scale_f32 v0, null, v5, v5, v4
	v_div_scale_f32 v7, null, v5, v5, v6
	s_delay_alu instid0(VALU_DEP_2) | instskip(NEXT) | instid1(VALU_DEP_1)
	v_rcp_f32_e32 v8, v0
	v_rcp_f32_e32 v9, v7
	s_waitcnt_depctr 0xfff
	v_fma_f32 v10, -v0, v8, 1.0
	s_waitcnt vmcnt(0)
	v_mad_u64_u32 v[2:3], null, v1, s9, v[11:12]
	v_fma_f32 v3, -v7, v9, 1.0
	v_div_scale_f32 v1, vcc_lo, v4, v5, v4
	s_delay_alu instid0(VALU_DEP_2) | instskip(SKIP_2) | instid1(VALU_DEP_2)
	v_dual_fmac_f32 v9, v3, v9 :: v_dual_fmac_f32 v8, v10, v8
	v_div_scale_f32 v10, s5, v6, v5, v6
	v_mul_lo_u32 v2, v2, 56
	v_mul_f32_e32 v11, v10, v9
	s_delay_alu instid0(VALU_DEP_1) | instskip(NEXT) | instid1(VALU_DEP_1)
	v_fma_f32 v13, -v7, v11, v10
	v_fmac_f32_e32 v11, v13, v9
	v_mul_f32_e32 v3, v1, v8
	s_delay_alu instid0(VALU_DEP_1) | instskip(NEXT) | instid1(VALU_DEP_1)
	v_fma_f32 v12, -v0, v3, v1
	v_fmac_f32_e32 v3, v12, v8
	v_ashrrev_i32_e32 v12, 31, v2
	s_delay_alu instid0(VALU_DEP_2) | instskip(SKIP_3) | instid1(VALU_DEP_1)
	v_fma_f32 v13, -v0, v3, v1
	scratch_load_b32 v0, off, off offset:404 ; 4-byte Folded Reload
	v_div_fmas_f32 v3, v13, v8, v3
	s_mov_b32 vcc_lo, s5
	v_div_fixup_f32 v3, v3, v5, v4
	s_waitcnt vmcnt(0)
	v_add_co_u32 v0, s6, v2, v0
	s_delay_alu instid0(VALU_DEP_1) | instskip(SKIP_1) | instid1(VALU_DEP_2)
	v_add_co_ci_u32_e64 v1, s6, 0, v12, s6
	v_fma_f32 v2, -v7, v11, v10
	v_lshlrev_b64 v[0:1], 3, v[0:1]
	s_delay_alu instid0(VALU_DEP_2) | instskip(NEXT) | instid1(VALU_DEP_2)
	v_div_fmas_f32 v2, v2, v9, v11
	v_add_co_u32 v0, vcc_lo, s41, v0
	s_delay_alu instid0(VALU_DEP_2)
	v_div_fixup_f32 v4, v2, v5, v6
	v_mov_b32_e32 v2, 0
	v_add_co_ci_u32_e32 v1, vcc_lo, s59, v1, vcc_lo
	global_store_b64 v[0:1], v[3:4], off offset:256
.LBB19_388:                             ;   in Loop: Header=BB19_10 Depth=1
	s_or_b32 exec_lo, exec_lo, s64
	s_mov_b32 s5, -1
	s_mov_b32 s6, exec_lo
	v_cmpx_gt_i32_e32 0x47, v2
; %bb.389:                              ;   in Loop: Header=BB19_10 Depth=1
	v_cmp_eq_u32_e32 vcc_lo, 0, v2
	s_or_not1_b32 s5, vcc_lo, exec_lo
; %bb.390:                              ;   in Loop: Header=BB19_10 Depth=1
	s_or_b32 exec_lo, exec_lo, s6
	s_delay_alu instid0(SALU_CYCLE_1)
	s_and_b32 exec_lo, exec_lo, s5
	s_cbranch_execz .LBB19_408
; %bb.391:                              ;   in Loop: Header=BB19_10 Depth=1
	scratch_load_b32 v0, off, off offset:740 ; 4-byte Folded Reload
	s_waitcnt vmcnt(0)
	v_dual_mov_b32 v2, 0x47 :: v_dual_add_nc_u32 v1, s66, v0
	s_delay_alu instid0(VALU_DEP_1) | instskip(SKIP_1) | instid1(SALU_CYCLE_1)
	v_cmp_gt_i32_e32 vcc_lo, s8, v1
	s_and_b32 s4, vcc_lo, s4
	s_and_saveexec_b32 s6, s4
	s_cbranch_execz .LBB19_393
; %bb.392:                              ;   in Loop: Header=BB19_10 Depth=1
	s_clause 0x1
	scratch_load_b32 v0, off, off offset:820
	scratch_load_b32 v2, off, off offset:816
	s_waitcnt vmcnt(1)
	v_add_nc_u32_e32 v0, 0x80, v0
	s_waitcnt vmcnt(0)
	v_add_nc_u32_e32 v6, 0, v2
	ds_load_2addr_stride64_b32 v[2:3], v0 offset1:15
	ds_load_2addr_b32 v[4:5], v6 offset0:56 offset1:57
	ds_load_b32 v0, v6 offset:4064
	scratch_load_b64 v[11:12], off, off offset:304 ; 8-byte Folded Reload
	s_waitcnt lgkmcnt(1)
	v_fma_mix_f32 v6, v4, v2, 0 op_sel_hi:[0,1,0]
	v_fma_mix_f32 v2, v4, v2, 0 op_sel:[0,1,0] op_sel_hi:[0,1,0]
	s_waitcnt lgkmcnt(0)
	s_delay_alu instid0(VALU_DEP_2) | instskip(NEXT) | instid1(VALU_DEP_2)
	v_fma_mix_f32 v4, v0, v3, v6 op_sel_hi:[0,1,0]
	v_fma_mix_f32 v6, v0, v3, v2 op_sel:[0,1,0] op_sel_hi:[0,1,0]
	s_delay_alu instid0(VALU_DEP_2) | instskip(NEXT) | instid1(VALU_DEP_2)
	v_div_scale_f32 v0, null, v5, v5, v4
	v_div_scale_f32 v7, null, v5, v5, v6
	s_delay_alu instid0(VALU_DEP_2) | instskip(NEXT) | instid1(VALU_DEP_1)
	v_rcp_f32_e32 v8, v0
	v_rcp_f32_e32 v9, v7
	s_waitcnt_depctr 0xfff
	v_fma_f32 v10, -v0, v8, 1.0
	s_waitcnt vmcnt(0)
	v_mad_u64_u32 v[2:3], null, v1, s9, v[11:12]
	v_fma_f32 v3, -v7, v9, 1.0
	v_div_scale_f32 v1, vcc_lo, v4, v5, v4
	s_delay_alu instid0(VALU_DEP_2) | instskip(SKIP_2) | instid1(VALU_DEP_2)
	v_dual_fmac_f32 v9, v3, v9 :: v_dual_fmac_f32 v8, v10, v8
	v_div_scale_f32 v10, s4, v6, v5, v6
	v_mul_lo_u32 v2, v2, 56
	v_mul_f32_e32 v11, v10, v9
	s_delay_alu instid0(VALU_DEP_1) | instskip(NEXT) | instid1(VALU_DEP_1)
	v_fma_f32 v13, -v7, v11, v10
	v_fmac_f32_e32 v11, v13, v9
	v_mul_f32_e32 v3, v1, v8
	s_delay_alu instid0(VALU_DEP_1) | instskip(NEXT) | instid1(VALU_DEP_1)
	v_fma_f32 v12, -v0, v3, v1
	v_fmac_f32_e32 v3, v12, v8
	v_ashrrev_i32_e32 v12, 31, v2
	s_delay_alu instid0(VALU_DEP_2) | instskip(SKIP_3) | instid1(VALU_DEP_1)
	v_fma_f32 v13, -v0, v3, v1
	scratch_load_b32 v0, off, off offset:404 ; 4-byte Folded Reload
	v_div_fmas_f32 v3, v13, v8, v3
	s_mov_b32 vcc_lo, s4
	v_div_fixup_f32 v3, v3, v5, v4
	s_waitcnt vmcnt(0)
	v_add_co_u32 v0, s5, v2, v0
	s_delay_alu instid0(VALU_DEP_1) | instskip(SKIP_1) | instid1(VALU_DEP_2)
	v_add_co_ci_u32_e64 v1, s5, 0, v12, s5
	v_fma_f32 v2, -v7, v11, v10
	v_lshlrev_b64 v[0:1], 3, v[0:1]
	s_delay_alu instid0(VALU_DEP_2) | instskip(NEXT) | instid1(VALU_DEP_2)
	v_div_fmas_f32 v2, v2, v9, v11
	v_add_co_u32 v0, vcc_lo, s41, v0
	s_delay_alu instid0(VALU_DEP_2)
	v_div_fixup_f32 v4, v2, v5, v6
	v_mov_b32_e32 v2, 0
	v_add_co_ci_u32_e32 v1, vcc_lo, s59, v1, vcc_lo
	global_store_b64 v[0:1], v[3:4], off offset:256
.LBB19_393:                             ;   in Loop: Header=BB19_10 Depth=1
	s_or_b32 exec_lo, exec_lo, s6
	s_mov_b32 s4, -1
	s_mov_b32 s5, exec_lo
	v_cmpx_gt_i32_e32 0x47, v2
; %bb.394:                              ;   in Loop: Header=BB19_10 Depth=1
	v_cmp_eq_u32_e32 vcc_lo, 0, v2
	s_or_not1_b32 s4, vcc_lo, exec_lo
; %bb.395:                              ;   in Loop: Header=BB19_10 Depth=1
	s_or_b32 exec_lo, exec_lo, s5
	s_delay_alu instid0(SALU_CYCLE_1)
	s_and_b32 exec_lo, exec_lo, s4
	s_cbranch_execz .LBB19_408
; %bb.396:                              ;   in Loop: Header=BB19_10 Depth=1
	s_clause 0x1
	scratch_load_b32 v0, off, off offset:828
	scratch_load_b64 v[2:3], off, off offset:800
	s_waitcnt vmcnt(1)
	v_add_nc_u32_e32 v1, s66, v0
	s_waitcnt vmcnt(0)
	v_or_b32_e32 v0, s86, v2
	v_mov_b32_e32 v2, 0x47
	s_delay_alu instid0(VALU_DEP_3) | instskip(NEXT) | instid1(VALU_DEP_3)
	v_cmp_gt_i32_e32 vcc_lo, s8, v1
	v_cmp_gt_i32_e64 s4, s33, v0
	s_delay_alu instid0(VALU_DEP_1) | instskip(NEXT) | instid1(SALU_CYCLE_1)
	s_and_b32 s4, vcc_lo, s4
	s_and_saveexec_b32 s6, s4
	s_cbranch_execz .LBB19_398
; %bb.397:                              ;   in Loop: Header=BB19_10 Depth=1
	s_clause 0x1
	scratch_load_b32 v0, off, off offset:860
	scratch_load_b32 v2, off, off offset:856
	s_waitcnt vmcnt(1)
	v_add_nc_u32_e32 v0, 0x80, v0
	s_waitcnt vmcnt(0)
	v_add_nc_u32_e32 v6, 0, v2
	ds_load_2addr_stride64_b32 v[2:3], v0 offset1:15
	ds_load_2addr_b32 v[4:5], v6 offset0:56 offset1:57
	ds_load_b32 v0, v6 offset:4064
	scratch_load_b64 v[11:12], off, off offset:800 ; 8-byte Folded Reload
	s_waitcnt lgkmcnt(1)
	v_fma_mix_f32 v6, v4, v2, 0 op_sel_hi:[0,1,0]
	v_fma_mix_f32 v2, v4, v2, 0 op_sel:[0,1,0] op_sel_hi:[0,1,0]
	s_waitcnt lgkmcnt(0)
	s_delay_alu instid0(VALU_DEP_2) | instskip(NEXT) | instid1(VALU_DEP_2)
	v_fma_mix_f32 v4, v0, v3, v6 op_sel_hi:[0,1,0]
	v_fma_mix_f32 v6, v0, v3, v2 op_sel:[0,1,0] op_sel_hi:[0,1,0]
	s_delay_alu instid0(VALU_DEP_2) | instskip(NEXT) | instid1(VALU_DEP_2)
	v_div_scale_f32 v0, null, v5, v5, v4
	v_div_scale_f32 v7, null, v5, v5, v6
	s_delay_alu instid0(VALU_DEP_2) | instskip(NEXT) | instid1(VALU_DEP_1)
	v_rcp_f32_e32 v8, v0
	v_rcp_f32_e32 v9, v7
	s_waitcnt_depctr 0xfff
	v_fma_f32 v10, -v0, v8, 1.0
	s_waitcnt vmcnt(0)
	v_mad_u64_u32 v[2:3], null, v1, s9, v[11:12]
	v_fma_f32 v3, -v7, v9, 1.0
	v_div_scale_f32 v1, vcc_lo, v4, v5, v4
	s_delay_alu instid0(VALU_DEP_2) | instskip(SKIP_2) | instid1(VALU_DEP_2)
	v_dual_fmac_f32 v9, v3, v9 :: v_dual_fmac_f32 v8, v10, v8
	v_div_scale_f32 v10, s4, v6, v5, v6
	v_mul_lo_u32 v2, v2, 56
	v_mul_f32_e32 v11, v10, v9
	s_delay_alu instid0(VALU_DEP_1) | instskip(NEXT) | instid1(VALU_DEP_1)
	v_fma_f32 v13, -v7, v11, v10
	v_fmac_f32_e32 v11, v13, v9
	v_mul_f32_e32 v3, v1, v8
	s_delay_alu instid0(VALU_DEP_1) | instskip(NEXT) | instid1(VALU_DEP_1)
	v_fma_f32 v12, -v0, v3, v1
	v_fmac_f32_e32 v3, v12, v8
	v_ashrrev_i32_e32 v12, 31, v2
	s_delay_alu instid0(VALU_DEP_2) | instskip(SKIP_3) | instid1(VALU_DEP_1)
	v_fma_f32 v13, -v0, v3, v1
	scratch_load_b32 v0, off, off offset:404 ; 4-byte Folded Reload
	v_div_fmas_f32 v3, v13, v8, v3
	s_mov_b32 vcc_lo, s4
	v_div_fixup_f32 v3, v3, v5, v4
	s_waitcnt vmcnt(0)
	v_add_co_u32 v0, s5, v2, v0
	s_delay_alu instid0(VALU_DEP_1) | instskip(SKIP_1) | instid1(VALU_DEP_2)
	v_add_co_ci_u32_e64 v1, s5, 0, v12, s5
	v_fma_f32 v2, -v7, v11, v10
	v_lshlrev_b64 v[0:1], 3, v[0:1]
	s_delay_alu instid0(VALU_DEP_2) | instskip(NEXT) | instid1(VALU_DEP_2)
	v_div_fmas_f32 v2, v2, v9, v11
	v_add_co_u32 v0, vcc_lo, s41, v0
	s_delay_alu instid0(VALU_DEP_2)
	v_div_fixup_f32 v4, v2, v5, v6
	v_mov_b32_e32 v2, 0
	v_add_co_ci_u32_e32 v1, vcc_lo, s59, v1, vcc_lo
	global_store_b64 v[0:1], v[3:4], off offset:256
.LBB19_398:                             ;   in Loop: Header=BB19_10 Depth=1
	s_or_b32 exec_lo, exec_lo, s6
	s_mov_b32 s4, -1
	s_mov_b32 s5, exec_lo
	v_cmpx_gt_i32_e32 0x47, v2
; %bb.399:                              ;   in Loop: Header=BB19_10 Depth=1
	v_cmp_eq_u32_e32 vcc_lo, 0, v2
	s_or_not1_b32 s4, vcc_lo, exec_lo
; %bb.400:                              ;   in Loop: Header=BB19_10 Depth=1
	s_or_b32 exec_lo, exec_lo, s5
	s_delay_alu instid0(SALU_CYCLE_1)
	s_and_b32 exec_lo, exec_lo, s4
	s_cbranch_execz .LBB19_408
; %bb.401:                              ;   in Loop: Header=BB19_10 Depth=1
	s_clause 0x1
	scratch_load_b32 v0, off, off offset:868
	scratch_load_b64 v[2:3], off, off offset:840
	s_waitcnt vmcnt(1)
	v_add_nc_u32_e32 v1, s66, v0
	s_waitcnt vmcnt(0)
	v_or_b32_e32 v0, s86, v2
	v_mov_b32_e32 v2, 0x47
	s_delay_alu instid0(VALU_DEP_3) | instskip(NEXT) | instid1(VALU_DEP_3)
	v_cmp_gt_i32_e32 vcc_lo, s8, v1
	v_cmp_gt_i32_e64 s4, s33, v0
	s_delay_alu instid0(VALU_DEP_1) | instskip(NEXT) | instid1(SALU_CYCLE_1)
	s_and_b32 s4, vcc_lo, s4
	s_and_saveexec_b32 s6, s4
	s_cbranch_execz .LBB19_403
; %bb.402:                              ;   in Loop: Header=BB19_10 Depth=1
	s_clause 0x1
	scratch_load_b32 v0, off, off offset:900
	scratch_load_b32 v2, off, off offset:896
	s_waitcnt vmcnt(1)
	v_add_nc_u32_e32 v0, 0x80, v0
	s_waitcnt vmcnt(0)
	v_add_nc_u32_e32 v6, 0, v2
	ds_load_2addr_stride64_b32 v[2:3], v0 offset1:15
	ds_load_2addr_b32 v[4:5], v6 offset0:56 offset1:57
	ds_load_b32 v0, v6 offset:4064
	scratch_load_b64 v[11:12], off, off offset:840 ; 8-byte Folded Reload
	s_waitcnt lgkmcnt(1)
	v_fma_mix_f32 v6, v4, v2, 0 op_sel_hi:[0,1,0]
	v_fma_mix_f32 v2, v4, v2, 0 op_sel:[0,1,0] op_sel_hi:[0,1,0]
	s_waitcnt lgkmcnt(0)
	s_delay_alu instid0(VALU_DEP_2) | instskip(NEXT) | instid1(VALU_DEP_2)
	v_fma_mix_f32 v4, v0, v3, v6 op_sel_hi:[0,1,0]
	v_fma_mix_f32 v6, v0, v3, v2 op_sel:[0,1,0] op_sel_hi:[0,1,0]
	s_delay_alu instid0(VALU_DEP_2) | instskip(NEXT) | instid1(VALU_DEP_2)
	v_div_scale_f32 v0, null, v5, v5, v4
	v_div_scale_f32 v7, null, v5, v5, v6
	s_delay_alu instid0(VALU_DEP_2) | instskip(NEXT) | instid1(VALU_DEP_1)
	v_rcp_f32_e32 v8, v0
	v_rcp_f32_e32 v9, v7
	s_waitcnt_depctr 0xfff
	v_fma_f32 v10, -v0, v8, 1.0
	s_waitcnt vmcnt(0)
	v_mad_u64_u32 v[2:3], null, v1, s9, v[11:12]
	v_fma_f32 v3, -v7, v9, 1.0
	v_div_scale_f32 v1, vcc_lo, v4, v5, v4
	s_delay_alu instid0(VALU_DEP_2) | instskip(SKIP_2) | instid1(VALU_DEP_2)
	v_dual_fmac_f32 v9, v3, v9 :: v_dual_fmac_f32 v8, v10, v8
	v_div_scale_f32 v10, s4, v6, v5, v6
	v_mul_lo_u32 v2, v2, 56
	v_mul_f32_e32 v11, v10, v9
	s_delay_alu instid0(VALU_DEP_1) | instskip(NEXT) | instid1(VALU_DEP_1)
	v_fma_f32 v13, -v7, v11, v10
	v_fmac_f32_e32 v11, v13, v9
	v_mul_f32_e32 v3, v1, v8
	s_delay_alu instid0(VALU_DEP_1) | instskip(NEXT) | instid1(VALU_DEP_1)
	v_fma_f32 v12, -v0, v3, v1
	v_fmac_f32_e32 v3, v12, v8
	v_ashrrev_i32_e32 v12, 31, v2
	s_delay_alu instid0(VALU_DEP_2) | instskip(SKIP_3) | instid1(VALU_DEP_1)
	v_fma_f32 v13, -v0, v3, v1
	scratch_load_b32 v0, off, off offset:404 ; 4-byte Folded Reload
	v_div_fmas_f32 v3, v13, v8, v3
	s_mov_b32 vcc_lo, s4
	v_div_fixup_f32 v3, v3, v5, v4
	s_waitcnt vmcnt(0)
	v_add_co_u32 v0, s5, v2, v0
	s_delay_alu instid0(VALU_DEP_1) | instskip(SKIP_1) | instid1(VALU_DEP_2)
	v_add_co_ci_u32_e64 v1, s5, 0, v12, s5
	v_fma_f32 v2, -v7, v11, v10
	v_lshlrev_b64 v[0:1], 3, v[0:1]
	s_delay_alu instid0(VALU_DEP_2) | instskip(NEXT) | instid1(VALU_DEP_2)
	v_div_fmas_f32 v2, v2, v9, v11
	v_add_co_u32 v0, vcc_lo, s41, v0
	s_delay_alu instid0(VALU_DEP_2)
	v_div_fixup_f32 v4, v2, v5, v6
	v_mov_b32_e32 v2, 0
	v_add_co_ci_u32_e32 v1, vcc_lo, s59, v1, vcc_lo
	global_store_b64 v[0:1], v[3:4], off offset:256
.LBB19_403:                             ;   in Loop: Header=BB19_10 Depth=1
	s_or_b32 exec_lo, exec_lo, s6
	s_mov_b32 s4, -1
	s_mov_b32 s5, exec_lo
	v_cmpx_gt_i32_e32 0x47, v2
; %bb.404:                              ;   in Loop: Header=BB19_10 Depth=1
	v_cmp_eq_u32_e32 vcc_lo, 0, v2
	s_or_not1_b32 s4, vcc_lo, exec_lo
; %bb.405:                              ;   in Loop: Header=BB19_10 Depth=1
	s_or_b32 exec_lo, exec_lo, s5
	s_delay_alu instid0(SALU_CYCLE_1)
	s_and_b32 exec_lo, exec_lo, s4
	s_cbranch_execz .LBB19_408
; %bb.406:                              ;   in Loop: Header=BB19_10 Depth=1
	s_clause 0x1
	scratch_load_b32 v0, off, off offset:908
	scratch_load_b64 v[2:3], off, off offset:880
	s_waitcnt vmcnt(1)
	v_add_nc_u32_e32 v1, s66, v0
	s_waitcnt vmcnt(0)
	v_or_b32_e32 v0, s86, v2
	s_delay_alu instid0(VALU_DEP_2) | instskip(NEXT) | instid1(VALU_DEP_2)
	v_cmp_gt_i32_e32 vcc_lo, s8, v1
	v_cmp_gt_i32_e64 s4, s33, v0
	s_delay_alu instid0(VALU_DEP_1) | instskip(NEXT) | instid1(SALU_CYCLE_1)
	s_and_b32 s4, vcc_lo, s4
	s_and_b32 exec_lo, exec_lo, s4
	s_cbranch_execz .LBB19_408
; %bb.407:                              ;   in Loop: Header=BB19_10 Depth=1
	s_clause 0x1
	scratch_load_b32 v0, off, off offset:928
	scratch_load_b32 v2, off, off offset:924
	s_waitcnt vmcnt(1)
	v_add_nc_u32_e32 v0, 0x80, v0
	s_waitcnt vmcnt(0)
	v_add_nc_u32_e32 v6, 0, v2
	ds_load_2addr_stride64_b32 v[2:3], v0 offset1:15
	ds_load_2addr_b32 v[4:5], v6 offset0:56 offset1:57
	ds_load_b32 v0, v6 offset:4064
	scratch_load_b64 v[11:12], off, off offset:880 ; 8-byte Folded Reload
	s_waitcnt lgkmcnt(1)
	v_fma_mix_f32 v6, v4, v2, 0 op_sel_hi:[0,1,0]
	v_fma_mix_f32 v2, v4, v2, 0 op_sel:[0,1,0] op_sel_hi:[0,1,0]
	s_waitcnt lgkmcnt(0)
	s_delay_alu instid0(VALU_DEP_2) | instskip(NEXT) | instid1(VALU_DEP_2)
	v_fma_mix_f32 v4, v0, v3, v6 op_sel_hi:[0,1,0]
	v_fma_mix_f32 v6, v0, v3, v2 op_sel:[0,1,0] op_sel_hi:[0,1,0]
	s_delay_alu instid0(VALU_DEP_2) | instskip(NEXT) | instid1(VALU_DEP_2)
	v_div_scale_f32 v0, null, v5, v5, v4
	v_div_scale_f32 v7, null, v5, v5, v6
	s_delay_alu instid0(VALU_DEP_2) | instskip(NEXT) | instid1(VALU_DEP_1)
	v_rcp_f32_e32 v8, v0
	v_rcp_f32_e32 v9, v7
	s_waitcnt_depctr 0xfff
	v_fma_f32 v10, -v0, v8, 1.0
	s_waitcnt vmcnt(0)
	v_mad_u64_u32 v[2:3], null, v1, s9, v[11:12]
	v_fma_f32 v3, -v7, v9, 1.0
	v_div_scale_f32 v1, vcc_lo, v4, v5, v4
	s_delay_alu instid0(VALU_DEP_2) | instskip(SKIP_2) | instid1(VALU_DEP_2)
	v_dual_fmac_f32 v9, v3, v9 :: v_dual_fmac_f32 v8, v10, v8
	v_div_scale_f32 v10, s4, v6, v5, v6
	v_mul_lo_u32 v2, v2, 56
	v_mul_f32_e32 v11, v10, v9
	s_delay_alu instid0(VALU_DEP_1) | instskip(NEXT) | instid1(VALU_DEP_1)
	v_fma_f32 v13, -v7, v11, v10
	v_fmac_f32_e32 v11, v13, v9
	v_mul_f32_e32 v3, v1, v8
	s_delay_alu instid0(VALU_DEP_1) | instskip(NEXT) | instid1(VALU_DEP_1)
	v_fma_f32 v12, -v0, v3, v1
	v_fmac_f32_e32 v3, v12, v8
	v_ashrrev_i32_e32 v12, 31, v2
	s_delay_alu instid0(VALU_DEP_2)
	v_fma_f32 v13, -v0, v3, v1
	scratch_load_b32 v0, off, off offset:404 ; 4-byte Folded Reload
	v_div_fmas_f32 v3, v13, v8, v3
	s_mov_b32 vcc_lo, s4
	s_waitcnt vmcnt(0)
	v_add_co_u32 v0, s5, v2, v0
	s_delay_alu instid0(VALU_DEP_1) | instskip(SKIP_1) | instid1(VALU_DEP_2)
	v_add_co_ci_u32_e64 v1, s5, 0, v12, s5
	v_fma_f32 v2, -v7, v11, v10
	v_lshlrev_b64 v[0:1], 3, v[0:1]
	s_delay_alu instid0(VALU_DEP_2) | instskip(SKIP_1) | instid1(VALU_DEP_3)
	v_div_fmas_f32 v7, v2, v9, v11
	v_div_fixup_f32 v2, v3, v5, v4
	v_add_co_u32 v0, vcc_lo, s41, v0
	s_delay_alu instid0(VALU_DEP_3)
	v_div_fixup_f32 v3, v7, v5, v6
	v_add_co_ci_u32_e32 v1, vcc_lo, s59, v1, vcc_lo
	global_store_b64 v[0:1], v[2:3], off offset:256
.LBB19_408:                             ;   in Loop: Header=BB19_10 Depth=1
	s_or_b32 exec_lo, exec_lo, s56
	s_clause 0x1
	scratch_load_b32 v0, off, off offset:352
	scratch_load_b64 v[2:3], off, off offset:292
	s_waitcnt vmcnt(1)
	v_add_nc_u32_e32 v1, s66, v0
	s_waitcnt vmcnt(0)
	v_or_b32_e32 v0, s86, v2
	v_mov_b32_e32 v2, 0x47
	s_delay_alu instid0(VALU_DEP_3) | instskip(NEXT) | instid1(VALU_DEP_3)
	v_cmp_gt_i32_e32 vcc_lo, s8, v1
	v_cmp_gt_i32_e64 s4, s33, v0
	s_delay_alu instid0(VALU_DEP_1) | instskip(NEXT) | instid1(SALU_CYCLE_1)
	s_and_b32 s5, vcc_lo, s4
	s_and_saveexec_b32 s6, s5
	s_cbranch_execz .LBB19_410
; %bb.409:                              ;   in Loop: Header=BB19_10 Depth=1
	s_clause 0x1
	scratch_load_b32 v0, off, off offset:452
	scratch_load_b32 v2, off, off offset:448
	s_waitcnt vmcnt(1)
	v_add_nc_u32_e32 v0, 0xc0, v0
	s_waitcnt vmcnt(0)
	v_add_nc_u32_e32 v6, 0, v2
	ds_load_2addr_stride64_b32 v[2:3], v0 offset1:15
	ds_load_2addr_b32 v[4:5], v6 offset0:56 offset1:57
	ds_load_b32 v0, v6 offset:4064
	scratch_load_b64 v[11:12], off, off offset:292 ; 8-byte Folded Reload
	s_waitcnt lgkmcnt(1)
	v_fma_mix_f32 v6, v4, v2, 0 op_sel_hi:[0,1,0]
	v_fma_mix_f32 v2, v4, v2, 0 op_sel:[0,1,0] op_sel_hi:[0,1,0]
	s_waitcnt lgkmcnt(0)
	s_delay_alu instid0(VALU_DEP_2) | instskip(NEXT) | instid1(VALU_DEP_2)
	v_fma_mix_f32 v4, v0, v3, v6 op_sel_hi:[0,1,0]
	v_fma_mix_f32 v6, v0, v3, v2 op_sel:[0,1,0] op_sel_hi:[0,1,0]
	s_delay_alu instid0(VALU_DEP_2) | instskip(NEXT) | instid1(VALU_DEP_2)
	v_div_scale_f32 v7, null, v5, v5, v4
	v_div_scale_f32 v8, null, v5, v5, v6
	s_delay_alu instid0(VALU_DEP_2) | instskip(NEXT) | instid1(VALU_DEP_1)
	v_rcp_f32_e32 v9, v7
	v_rcp_f32_e32 v10, v8
	s_waitcnt_depctr 0xfff
	v_fma_f32 v0, -v7, v9, 1.0
	s_delay_alu instid0(VALU_DEP_1)
	v_fmac_f32_e32 v9, v0, v9
	s_waitcnt vmcnt(0)
	v_mad_u64_u32 v[2:3], null, v1, s9, v[11:12]
	v_fma_f32 v1, -v8, v10, 1.0
	v_div_scale_f32 v11, s5, v6, v5, v6
	v_div_scale_f32 v3, vcc_lo, v4, v5, v4
	s_delay_alu instid0(VALU_DEP_3) | instskip(SKIP_1) | instid1(VALU_DEP_2)
	v_fmac_f32_e32 v10, v1, v10
	v_mul_lo_u32 v0, v2, 56
	v_mul_f32_e32 v13, v11, v10
	s_delay_alu instid0(VALU_DEP_1) | instskip(NEXT) | instid1(VALU_DEP_1)
	v_fma_f32 v2, -v8, v13, v11
	v_dual_mul_f32 v12, v3, v9 :: v_dual_fmac_f32 v13, v2, v10
	scratch_load_b32 v2, off, off offset:284 ; 4-byte Folded Reload
	v_fma_f32 v1, -v7, v12, v3
	s_delay_alu instid0(VALU_DEP_1) | instskip(SKIP_1) | instid1(VALU_DEP_1)
	v_fmac_f32_e32 v12, v1, v9
	v_ashrrev_i32_e32 v1, 31, v0
	v_or_b32_e32 v1, 0, v1
	s_waitcnt vmcnt(0)
	v_or_b32_e32 v0, v0, v2
	v_fma_f32 v2, -v7, v12, v3
	v_fma_f32 v3, -v8, v13, v11
	s_delay_alu instid0(VALU_DEP_3) | instskip(NEXT) | instid1(VALU_DEP_3)
	v_lshlrev_b64 v[0:1], 3, v[0:1]
	v_div_fmas_f32 v2, v2, v9, v12
	s_mov_b32 vcc_lo, s5
	s_delay_alu instid0(VALU_DEP_3) | instskip(NEXT) | instid1(VALU_DEP_3)
	v_div_fmas_f32 v7, v3, v10, v13
	v_add_co_u32 v0, vcc_lo, s41, v0
	s_delay_alu instid0(VALU_DEP_3) | instskip(NEXT) | instid1(VALU_DEP_3)
	v_div_fixup_f32 v3, v2, v5, v4
	v_div_fixup_f32 v4, v7, v5, v6
	v_add_co_ci_u32_e32 v1, vcc_lo, s59, v1, vcc_lo
	v_mov_b32_e32 v2, 0
	global_store_b64 v[0:1], v[3:4], off offset:384
.LBB19_410:                             ;   in Loop: Header=BB19_10 Depth=1
	s_or_b32 exec_lo, exec_lo, s6
	s_mov_b32 s5, -1
	s_mov_b32 s6, exec_lo
	v_cmpx_gt_i32_e32 0x47, v2
; %bb.411:                              ;   in Loop: Header=BB19_10 Depth=1
	v_cmp_eq_u32_e32 vcc_lo, 0, v2
	s_or_not1_b32 s5, vcc_lo, exec_lo
; %bb.412:                              ;   in Loop: Header=BB19_10 Depth=1
	s_or_b32 exec_lo, exec_lo, s6
	s_delay_alu instid0(SALU_CYCLE_1)
	s_and_b32 exec_lo, exec_lo, s5
	s_cbranch_execz .LBB19_425
; %bb.413:                              ;   in Loop: Header=BB19_10 Depth=1
	s_clause 0x1
	scratch_load_b32 v0, off, off offset:464
	scratch_load_b64 v[2:3], off, off offset:424
	s_waitcnt vmcnt(1)
	v_add_nc_u32_e32 v1, s66, v0
	s_waitcnt vmcnt(0)
	v_or_b32_e32 v0, s86, v2
	v_mov_b32_e32 v2, 0x47
	s_delay_alu instid0(VALU_DEP_3) | instskip(NEXT) | instid1(VALU_DEP_3)
	v_cmp_gt_i32_e32 vcc_lo, s8, v1
	v_cmp_gt_i32_e64 s5, s33, v0
	s_delay_alu instid0(VALU_DEP_1) | instskip(NEXT) | instid1(SALU_CYCLE_1)
	s_and_b32 s5, vcc_lo, s5
	s_and_saveexec_b32 s6, s5
	s_cbranch_execz .LBB19_415
; %bb.414:                              ;   in Loop: Header=BB19_10 Depth=1
	s_clause 0x1
	scratch_load_b32 v0, off, off offset:632
	scratch_load_b32 v2, off, off offset:628
	s_waitcnt vmcnt(1)
	v_add_nc_u32_e32 v0, 0xc0, v0
	s_waitcnt vmcnt(0)
	v_add_nc_u32_e32 v6, 0, v2
	ds_load_2addr_stride64_b32 v[2:3], v0 offset1:15
	ds_load_2addr_b32 v[4:5], v6 offset0:56 offset1:57
	ds_load_b32 v0, v6 offset:4064
	scratch_load_b64 v[11:12], off, off offset:424 ; 8-byte Folded Reload
	s_waitcnt lgkmcnt(1)
	v_fma_mix_f32 v6, v4, v2, 0 op_sel_hi:[0,1,0]
	v_fma_mix_f32 v2, v4, v2, 0 op_sel:[0,1,0] op_sel_hi:[0,1,0]
	s_waitcnt lgkmcnt(0)
	s_delay_alu instid0(VALU_DEP_2) | instskip(NEXT) | instid1(VALU_DEP_2)
	v_fma_mix_f32 v4, v0, v3, v6 op_sel_hi:[0,1,0]
	v_fma_mix_f32 v6, v0, v3, v2 op_sel:[0,1,0] op_sel_hi:[0,1,0]
	s_delay_alu instid0(VALU_DEP_2) | instskip(NEXT) | instid1(VALU_DEP_2)
	v_div_scale_f32 v7, null, v5, v5, v4
	v_div_scale_f32 v8, null, v5, v5, v6
	s_delay_alu instid0(VALU_DEP_2) | instskip(NEXT) | instid1(VALU_DEP_1)
	v_rcp_f32_e32 v9, v7
	v_rcp_f32_e32 v10, v8
	s_waitcnt_depctr 0xfff
	v_fma_f32 v0, -v7, v9, 1.0
	s_delay_alu instid0(VALU_DEP_1)
	v_fmac_f32_e32 v9, v0, v9
	s_waitcnt vmcnt(0)
	v_mad_u64_u32 v[2:3], null, v1, s9, v[11:12]
	v_fma_f32 v1, -v8, v10, 1.0
	v_div_scale_f32 v11, s5, v6, v5, v6
	v_div_scale_f32 v3, vcc_lo, v4, v5, v4
	s_delay_alu instid0(VALU_DEP_3) | instskip(SKIP_1) | instid1(VALU_DEP_2)
	v_fmac_f32_e32 v10, v1, v10
	v_mul_lo_u32 v0, v2, 56
	v_mul_f32_e32 v13, v11, v10
	s_delay_alu instid0(VALU_DEP_1) | instskip(NEXT) | instid1(VALU_DEP_1)
	v_fma_f32 v2, -v8, v13, v11
	v_dual_mul_f32 v12, v3, v9 :: v_dual_fmac_f32 v13, v2, v10
	scratch_load_b32 v2, off, off offset:284 ; 4-byte Folded Reload
	v_fma_f32 v1, -v7, v12, v3
	s_delay_alu instid0(VALU_DEP_1) | instskip(SKIP_1) | instid1(VALU_DEP_1)
	v_fmac_f32_e32 v12, v1, v9
	v_ashrrev_i32_e32 v1, 31, v0
	v_or_b32_e32 v1, 0, v1
	s_waitcnt vmcnt(0)
	v_or_b32_e32 v0, v0, v2
	v_fma_f32 v2, -v7, v12, v3
	v_fma_f32 v3, -v8, v13, v11
	s_delay_alu instid0(VALU_DEP_3) | instskip(NEXT) | instid1(VALU_DEP_3)
	v_lshlrev_b64 v[0:1], 3, v[0:1]
	v_div_fmas_f32 v2, v2, v9, v12
	s_mov_b32 vcc_lo, s5
	s_delay_alu instid0(VALU_DEP_3) | instskip(NEXT) | instid1(VALU_DEP_3)
	v_div_fmas_f32 v7, v3, v10, v13
	v_add_co_u32 v0, vcc_lo, s41, v0
	s_delay_alu instid0(VALU_DEP_3) | instskip(NEXT) | instid1(VALU_DEP_3)
	v_div_fixup_f32 v3, v2, v5, v4
	v_div_fixup_f32 v4, v7, v5, v6
	v_add_co_ci_u32_e32 v1, vcc_lo, s59, v1, vcc_lo
	v_mov_b32_e32 v2, 0
	global_store_b64 v[0:1], v[3:4], off offset:384
.LBB19_415:                             ;   in Loop: Header=BB19_10 Depth=1
	s_or_b32 exec_lo, exec_lo, s6
	s_mov_b32 s5, -1
	s_mov_b32 s6, exec_lo
	v_cmpx_gt_i32_e32 0x47, v2
; %bb.416:                              ;   in Loop: Header=BB19_10 Depth=1
	v_cmp_eq_u32_e32 vcc_lo, 0, v2
	s_or_not1_b32 s5, vcc_lo, exec_lo
; %bb.417:                              ;   in Loop: Header=BB19_10 Depth=1
	s_or_b32 exec_lo, exec_lo, s6
	s_delay_alu instid0(SALU_CYCLE_1)
	s_and_b32 exec_lo, exec_lo, s5
	s_cbranch_execz .LBB19_425
; %bb.418:                              ;   in Loop: Header=BB19_10 Depth=1
	scratch_load_b32 v0, off, off offset:636 ; 4-byte Folded Reload
	s_waitcnt vmcnt(0)
	v_dual_mov_b32 v2, 0x47 :: v_dual_add_nc_u32 v1, s66, v0
	s_delay_alu instid0(VALU_DEP_1) | instskip(SKIP_1) | instid1(SALU_CYCLE_1)
	v_cmp_gt_i32_e32 vcc_lo, s8, v1
	s_and_b32 s4, vcc_lo, s4
	s_and_saveexec_b32 s5, s4
	s_cbranch_execz .LBB19_420
; %bb.419:                              ;   in Loop: Header=BB19_10 Depth=1
	s_clause 0x1
	scratch_load_b32 v0, off, off offset:692
	scratch_load_b32 v2, off, off offset:688
	s_waitcnt vmcnt(1)
	v_add_nc_u32_e32 v0, 0xc0, v0
	s_waitcnt vmcnt(0)
	v_add_nc_u32_e32 v6, 0, v2
	ds_load_2addr_stride64_b32 v[2:3], v0 offset1:15
	ds_load_2addr_b32 v[4:5], v6 offset0:56 offset1:57
	ds_load_b32 v0, v6 offset:4064
	scratch_load_b64 v[11:12], off, off offset:292 ; 8-byte Folded Reload
	s_waitcnt lgkmcnt(1)
	v_fma_mix_f32 v6, v4, v2, 0 op_sel_hi:[0,1,0]
	v_fma_mix_f32 v2, v4, v2, 0 op_sel:[0,1,0] op_sel_hi:[0,1,0]
	s_waitcnt lgkmcnt(0)
	s_delay_alu instid0(VALU_DEP_2) | instskip(NEXT) | instid1(VALU_DEP_2)
	v_fma_mix_f32 v4, v0, v3, v6 op_sel_hi:[0,1,0]
	v_fma_mix_f32 v6, v0, v3, v2 op_sel:[0,1,0] op_sel_hi:[0,1,0]
	s_delay_alu instid0(VALU_DEP_2) | instskip(NEXT) | instid1(VALU_DEP_2)
	v_div_scale_f32 v7, null, v5, v5, v4
	v_div_scale_f32 v8, null, v5, v5, v6
	s_delay_alu instid0(VALU_DEP_2) | instskip(NEXT) | instid1(VALU_DEP_1)
	v_rcp_f32_e32 v9, v7
	v_rcp_f32_e32 v10, v8
	s_waitcnt_depctr 0xfff
	v_fma_f32 v0, -v7, v9, 1.0
	s_delay_alu instid0(VALU_DEP_1)
	v_fmac_f32_e32 v9, v0, v9
	s_waitcnt vmcnt(0)
	v_mad_u64_u32 v[2:3], null, v1, s9, v[11:12]
	v_fma_f32 v1, -v8, v10, 1.0
	v_div_scale_f32 v11, s4, v6, v5, v6
	v_div_scale_f32 v3, vcc_lo, v4, v5, v4
	s_delay_alu instid0(VALU_DEP_3) | instskip(SKIP_1) | instid1(VALU_DEP_2)
	v_fmac_f32_e32 v10, v1, v10
	v_mul_lo_u32 v0, v2, 56
	v_mul_f32_e32 v13, v11, v10
	s_delay_alu instid0(VALU_DEP_1) | instskip(NEXT) | instid1(VALU_DEP_1)
	v_fma_f32 v2, -v8, v13, v11
	v_dual_mul_f32 v12, v3, v9 :: v_dual_fmac_f32 v13, v2, v10
	scratch_load_b32 v2, off, off offset:284 ; 4-byte Folded Reload
	v_fma_f32 v1, -v7, v12, v3
	s_delay_alu instid0(VALU_DEP_1) | instskip(SKIP_1) | instid1(VALU_DEP_1)
	v_fmac_f32_e32 v12, v1, v9
	v_ashrrev_i32_e32 v1, 31, v0
	v_or_b32_e32 v1, 0, v1
	s_waitcnt vmcnt(0)
	v_or_b32_e32 v0, v0, v2
	v_fma_f32 v2, -v7, v12, v3
	v_fma_f32 v3, -v8, v13, v11
	s_delay_alu instid0(VALU_DEP_3) | instskip(NEXT) | instid1(VALU_DEP_3)
	v_lshlrev_b64 v[0:1], 3, v[0:1]
	v_div_fmas_f32 v2, v2, v9, v12
	s_mov_b32 vcc_lo, s4
	s_delay_alu instid0(VALU_DEP_3) | instskip(NEXT) | instid1(VALU_DEP_3)
	v_div_fmas_f32 v7, v3, v10, v13
	v_add_co_u32 v0, vcc_lo, s41, v0
	s_delay_alu instid0(VALU_DEP_3) | instskip(NEXT) | instid1(VALU_DEP_3)
	v_div_fixup_f32 v3, v2, v5, v4
	v_div_fixup_f32 v4, v7, v5, v6
	v_add_co_ci_u32_e32 v1, vcc_lo, s59, v1, vcc_lo
	v_mov_b32_e32 v2, 0
	global_store_b64 v[0:1], v[3:4], off offset:384
.LBB19_420:                             ;   in Loop: Header=BB19_10 Depth=1
	s_or_b32 exec_lo, exec_lo, s5
	s_mov_b32 s4, -1
	s_mov_b32 s5, exec_lo
	v_cmpx_gt_i32_e32 0x47, v2
; %bb.421:                              ;   in Loop: Header=BB19_10 Depth=1
	v_cmp_eq_u32_e32 vcc_lo, 0, v2
	s_or_not1_b32 s4, vcc_lo, exec_lo
; %bb.422:                              ;   in Loop: Header=BB19_10 Depth=1
	s_or_b32 exec_lo, exec_lo, s5
	s_delay_alu instid0(SALU_CYCLE_1)
	s_and_b32 exec_lo, exec_lo, s4
	s_cbranch_execz .LBB19_425
; %bb.423:                              ;   in Loop: Header=BB19_10 Depth=1
	s_clause 0x1
	scratch_load_b32 v0, off, off offset:704
	scratch_load_b64 v[2:3], off, off offset:664
	s_waitcnt vmcnt(1)
	v_add_nc_u32_e32 v1, s66, v0
	s_waitcnt vmcnt(0)
	v_or_b32_e32 v0, s86, v2
	s_delay_alu instid0(VALU_DEP_2) | instskip(NEXT) | instid1(VALU_DEP_2)
	v_cmp_gt_i32_e32 vcc_lo, s8, v1
	v_cmp_gt_i32_e64 s4, s33, v0
	s_delay_alu instid0(VALU_DEP_1) | instskip(NEXT) | instid1(SALU_CYCLE_1)
	s_and_b32 s4, vcc_lo, s4
	s_and_b32 exec_lo, exec_lo, s4
	s_cbranch_execz .LBB19_425
; %bb.424:                              ;   in Loop: Header=BB19_10 Depth=1
	s_clause 0x1
	scratch_load_b32 v0, off, off offset:748
	scratch_load_b32 v2, off, off offset:744
	s_waitcnt vmcnt(1)
	v_add_nc_u32_e32 v0, 0xc0, v0
	s_waitcnt vmcnt(0)
	v_add_nc_u32_e32 v6, 0, v2
	ds_load_2addr_stride64_b32 v[2:3], v0 offset1:15
	ds_load_2addr_b32 v[4:5], v6 offset0:56 offset1:57
	ds_load_b32 v0, v6 offset:4064
	scratch_load_b64 v[11:12], off, off offset:664 ; 8-byte Folded Reload
	s_waitcnt lgkmcnt(1)
	v_fma_mix_f32 v6, v4, v2, 0 op_sel_hi:[0,1,0]
	v_fma_mix_f32 v2, v4, v2, 0 op_sel:[0,1,0] op_sel_hi:[0,1,0]
	s_waitcnt lgkmcnt(0)
	s_delay_alu instid0(VALU_DEP_2) | instskip(NEXT) | instid1(VALU_DEP_2)
	v_fma_mix_f32 v4, v0, v3, v6 op_sel_hi:[0,1,0]
	v_fma_mix_f32 v6, v0, v3, v2 op_sel:[0,1,0] op_sel_hi:[0,1,0]
	s_delay_alu instid0(VALU_DEP_2) | instskip(NEXT) | instid1(VALU_DEP_2)
	v_div_scale_f32 v7, null, v5, v5, v4
	v_div_scale_f32 v8, null, v5, v5, v6
	s_delay_alu instid0(VALU_DEP_2) | instskip(NEXT) | instid1(VALU_DEP_1)
	v_rcp_f32_e32 v9, v7
	v_rcp_f32_e32 v10, v8
	s_waitcnt_depctr 0xfff
	v_fma_f32 v0, -v7, v9, 1.0
	s_delay_alu instid0(VALU_DEP_1)
	v_fmac_f32_e32 v9, v0, v9
	s_waitcnt vmcnt(0)
	v_mad_u64_u32 v[2:3], null, v1, s9, v[11:12]
	v_fma_f32 v1, -v8, v10, 1.0
	v_div_scale_f32 v11, s4, v6, v5, v6
	v_div_scale_f32 v3, vcc_lo, v4, v5, v4
	s_delay_alu instid0(VALU_DEP_3) | instskip(SKIP_1) | instid1(VALU_DEP_2)
	v_fmac_f32_e32 v10, v1, v10
	v_mul_lo_u32 v0, v2, 56
	v_mul_f32_e32 v13, v11, v10
	s_delay_alu instid0(VALU_DEP_1) | instskip(NEXT) | instid1(VALU_DEP_1)
	v_fma_f32 v2, -v8, v13, v11
	v_dual_mul_f32 v12, v3, v9 :: v_dual_fmac_f32 v13, v2, v10
	scratch_load_b32 v2, off, off offset:284 ; 4-byte Folded Reload
	v_fma_f32 v1, -v7, v12, v3
	s_delay_alu instid0(VALU_DEP_1) | instskip(SKIP_1) | instid1(VALU_DEP_1)
	v_fmac_f32_e32 v12, v1, v9
	v_ashrrev_i32_e32 v1, 31, v0
	v_or_b32_e32 v1, 0, v1
	s_waitcnt vmcnt(0)
	v_or_b32_e32 v0, v0, v2
	v_fma_f32 v2, -v7, v12, v3
	v_fma_f32 v3, -v8, v13, v11
	s_delay_alu instid0(VALU_DEP_3) | instskip(NEXT) | instid1(VALU_DEP_3)
	v_lshlrev_b64 v[0:1], 3, v[0:1]
	v_div_fmas_f32 v2, v2, v9, v12
	s_mov_b32 vcc_lo, s4
	s_delay_alu instid0(VALU_DEP_3) | instskip(NEXT) | instid1(VALU_DEP_3)
	v_div_fmas_f32 v3, v3, v10, v13
	v_add_co_u32 v0, vcc_lo, s41, v0
	s_delay_alu instid0(VALU_DEP_3) | instskip(NEXT) | instid1(VALU_DEP_3)
	v_div_fixup_f32 v2, v2, v5, v4
	v_div_fixup_f32 v3, v3, v5, v6
	v_add_co_ci_u32_e32 v1, vcc_lo, s59, v1, vcc_lo
	global_store_b64 v[0:1], v[2:3], off offset:384
.LBB19_425:                             ;   in Loop: Header=BB19_10 Depth=1
	s_or_b32 exec_lo, exec_lo, s7
	s_waitcnt_vscnt null, 0x0
	s_barrier
.LBB19_426:                             ;   in Loop: Header=BB19_10 Depth=1
	s_add_i32 s4, s50, s72
	s_mov_b32 s102, 0
	s_abs_i32 s5, s4
	s_waitcnt_vscnt null, 0x0
	buffer_gl0_inv
	s_mul_hi_u32 s6, s5, s75
	s_delay_alu instid0(SALU_CYCLE_1) | instskip(NEXT) | instid1(SALU_CYCLE_1)
	s_mul_i32 s6, s6, s73
	s_sub_i32 s5, s5, s6
	s_ashr_i32 s6, s4, 31
	s_sub_i32 s7, s5, s73
	s_cmp_ge_u32 s5, s73
	s_cselect_b32 s5, s7, s5
	s_delay_alu instid0(SALU_CYCLE_1) | instskip(SKIP_2) | instid1(SALU_CYCLE_1)
	s_sub_i32 s7, s5, s73
	s_cmp_ge_u32 s5, s73
	s_cselect_b32 s5, s7, s5
	s_xor_b32 s5, s5, s6
	s_delay_alu instid0(SALU_CYCLE_1) | instskip(NEXT) | instid1(SALU_CYCLE_1)
	s_sub_i32 s5, s6, s5
	s_add_i32 s50, s4, s5
	s_delay_alu instid0(SALU_CYCLE_1) | instskip(NEXT) | instid1(SALU_CYCLE_1)
	s_sub_i32 s5, s54, s50
	s_min_i32 s92, s72, s5
	s_cmp_gt_i32 s54, s50
	s_cselect_b32 s4, -1, 0
	s_cmp_le_i32 s72, s5
	s_cselect_b32 s5, -1, 0
	s_delay_alu instid0(SALU_CYCLE_1) | instskip(NEXT) | instid1(SALU_CYCLE_1)
	s_and_b32 s5, s5, s4
	s_and_b32 vcc_lo, exec_lo, s5
	s_cbranch_vccz .LBB19_428
; %bb.427:                              ;   in Loop: Header=BB19_10 Depth=1
	v_mov_b32_e32 v96, v251
	s_branch .LBB19_10
.LBB19_428:
	s_clause 0x9
	scratch_load_b64 v[89:90], off, off offset:320
	scratch_load_b32 v90, off, off offset:756
	scratch_load_b32 v91, off, off offset:760
	;; [unrolled: 1-line block ×9, first 2 shown]
	v_mov_b32_e32 v96, v251
	s_and_not1_b32 vcc_lo, exec_lo, s4
	s_cbranch_vccnz .LBB19_8
.LBB19_429:
	s_abs_i32 s0, s71
	s_abs_i32 s3, s50
	v_cvt_f32_u32_e32 v0, s0
	s_sub_i32 s2, 0, s0
	s_delay_alu instid0(VALU_DEP_1) | instskip(SKIP_2) | instid1(VALU_DEP_1)
	v_rcp_iflag_f32_e32 v0, v0
	s_waitcnt_depctr 0xfff
	v_mul_f32_e32 v0, 0x4f7ffffe, v0
	v_cvt_u32_f32_e32 v0, v0
	s_delay_alu instid0(VALU_DEP_1) | instskip(NEXT) | instid1(VALU_DEP_1)
	v_readfirstlane_b32 s1, v0
	s_mul_i32 s2, s2, s1
	s_delay_alu instid0(SALU_CYCLE_1) | instskip(NEXT) | instid1(SALU_CYCLE_1)
	s_mul_hi_u32 s2, s1, s2
	s_add_i32 s1, s1, s2
	s_xor_b32 s2, s50, s71
	s_mul_hi_u32 s1, s3, s1
	s_ashr_i32 s2, s2, 31
	s_mul_i32 s4, s1, s0
	s_delay_alu instid0(SALU_CYCLE_1)
	s_sub_i32 s3, s3, s4
	s_add_i32 s4, s1, 1
	s_sub_i32 s5, s3, s0
	s_cmp_ge_u32 s3, s0
	s_cselect_b32 s1, s4, s1
	s_cselect_b32 s3, s5, s3
	s_add_i32 s4, s1, 1
	s_cmp_ge_u32 s3, s0
	s_cselect_b32 s0, s4, s1
	s_abs_i32 s3, s70
	s_xor_b32 s0, s0, s2
	v_cvt_f32_u32_e32 v0, s3
	s_sub_i32 s1, s0, s2
	s_sub_i32 s0, 0, s3
	s_mul_i32 s2, s1, s71
	s_delay_alu instid0(VALU_DEP_1) | instskip(SKIP_1) | instid1(SALU_CYCLE_1)
	v_rcp_iflag_f32_e32 v0, v0
	s_sub_i32 s5, s50, s2
	s_abs_i32 s2, s5
	s_waitcnt_depctr 0xfff
	v_mul_f32_e32 v0, 0x4f7ffffe, v0
	s_delay_alu instid0(VALU_DEP_1) | instskip(NEXT) | instid1(VALU_DEP_1)
	v_cvt_u32_f32_e32 v0, v0
	v_readfirstlane_b32 s4, v0
	s_delay_alu instid0(VALU_DEP_1) | instskip(NEXT) | instid1(SALU_CYCLE_1)
	s_mul_i32 s0, s0, s4
	s_mul_hi_u32 s0, s4, s0
	s_delay_alu instid0(SALU_CYCLE_1) | instskip(NEXT) | instid1(SALU_CYCLE_1)
	s_add_i32 s4, s4, s0
	s_mul_hi_u32 s0, s2, s4
	s_xor_b32 s4, s5, s70
	s_mul_i32 s6, s0, s3
	s_ashr_i32 s4, s4, 31
	s_sub_i32 s2, s2, s6
	s_add_i32 s6, s0, 1
	s_sub_i32 s7, s2, s3
	s_cmp_ge_u32 s2, s3
	s_cselect_b32 s0, s6, s0
	s_cselect_b32 s2, s7, s2
	s_add_i32 s6, s0, 1
	s_cmp_ge_u32 s2, s3
	s_cselect_b32 s0, s6, s0
	s_abs_i32 s3, s69
	s_xor_b32 s0, s0, s4
	v_cvt_f32_u32_e32 v0, s3
	s_sub_i32 s2, s0, s4
	s_sub_i32 s0, 0, s3
	s_mul_i32 s4, s2, s70
	s_delay_alu instid0(VALU_DEP_1) | instskip(SKIP_1) | instid1(SALU_CYCLE_1)
	v_rcp_iflag_f32_e32 v0, v0
	s_sub_i32 s4, s5, s4
	s_abs_i32 s5, s4
	s_waitcnt_depctr 0xfff
	v_mul_f32_e32 v0, 0x4f7ffffe, v0
	s_delay_alu instid0(VALU_DEP_1) | instskip(NEXT) | instid1(VALU_DEP_1)
	v_cvt_u32_f32_e32 v0, v0
	v_readfirstlane_b32 s6, v0
	s_delay_alu instid0(VALU_DEP_1) | instskip(NEXT) | instid1(SALU_CYCLE_1)
	s_mul_i32 s0, s0, s6
	s_mul_hi_u32 s0, s6, s0
	s_delay_alu instid0(SALU_CYCLE_1) | instskip(NEXT) | instid1(SALU_CYCLE_1)
	s_add_i32 s6, s6, s0
	s_mul_hi_u32 s0, s5, s6
	s_xor_b32 s6, s4, s69
	s_mul_i32 s7, s0, s3
	s_ashr_i32 s6, s6, 31
	s_sub_i32 s5, s5, s7
	s_add_i32 s7, s0, 1
	s_sub_i32 s9, s5, s3
	s_cmp_ge_u32 s5, s3
	s_cselect_b32 s0, s7, s0
	s_cselect_b32 s5, s9, s5
	s_add_i32 s7, s0, 1
	s_cmp_ge_u32 s5, s3
	s_cselect_b32 s0, s7, s0
	s_delay_alu instid0(SALU_CYCLE_1) | instskip(NEXT) | instid1(SALU_CYCLE_1)
	s_xor_b32 s0, s0, s6
	s_sub_i32 s0, s0, s6
	s_delay_alu instid0(SALU_CYCLE_1) | instskip(NEXT) | instid1(SALU_CYCLE_1)
	s_mul_i32 s3, s0, s69
	s_sub_i32 s3, s4, s3
	s_delay_alu instid0(SALU_CYCLE_1) | instskip(SKIP_4) | instid1(SALU_CYCLE_1)
	s_abs_i32 s4, s3
	s_ashr_i32 s3, s3, 31
	s_mul_hi_u32 s5, s4, s75
	s_xor_b32 s9, s3, s74
	s_mul_i32 s6, s5, s73
	s_sub_i32 s3, s4, s6
	s_add_i32 s4, s5, 1
	s_sub_i32 s6, s3, s73
	s_cmp_ge_u32 s3, s73
	s_cselect_b32 s4, s4, s5
	s_cselect_b32 s3, s6, s3
	s_add_i32 s5, s4, 1
	s_cmp_ge_u32 s3, s73
	s_cselect_b32 s4, s5, s4
	s_abs_i32 s3, s52
	s_xor_b32 s4, s4, s9
	v_cvt_f32_u32_e32 v0, s3
	s_sub_i32 s5, s4, s9
	s_cmp_eq_u64 s[26:27], 0
	s_delay_alu instid0(VALU_DEP_1) | instskip(SKIP_2) | instid1(VALU_DEP_1)
	v_rcp_iflag_f32_e32 v0, v0
	s_waitcnt_depctr 0xfff
	v_mul_f32_e32 v0, 0x4f7ffffe, v0
	v_cvt_u32_f32_e32 v0, v0
	s_delay_alu instid0(VALU_DEP_1)
	v_readfirstlane_b32 s7, v0
	v_mov_b32_e32 v0, s92
	s_cbranch_scc1 .LBB19_431
; %bb.430:
	s_mul_i32 s4, s1, s68
	v_mov_b32_e32 v0, 0
	s_add_i32 s24, s5, s4
	s_delay_alu instid0(SALU_CYCLE_1) | instskip(NEXT) | instid1(SALU_CYCLE_1)
	s_ashr_i32 s25, s24, 31
	s_lshl_b64 s[24:25], s[24:25], 2
	s_delay_alu instid0(SALU_CYCLE_1) | instskip(SKIP_4) | instid1(VALU_DEP_1)
	s_add_u32 s24, s26, s24
	s_addc_u32 s25, s27, s25
	global_load_b32 v0, v0, s[24:25]
	s_waitcnt vmcnt(0)
	v_ashrrev_i32_e32 v1, 31, v0
	v_lshrrev_b32_e32 v1, 27, v1
	s_delay_alu instid0(VALU_DEP_1) | instskip(NEXT) | instid1(VALU_DEP_1)
	v_add_nc_u32_e32 v0, v0, v1
	v_ashrrev_i32_e32 v0, 5, v0
	s_delay_alu instid0(VALU_DEP_1)
	v_min_i32_e32 v0, s92, v0
.LBB19_431:
	scratch_load_b32 v1, off, off offset:160 ; 4-byte Folded Reload
	s_mul_i32 s4, s2, s33
	s_lshl_b32 s11, s0, 3
	s_mul_i32 s0, s1, s49
	s_add_i32 s4, s11, s4
	s_ashr_i32 s6, s0, 31
	s_mul_i32 s4, s4, s48
	s_add_u32 s0, s16, s0
	s_addc_u32 s6, s17, s6
	s_ashr_i32 s9, s4, 31
	s_add_u32 s4, s0, s4
	s_addc_u32 s6, s6, s9
	s_lshl_b32 s9, s5, 1
	v_or_b32_e32 v2, s11, v96
	s_delay_alu instid0(VALU_DEP_1) | instskip(SKIP_3) | instid1(VALU_DEP_1)
	v_cmp_gt_i32_e32 vcc_lo, s33, v2
	s_xor_b32 s13, vcc_lo, -1
	s_waitcnt vmcnt(0)
	v_add_nc_u32_e32 v1, s9, v1
	v_cmp_le_i32_e64 s0, s8, v1
	s_delay_alu instid0(VALU_DEP_1) | instskip(NEXT) | instid1(SALU_CYCLE_1)
	s_or_b32 s0, s0, s13
	s_and_saveexec_b32 s16, s0
	s_delay_alu instid0(SALU_CYCLE_1)
	s_xor_b32 s0, exec_lo, s16
	s_cbranch_execz .LBB19_433
; %bb.432:
	scratch_load_b32 v1, off, off offset:156 ; 4-byte Folded Reload
	v_mov_b32_e32 v2, 0
	s_waitcnt vmcnt(0)
	v_mad_u32_u24 v1, v1, 60, v89
	s_delay_alu instid0(VALU_DEP_1)
	v_lshl_add_u32 v1, v1, 2, 0
	ds_store_b32 v1, v2
                                        ; implicit-def: $vgpr1
.LBB19_433:
	s_and_not1_saveexec_b32 s0, s0
	s_cbranch_execz .LBB19_435
; %bb.434:
	v_mul_lo_u32 v1, v1, s51
	v_mul_lo_u32 v2, v96, s55
	s_delay_alu instid0(VALU_DEP_1) | instskip(NEXT) | instid1(VALU_DEP_1)
	v_add3_u32 v1, v2, v89, v1
	v_ashrrev_i32_e32 v2, 31, v1
	s_delay_alu instid0(VALU_DEP_1) | instskip(NEXT) | instid1(VALU_DEP_1)
	v_lshlrev_b64 v[1:2], 3, v[1:2]
	v_add_co_u32 v1, vcc_lo, s4, v1
	s_delay_alu instid0(VALU_DEP_2) | instskip(SKIP_4) | instid1(VALU_DEP_1)
	v_add_co_ci_u32_e32 v2, vcc_lo, s6, v2, vcc_lo
	global_load_b64 v[1:2], v[1:2], off
	s_waitcnt vmcnt(0)
	v_cvt_f16_f32_e32 v1, v1
	v_cvt_f16_f32_e32 v2, v2
	v_pack_b32_f16 v1, v1, v2
	scratch_load_b32 v2, off, off offset:156 ; 4-byte Folded Reload
	v_pk_mul_f16 v1, v167, v1
	s_waitcnt vmcnt(0)
	v_mad_u32_u24 v2, v2, 60, v89
	s_delay_alu instid0(VALU_DEP_1)
	v_lshl_add_u32 v2, v2, 2, 0
	ds_store_b32 v2, v1
.LBB19_435:
	s_or_b32 exec_lo, exec_lo, s0
	v_lshrrev_b32_e32 v2, 3, v99
	v_and_b32_e32 v1, 7, v99
	s_delay_alu instid0(VALU_DEP_2) | instskip(NEXT) | instid1(VALU_DEP_2)
	v_add_nc_u32_e32 v2, s9, v2
	v_or_b32_e32 v3, s11, v1
	s_delay_alu instid0(VALU_DEP_2) | instskip(NEXT) | instid1(VALU_DEP_2)
	v_cmp_le_i32_e32 vcc_lo, s8, v2
	v_cmp_le_i32_e64 s0, s33, v3
	s_delay_alu instid0(VALU_DEP_1) | instskip(NEXT) | instid1(SALU_CYCLE_1)
	s_or_b32 s0, vcc_lo, s0
	s_and_saveexec_b32 s16, s0
	s_delay_alu instid0(SALU_CYCLE_1)
	s_xor_b32 s0, exec_lo, s16
	s_cbranch_execz .LBB19_437
; %bb.436:
	v_mad_u32_u24 v1, v99, 60, v89
	v_mov_b32_e32 v2, 0
                                        ; implicit-def: $vgpr99
	s_delay_alu instid0(VALU_DEP_2)
	v_lshl_add_u32 v1, v1, 2, 0
	ds_store_b32 v1, v2
                                        ; implicit-def: $vgpr2
                                        ; implicit-def: $vgpr1
.LBB19_437:
	s_and_not1_saveexec_b32 s0, s0
	s_cbranch_execz .LBB19_439
; %bb.438:
	v_mul_lo_u32 v2, v2, s51
	v_mul_lo_u32 v1, v1, s55
	s_delay_alu instid0(VALU_DEP_1) | instskip(NEXT) | instid1(VALU_DEP_1)
	v_add3_u32 v1, v1, v89, v2
	v_ashrrev_i32_e32 v2, 31, v1
	s_delay_alu instid0(VALU_DEP_1) | instskip(NEXT) | instid1(VALU_DEP_1)
	v_lshlrev_b64 v[1:2], 3, v[1:2]
	v_add_co_u32 v1, vcc_lo, s4, v1
	s_delay_alu instid0(VALU_DEP_2) | instskip(SKIP_4) | instid1(VALU_DEP_1)
	v_add_co_ci_u32_e32 v2, vcc_lo, s6, v2, vcc_lo
	global_load_b64 v[1:2], v[1:2], off
	s_waitcnt vmcnt(0)
	v_cvt_f16_f32_e32 v1, v1
	v_cvt_f16_f32_e32 v2, v2
	v_pack_b32_f16 v1, v1, v2
	v_mad_u32_u24 v2, v99, 60, v89
	s_delay_alu instid0(VALU_DEP_2) | instskip(NEXT) | instid1(VALU_DEP_2)
	v_pk_mul_f16 v1, v167, v1
	v_lshl_add_u32 v2, v2, 2, 0
	ds_store_b32 v2, v1
.LBB19_439:
	s_or_b32 exec_lo, exec_lo, s0
	v_lshrrev_b32_e32 v2, 3, v98
	v_and_b32_e32 v1, 7, v98
	s_delay_alu instid0(VALU_DEP_2) | instskip(NEXT) | instid1(VALU_DEP_2)
	v_add_nc_u32_e32 v2, s9, v2
	v_or_b32_e32 v3, s11, v1
	s_delay_alu instid0(VALU_DEP_2) | instskip(NEXT) | instid1(VALU_DEP_2)
	v_cmp_le_i32_e32 vcc_lo, s8, v2
	v_cmp_le_i32_e64 s0, s33, v3
	s_delay_alu instid0(VALU_DEP_1) | instskip(NEXT) | instid1(SALU_CYCLE_1)
	s_or_b32 s0, vcc_lo, s0
	s_and_saveexec_b32 s16, s0
	s_delay_alu instid0(SALU_CYCLE_1)
	s_xor_b32 s0, exec_lo, s16
	s_cbranch_execz .LBB19_441
; %bb.440:
	v_mad_u32_u24 v1, v98, 60, v89
	v_mov_b32_e32 v2, 0
                                        ; implicit-def: $vgpr98
	s_delay_alu instid0(VALU_DEP_2)
	v_lshl_add_u32 v1, v1, 2, 0
	ds_store_b32 v1, v2
                                        ; implicit-def: $vgpr2
                                        ; implicit-def: $vgpr1
.LBB19_441:
	s_and_not1_saveexec_b32 s0, s0
	s_cbranch_execz .LBB19_443
; %bb.442:
	v_mul_lo_u32 v2, v2, s51
	v_mul_lo_u32 v1, v1, s55
	s_delay_alu instid0(VALU_DEP_1) | instskip(NEXT) | instid1(VALU_DEP_1)
	v_add3_u32 v1, v1, v89, v2
	v_ashrrev_i32_e32 v2, 31, v1
	s_delay_alu instid0(VALU_DEP_1) | instskip(NEXT) | instid1(VALU_DEP_1)
	v_lshlrev_b64 v[1:2], 3, v[1:2]
	v_add_co_u32 v1, vcc_lo, s4, v1
	s_delay_alu instid0(VALU_DEP_2) | instskip(SKIP_4) | instid1(VALU_DEP_1)
	v_add_co_ci_u32_e32 v2, vcc_lo, s6, v2, vcc_lo
	global_load_b64 v[1:2], v[1:2], off
	s_waitcnt vmcnt(0)
	v_cvt_f16_f32_e32 v1, v1
	v_cvt_f16_f32_e32 v2, v2
	v_pack_b32_f16 v1, v1, v2
	v_mad_u32_u24 v2, v98, 60, v89
	s_delay_alu instid0(VALU_DEP_2) | instskip(NEXT) | instid1(VALU_DEP_2)
	v_pk_mul_f16 v1, v167, v1
	v_lshl_add_u32 v2, v2, 2, 0
	ds_store_b32 v2, v1
.LBB19_443:
	s_or_b32 exec_lo, exec_lo, s0
	v_lshrrev_b32_e32 v2, 3, v97
	v_and_b32_e32 v1, 7, v97
	s_delay_alu instid0(VALU_DEP_2) | instskip(NEXT) | instid1(VALU_DEP_2)
	v_add_nc_u32_e32 v2, s9, v2
	v_or_b32_e32 v3, s11, v1
	s_delay_alu instid0(VALU_DEP_2) | instskip(NEXT) | instid1(VALU_DEP_2)
	v_cmp_le_i32_e32 vcc_lo, s8, v2
	v_cmp_le_i32_e64 s0, s33, v3
	s_delay_alu instid0(VALU_DEP_1) | instskip(NEXT) | instid1(SALU_CYCLE_1)
	s_or_b32 s0, vcc_lo, s0
	s_and_saveexec_b32 s16, s0
	s_delay_alu instid0(SALU_CYCLE_1)
	s_xor_b32 s0, exec_lo, s16
	s_cbranch_execz .LBB19_445
; %bb.444:
	v_mad_u32_u24 v1, v97, 60, v89
	v_mov_b32_e32 v2, 0
                                        ; implicit-def: $vgpr97
	s_delay_alu instid0(VALU_DEP_2)
	v_lshl_add_u32 v1, v1, 2, 0
	ds_store_b32 v1, v2
                                        ; implicit-def: $vgpr2
                                        ; implicit-def: $vgpr1
.LBB19_445:
	s_and_not1_saveexec_b32 s0, s0
	s_cbranch_execz .LBB19_447
; %bb.446:
	v_mul_lo_u32 v2, v2, s51
	v_mul_lo_u32 v1, v1, s55
	s_delay_alu instid0(VALU_DEP_1) | instskip(NEXT) | instid1(VALU_DEP_1)
	v_add3_u32 v1, v1, v89, v2
	v_ashrrev_i32_e32 v2, 31, v1
	s_delay_alu instid0(VALU_DEP_1) | instskip(NEXT) | instid1(VALU_DEP_1)
	v_lshlrev_b64 v[1:2], 3, v[1:2]
	v_add_co_u32 v1, vcc_lo, s4, v1
	s_delay_alu instid0(VALU_DEP_2) | instskip(SKIP_4) | instid1(VALU_DEP_1)
	v_add_co_ci_u32_e32 v2, vcc_lo, s6, v2, vcc_lo
	global_load_b64 v[1:2], v[1:2], off
	s_waitcnt vmcnt(0)
	v_cvt_f16_f32_e32 v1, v1
	v_cvt_f16_f32_e32 v2, v2
	v_pack_b32_f16 v1, v1, v2
	v_mad_u32_u24 v2, v97, 60, v89
	s_delay_alu instid0(VALU_DEP_2) | instskip(NEXT) | instid1(VALU_DEP_2)
	v_pk_mul_f16 v1, v167, v1
	v_lshl_add_u32 v2, v2, 2, 0
	ds_store_b32 v2, v1
.LBB19_447:
	s_or_b32 exec_lo, exec_lo, s0
	v_lshrrev_b32_e32 v1, 3, v95
	s_delay_alu instid0(VALU_DEP_1) | instskip(NEXT) | instid1(VALU_DEP_1)
	v_add_nc_u32_e32 v1, s9, v1
	v_cmp_le_i32_e32 vcc_lo, s8, v1
	s_or_b32 s0, vcc_lo, s13
	s_delay_alu instid0(SALU_CYCLE_1) | instskip(NEXT) | instid1(SALU_CYCLE_1)
	s_and_saveexec_b32 s13, s0
	s_xor_b32 s0, exec_lo, s13
	s_cbranch_execz .LBB19_449
; %bb.448:
	v_mad_u32_u24 v1, v95, 60, v89
	v_mov_b32_e32 v2, 0
                                        ; implicit-def: $vgpr96
                                        ; implicit-def: $vgpr95
	s_delay_alu instid0(VALU_DEP_2)
	v_lshl_add_u32 v1, v1, 2, 0
	ds_store_b32 v1, v2
                                        ; implicit-def: $vgpr1
.LBB19_449:
	s_and_not1_saveexec_b32 s0, s0
	s_cbranch_execz .LBB19_451
; %bb.450:
	v_mul_lo_u32 v1, v1, s51
	v_mul_lo_u32 v2, v96, s55
	s_delay_alu instid0(VALU_DEP_1) | instskip(NEXT) | instid1(VALU_DEP_1)
	v_add3_u32 v1, v2, v89, v1
	v_ashrrev_i32_e32 v2, 31, v1
	s_delay_alu instid0(VALU_DEP_1) | instskip(NEXT) | instid1(VALU_DEP_1)
	v_lshlrev_b64 v[1:2], 3, v[1:2]
	v_add_co_u32 v1, vcc_lo, s4, v1
	s_delay_alu instid0(VALU_DEP_2) | instskip(SKIP_4) | instid1(VALU_DEP_1)
	v_add_co_ci_u32_e32 v2, vcc_lo, s6, v2, vcc_lo
	global_load_b64 v[1:2], v[1:2], off
	s_waitcnt vmcnt(0)
	v_cvt_f16_f32_e32 v1, v1
	v_cvt_f16_f32_e32 v2, v2
	v_pack_b32_f16 v1, v1, v2
	v_mad_u32_u24 v2, v95, 60, v89
	s_delay_alu instid0(VALU_DEP_2) | instskip(NEXT) | instid1(VALU_DEP_2)
	v_pk_mul_f16 v1, v167, v1
	v_lshl_add_u32 v2, v2, 2, 0
	ds_store_b32 v2, v1
.LBB19_451:
	s_or_b32 exec_lo, exec_lo, s0
	v_lshrrev_b32_e32 v2, 3, v94
	v_and_b32_e32 v1, 7, v94
	s_delay_alu instid0(VALU_DEP_2) | instskip(NEXT) | instid1(VALU_DEP_2)
	v_add_nc_u32_e32 v2, s9, v2
	v_or_b32_e32 v3, s11, v1
	s_delay_alu instid0(VALU_DEP_2) | instskip(NEXT) | instid1(VALU_DEP_2)
	v_cmp_le_i32_e32 vcc_lo, s8, v2
	v_cmp_le_i32_e64 s0, s33, v3
	s_delay_alu instid0(VALU_DEP_1) | instskip(NEXT) | instid1(SALU_CYCLE_1)
	s_or_b32 s0, vcc_lo, s0
	s_and_saveexec_b32 s13, s0
	s_delay_alu instid0(SALU_CYCLE_1)
	s_xor_b32 s0, exec_lo, s13
	s_cbranch_execz .LBB19_453
; %bb.452:
	v_mad_u32_u24 v1, v94, 60, v89
	v_mov_b32_e32 v2, 0
                                        ; implicit-def: $vgpr94
	s_delay_alu instid0(VALU_DEP_2)
	v_lshl_add_u32 v1, v1, 2, 0
	ds_store_b32 v1, v2
                                        ; implicit-def: $vgpr2
                                        ; implicit-def: $vgpr1
.LBB19_453:
	s_and_not1_saveexec_b32 s0, s0
	s_cbranch_execz .LBB19_455
; %bb.454:
	v_mul_lo_u32 v2, v2, s51
	v_mul_lo_u32 v1, v1, s55
	s_delay_alu instid0(VALU_DEP_1) | instskip(NEXT) | instid1(VALU_DEP_1)
	v_add3_u32 v1, v1, v89, v2
	v_ashrrev_i32_e32 v2, 31, v1
	s_delay_alu instid0(VALU_DEP_1) | instskip(NEXT) | instid1(VALU_DEP_1)
	v_lshlrev_b64 v[1:2], 3, v[1:2]
	v_add_co_u32 v1, vcc_lo, s4, v1
	s_delay_alu instid0(VALU_DEP_2) | instskip(SKIP_4) | instid1(VALU_DEP_1)
	v_add_co_ci_u32_e32 v2, vcc_lo, s6, v2, vcc_lo
	global_load_b64 v[1:2], v[1:2], off
	s_waitcnt vmcnt(0)
	v_cvt_f16_f32_e32 v1, v1
	v_cvt_f16_f32_e32 v2, v2
	v_pack_b32_f16 v1, v1, v2
	v_mad_u32_u24 v2, v94, 60, v89
	s_delay_alu instid0(VALU_DEP_2) | instskip(NEXT) | instid1(VALU_DEP_2)
	v_pk_mul_f16 v1, v167, v1
	v_lshl_add_u32 v2, v2, 2, 0
	ds_store_b32 v2, v1
.LBB19_455:
	s_or_b32 exec_lo, exec_lo, s0
	v_lshrrev_b32_e32 v2, 3, v93
	v_and_b32_e32 v1, 7, v93
	s_delay_alu instid0(VALU_DEP_2) | instskip(NEXT) | instid1(VALU_DEP_2)
	v_add_nc_u32_e32 v2, s9, v2
	v_or_b32_e32 v3, s11, v1
	s_delay_alu instid0(VALU_DEP_2) | instskip(NEXT) | instid1(VALU_DEP_2)
	v_cmp_le_i32_e32 vcc_lo, s8, v2
	v_cmp_le_i32_e64 s0, s33, v3
	s_delay_alu instid0(VALU_DEP_1) | instskip(NEXT) | instid1(SALU_CYCLE_1)
	s_or_b32 s0, vcc_lo, s0
	s_and_saveexec_b32 s13, s0
	s_delay_alu instid0(SALU_CYCLE_1)
	s_xor_b32 s0, exec_lo, s13
	s_cbranch_execz .LBB19_457
; %bb.456:
	v_mad_u32_u24 v1, v93, 60, v89
	v_mov_b32_e32 v2, 0
                                        ; implicit-def: $vgpr93
	s_delay_alu instid0(VALU_DEP_2)
	v_lshl_add_u32 v1, v1, 2, 0
	ds_store_b32 v1, v2
                                        ; implicit-def: $vgpr2
                                        ; implicit-def: $vgpr1
.LBB19_457:
	s_and_not1_saveexec_b32 s0, s0
	s_cbranch_execz .LBB19_459
; %bb.458:
	v_mul_lo_u32 v2, v2, s51
	v_mul_lo_u32 v1, v1, s55
	s_delay_alu instid0(VALU_DEP_1) | instskip(NEXT) | instid1(VALU_DEP_1)
	v_add3_u32 v1, v1, v89, v2
	v_ashrrev_i32_e32 v2, 31, v1
	s_delay_alu instid0(VALU_DEP_1) | instskip(NEXT) | instid1(VALU_DEP_1)
	v_lshlrev_b64 v[1:2], 3, v[1:2]
	v_add_co_u32 v1, vcc_lo, s4, v1
	s_delay_alu instid0(VALU_DEP_2) | instskip(SKIP_4) | instid1(VALU_DEP_1)
	v_add_co_ci_u32_e32 v2, vcc_lo, s6, v2, vcc_lo
	global_load_b64 v[1:2], v[1:2], off
	s_waitcnt vmcnt(0)
	v_cvt_f16_f32_e32 v1, v1
	v_cvt_f16_f32_e32 v2, v2
	v_pack_b32_f16 v1, v1, v2
	v_mad_u32_u24 v2, v93, 60, v89
	s_delay_alu instid0(VALU_DEP_2) | instskip(NEXT) | instid1(VALU_DEP_2)
	v_pk_mul_f16 v1, v167, v1
	v_lshl_add_u32 v2, v2, 2, 0
	ds_store_b32 v2, v1
.LBB19_459:
	s_or_b32 exec_lo, exec_lo, s0
	v_lshrrev_b32_e32 v2, 3, v92
	v_and_b32_e32 v1, 7, v92
	s_delay_alu instid0(VALU_DEP_2) | instskip(NEXT) | instid1(VALU_DEP_2)
	v_add_nc_u32_e32 v2, s9, v2
	v_or_b32_e32 v3, s11, v1
	s_delay_alu instid0(VALU_DEP_2) | instskip(NEXT) | instid1(VALU_DEP_2)
	v_cmp_le_i32_e32 vcc_lo, s8, v2
	v_cmp_le_i32_e64 s0, s33, v3
	s_delay_alu instid0(VALU_DEP_1) | instskip(NEXT) | instid1(SALU_CYCLE_1)
	s_or_b32 s0, vcc_lo, s0
	s_and_saveexec_b32 s13, s0
	s_delay_alu instid0(SALU_CYCLE_1)
	s_xor_b32 s0, exec_lo, s13
	s_cbranch_execz .LBB19_461
; %bb.460:
	v_mad_u32_u24 v1, v92, 60, v89
	v_mov_b32_e32 v2, 0
                                        ; implicit-def: $vgpr92
	s_delay_alu instid0(VALU_DEP_2)
	v_lshl_add_u32 v1, v1, 2, 0
	ds_store_b32 v1, v2
                                        ; implicit-def: $vgpr2
                                        ; implicit-def: $vgpr1
.LBB19_461:
	s_and_not1_saveexec_b32 s0, s0
	s_cbranch_execz .LBB19_463
; %bb.462:
	v_mul_lo_u32 v2, v2, s51
	v_mul_lo_u32 v1, v1, s55
	s_delay_alu instid0(VALU_DEP_1) | instskip(NEXT) | instid1(VALU_DEP_1)
	v_add3_u32 v1, v1, v89, v2
	v_ashrrev_i32_e32 v2, 31, v1
	s_delay_alu instid0(VALU_DEP_1) | instskip(NEXT) | instid1(VALU_DEP_1)
	v_lshlrev_b64 v[1:2], 3, v[1:2]
	v_add_co_u32 v1, vcc_lo, s4, v1
	s_delay_alu instid0(VALU_DEP_2) | instskip(SKIP_4) | instid1(VALU_DEP_1)
	v_add_co_ci_u32_e32 v2, vcc_lo, s6, v2, vcc_lo
	global_load_b64 v[1:2], v[1:2], off
	s_waitcnt vmcnt(0)
	v_cvt_f16_f32_e32 v1, v1
	v_cvt_f16_f32_e32 v2, v2
	v_pack_b32_f16 v1, v1, v2
	v_mad_u32_u24 v2, v92, 60, v89
	s_delay_alu instid0(VALU_DEP_2) | instskip(NEXT) | instid1(VALU_DEP_2)
	v_pk_mul_f16 v1, v167, v1
	v_lshl_add_u32 v2, v2, 2, 0
	ds_store_b32 v2, v1
.LBB19_463:
	s_or_b32 exec_lo, exec_lo, s0
	scratch_load_b32 v1, off, off offset:156 ; 4-byte Folded Reload
	v_lshrrev_b32_e32 v158, 4, v89
	v_and_b32_e32 v155, 15, v89
	s_waitcnt vmcnt(0)
	v_lshlrev_b32_e32 v1, 1, v1
	s_delay_alu instid0(VALU_DEP_1) | instskip(NEXT) | instid1(VALU_DEP_1)
	v_add_nc_u32_e32 v139, v158, v1
	v_and_b32_e32 v2, 7, v139
	v_lshrrev_b32_e32 v1, 3, v139
	s_delay_alu instid0(VALU_DEP_2) | instskip(NEXT) | instid1(VALU_DEP_2)
	v_or_b32_e32 v4, s11, v2
	v_add_nc_u32_e32 v3, s9, v1
	s_delay_alu instid0(VALU_DEP_2) | instskip(NEXT) | instid1(VALU_DEP_2)
	v_cmp_gt_i32_e32 vcc_lo, s33, v4
	v_cmp_le_i32_e64 s0, s8, v3
	s_xor_b32 s13, vcc_lo, -1
	s_delay_alu instid0(VALU_DEP_1) | instid1(SALU_CYCLE_1)
	s_or_b32 s0, s0, s13
	s_delay_alu instid0(SALU_CYCLE_1) | instskip(NEXT) | instid1(SALU_CYCLE_1)
	s_and_saveexec_b32 s16, s0
	s_xor_b32 s0, exec_lo, s16
	s_cbranch_execz .LBB19_465
; %bb.464:
	v_mad_u32_u24 v1, v139, 60, v155
	v_mov_b32_e32 v3, 0
	s_delay_alu instid0(VALU_DEP_2)
	v_lshl_add_u32 v1, v1, 2, 0
	ds_store_b32 v1, v3 offset:128
                                        ; implicit-def: $vgpr3
.LBB19_465:
	s_or_saveexec_b32 s0, s0
	v_or_b32_e32 v1, 32, v155
	s_xor_b32 exec_lo, exec_lo, s0
	s_cbranch_execz .LBB19_467
; %bb.466:
	v_mul_lo_u32 v3, v3, s51
	v_mul_lo_u32 v4, v2, s55
	s_delay_alu instid0(VALU_DEP_1) | instskip(NEXT) | instid1(VALU_DEP_1)
	v_add3_u32 v3, v4, v1, v3
	v_ashrrev_i32_e32 v4, 31, v3
	s_delay_alu instid0(VALU_DEP_1) | instskip(NEXT) | instid1(VALU_DEP_1)
	v_lshlrev_b64 v[3:4], 3, v[3:4]
	v_add_co_u32 v3, vcc_lo, s4, v3
	s_delay_alu instid0(VALU_DEP_2) | instskip(SKIP_4) | instid1(VALU_DEP_1)
	v_add_co_ci_u32_e32 v4, vcc_lo, s6, v4, vcc_lo
	global_load_b64 v[3:4], v[3:4], off
	s_waitcnt vmcnt(0)
	v_cvt_f16_f32_e32 v3, v3
	v_cvt_f16_f32_e32 v4, v4
	v_pack_b32_f16 v3, v3, v4
	v_mad_u32_u24 v4, v139, 60, v155
	s_delay_alu instid0(VALU_DEP_2) | instskip(NEXT) | instid1(VALU_DEP_2)
	v_pk_mul_f16 v3, v167, v3
	v_lshl_add_u32 v4, v4, 2, 0
	ds_store_b32 v4, v3 offset:128
.LBB19_467:
	s_or_b32 exec_lo, exec_lo, s0
	v_add_nc_u32_e32 v3, 4, v139
	s_delay_alu instid0(VALU_DEP_1) | instskip(SKIP_1) | instid1(VALU_DEP_2)
	v_lshrrev_b32_e32 v5, 3, v3
	v_and_b32_e32 v4, 7, v3
	v_add_nc_u32_e32 v5, s9, v5
	s_delay_alu instid0(VALU_DEP_2) | instskip(NEXT) | instid1(VALU_DEP_2)
	v_or_b32_e32 v6, s11, v4
	v_cmp_le_i32_e32 vcc_lo, s8, v5
	s_delay_alu instid0(VALU_DEP_2) | instskip(NEXT) | instid1(VALU_DEP_1)
	v_cmp_le_i32_e64 s0, s33, v6
	s_or_b32 s0, vcc_lo, s0
	s_delay_alu instid0(SALU_CYCLE_1) | instskip(NEXT) | instid1(SALU_CYCLE_1)
	s_and_saveexec_b32 s16, s0
	s_xor_b32 s0, exec_lo, s16
	s_cbranch_execz .LBB19_469
; %bb.468:
	v_mad_u32_u24 v3, v3, 60, v155
	v_mov_b32_e32 v4, 0
                                        ; implicit-def: $vgpr5
	s_delay_alu instid0(VALU_DEP_2)
	v_lshl_add_u32 v3, v3, 2, 0
	ds_store_b32 v3, v4 offset:128
                                        ; implicit-def: $vgpr4
                                        ; implicit-def: $vgpr3
.LBB19_469:
	s_and_not1_saveexec_b32 s0, s0
	s_cbranch_execz .LBB19_471
; %bb.470:
	v_mul_lo_u32 v5, v5, s51
	v_mul_lo_u32 v4, v4, s55
	v_mad_u32_u24 v3, v3, 60, v155
	s_delay_alu instid0(VALU_DEP_1) | instskip(NEXT) | instid1(VALU_DEP_3)
	v_lshl_add_u32 v3, v3, 2, 0
	v_add3_u32 v4, v4, v1, v5
	s_delay_alu instid0(VALU_DEP_1) | instskip(NEXT) | instid1(VALU_DEP_1)
	v_ashrrev_i32_e32 v5, 31, v4
	v_lshlrev_b64 v[4:5], 3, v[4:5]
	s_delay_alu instid0(VALU_DEP_1) | instskip(NEXT) | instid1(VALU_DEP_2)
	v_add_co_u32 v4, vcc_lo, s4, v4
	v_add_co_ci_u32_e32 v5, vcc_lo, s6, v5, vcc_lo
	global_load_b64 v[4:5], v[4:5], off
	s_waitcnt vmcnt(0)
	v_cvt_f16_f32_e32 v4, v4
	v_cvt_f16_f32_e32 v5, v5
	s_delay_alu instid0(VALU_DEP_1) | instskip(NEXT) | instid1(VALU_DEP_1)
	v_pack_b32_f16 v4, v4, v5
	v_pk_mul_f16 v4, v167, v4
	ds_store_b32 v3, v4 offset:128
.LBB19_471:
	s_or_b32 exec_lo, exec_lo, s0
	v_add_nc_u32_e32 v3, 8, v139
	s_delay_alu instid0(VALU_DEP_1) | instskip(NEXT) | instid1(VALU_DEP_1)
	v_lshrrev_b32_e32 v4, 3, v3
	v_add_nc_u32_e32 v4, s9, v4
	s_delay_alu instid0(VALU_DEP_1) | instskip(SKIP_1) | instid1(SALU_CYCLE_1)
	v_cmp_le_i32_e32 vcc_lo, s8, v4
	s_or_b32 s0, vcc_lo, s13
	s_and_saveexec_b32 s13, s0
	s_delay_alu instid0(SALU_CYCLE_1)
	s_xor_b32 s0, exec_lo, s13
	s_cbranch_execz .LBB19_473
; %bb.472:
	v_mad_u32_u24 v2, v3, 60, v155
	v_mov_b32_e32 v3, 0
                                        ; implicit-def: $vgpr4
	s_delay_alu instid0(VALU_DEP_2)
	v_lshl_add_u32 v2, v2, 2, 0
	ds_store_b32 v2, v3 offset:128
                                        ; implicit-def: $vgpr2
                                        ; implicit-def: $vgpr3
.LBB19_473:
	s_and_not1_saveexec_b32 s0, s0
	s_cbranch_execz .LBB19_475
; %bb.474:
	v_mul_lo_u32 v4, v4, s51
	v_mul_lo_u32 v2, v2, s55
	v_mad_u32_u24 v3, v3, 60, v155
	s_delay_alu instid0(VALU_DEP_1) | instskip(NEXT) | instid1(VALU_DEP_3)
	v_lshl_add_u32 v3, v3, 2, 0
	v_add3_u32 v4, v2, v1, v4
	s_delay_alu instid0(VALU_DEP_1) | instskip(NEXT) | instid1(VALU_DEP_1)
	v_ashrrev_i32_e32 v5, 31, v4
	v_lshlrev_b64 v[4:5], 3, v[4:5]
	s_delay_alu instid0(VALU_DEP_1) | instskip(NEXT) | instid1(VALU_DEP_2)
	v_add_co_u32 v4, vcc_lo, s4, v4
	v_add_co_ci_u32_e32 v5, vcc_lo, s6, v5, vcc_lo
	global_load_b64 v[4:5], v[4:5], off
	s_waitcnt vmcnt(0)
	v_cvt_f16_f32_e32 v2, v4
	v_cvt_f16_f32_e32 v4, v5
	s_delay_alu instid0(VALU_DEP_1) | instskip(NEXT) | instid1(VALU_DEP_1)
	v_pack_b32_f16 v2, v2, v4
	v_pk_mul_f16 v2, v167, v2
	ds_store_b32 v3, v2 offset:128
.LBB19_475:
	s_or_b32 exec_lo, exec_lo, s0
	v_add_nc_u32_e32 v2, 12, v139
	s_sub_i32 s13, 0, s3
	s_delay_alu instid0(VALU_DEP_1) | instskip(SKIP_1) | instid1(VALU_DEP_2)
	v_lshrrev_b32_e32 v4, 3, v2
	v_and_b32_e32 v3, 7, v2
	v_add_nc_u32_e32 v4, s9, v4
	s_delay_alu instid0(VALU_DEP_2) | instskip(NEXT) | instid1(VALU_DEP_2)
	v_or_b32_e32 v5, s11, v3
	v_cmp_le_i32_e32 vcc_lo, s8, v4
	s_delay_alu instid0(VALU_DEP_2) | instskip(NEXT) | instid1(VALU_DEP_1)
	v_cmp_le_i32_e64 s0, s33, v5
	s_or_b32 s0, vcc_lo, s0
	s_delay_alu instid0(SALU_CYCLE_1) | instskip(NEXT) | instid1(SALU_CYCLE_1)
	s_and_saveexec_b32 s16, s0
	s_xor_b32 s0, exec_lo, s16
	s_cbranch_execz .LBB19_477
; %bb.476:
	v_mad_u32_u24 v1, v2, 60, v155
	v_mov_b32_e32 v2, 0
                                        ; implicit-def: $vgpr4
                                        ; implicit-def: $vgpr3
	s_delay_alu instid0(VALU_DEP_2)
	v_lshl_add_u32 v1, v1, 2, 0
	ds_store_b32 v1, v2 offset:128
                                        ; implicit-def: $vgpr1
                                        ; implicit-def: $vgpr2
.LBB19_477:
	s_or_saveexec_b32 s0, s0
	s_mul_i32 s13, s13, s7
	s_xor_b32 exec_lo, exec_lo, s0
	s_cbranch_execz .LBB19_479
; %bb.478:
	v_mul_lo_u32 v4, v4, s51
	v_mul_lo_u32 v3, v3, s55
	v_mad_u32_u24 v2, v2, 60, v155
	s_delay_alu instid0(VALU_DEP_1) | instskip(NEXT) | instid1(VALU_DEP_3)
	v_lshl_add_u32 v2, v2, 2, 0
	v_add3_u32 v3, v3, v1, v4
	s_delay_alu instid0(VALU_DEP_1) | instskip(NEXT) | instid1(VALU_DEP_1)
	v_ashrrev_i32_e32 v4, 31, v3
	v_lshlrev_b64 v[3:4], 3, v[3:4]
	s_delay_alu instid0(VALU_DEP_1) | instskip(NEXT) | instid1(VALU_DEP_2)
	v_add_co_u32 v3, vcc_lo, s4, v3
	v_add_co_ci_u32_e32 v4, vcc_lo, s6, v4, vcc_lo
	global_load_b64 v[3:4], v[3:4], off
	s_waitcnt vmcnt(0)
	v_cvt_f16_f32_e32 v1, v3
	v_cvt_f16_f32_e32 v3, v4
	s_delay_alu instid0(VALU_DEP_1) | instskip(NEXT) | instid1(VALU_DEP_1)
	v_pack_b32_f16 v1, v1, v3
	v_pk_mul_f16 v1, v167, v1
	ds_store_b32 v2, v1 offset:128
.LBB19_479:
	s_or_b32 exec_lo, exec_lo, s0
	scratch_load_b32 v1, off, off offset:156 ; 4-byte Folded Reload
	v_lshrrev_b32_e32 v2, 3, v89
	v_and_b32_e32 v6, 7, v89
	s_mul_hi_u32 s16, s7, s13
	scratch_store_b32 off, v2, off offset:16 ; 4-byte Folded Spill
	s_waitcnt vmcnt(0)
	v_lshl_add_u32 v1, v1, 2, v2
	s_delay_alu instid0(VALU_DEP_1) | instskip(SKIP_1) | instid1(VALU_DEP_2)
	v_and_b32_e32 v2, 7, v1
	v_lshrrev_b32_e32 v3, 3, v1
	v_or_b32_e32 v5, s11, v2
	s_delay_alu instid0(VALU_DEP_2) | instskip(NEXT) | instid1(VALU_DEP_2)
	v_add_nc_u32_e32 v4, s9, v3
	v_cmp_gt_i32_e32 vcc_lo, s33, v5
	s_delay_alu instid0(VALU_DEP_2)
	v_cmp_le_i32_e64 s0, s8, v4
	s_xor_b32 s11, vcc_lo, -1
	s_delay_alu instid0(VALU_DEP_1) | instid1(SALU_CYCLE_1)
	s_or_b32 s0, s0, s11
	s_delay_alu instid0(SALU_CYCLE_1) | instskip(NEXT) | instid1(SALU_CYCLE_1)
	s_and_saveexec_b32 s13, s0
	s_xor_b32 s0, exec_lo, s13
	s_cbranch_execz .LBB19_481
; %bb.480:
	v_mad_u32_u24 v3, v1, 60, v6
	v_mov_b32_e32 v4, 0
	s_delay_alu instid0(VALU_DEP_2)
	v_lshl_add_u32 v3, v3, 2, 0
	ds_store_b32 v3, v4 offset:192
                                        ; implicit-def: $vgpr4
.LBB19_481:
	s_or_saveexec_b32 s13, s0
	v_or_b32_e32 v3, 48, v6
	s_abs_i32 s0, s1
	s_add_i32 s7, s7, s16
	s_xor_b32 exec_lo, exec_lo, s13
	s_cbranch_execz .LBB19_483
; %bb.482:
	v_mul_lo_u32 v4, v4, s51
	v_mul_lo_u32 v5, v2, s55
	s_delay_alu instid0(VALU_DEP_1) | instskip(NEXT) | instid1(VALU_DEP_1)
	v_add3_u32 v4, v5, v3, v4
	v_ashrrev_i32_e32 v5, 31, v4
	s_delay_alu instid0(VALU_DEP_1) | instskip(NEXT) | instid1(VALU_DEP_1)
	v_lshlrev_b64 v[4:5], 3, v[4:5]
	v_add_co_u32 v4, vcc_lo, s4, v4
	s_delay_alu instid0(VALU_DEP_2) | instskip(SKIP_4) | instid1(VALU_DEP_1)
	v_add_co_ci_u32_e32 v5, vcc_lo, s6, v5, vcc_lo
	global_load_b64 v[4:5], v[4:5], off
	s_waitcnt vmcnt(0)
	v_cvt_f16_f32_e32 v4, v4
	v_cvt_f16_f32_e32 v5, v5
	v_pack_b32_f16 v4, v4, v5
	v_mad_u32_u24 v5, v1, 60, v6
	s_delay_alu instid0(VALU_DEP_2) | instskip(NEXT) | instid1(VALU_DEP_2)
	v_pk_mul_f16 v4, v167, v4
	v_lshl_add_u32 v5, v5, 2, 0
	ds_store_b32 v5, v4 offset:192
.LBB19_483:
	s_or_b32 exec_lo, exec_lo, s13
	v_add_nc_u32_e32 v4, 8, v1
	s_delay_alu instid0(VALU_DEP_1) | instskip(NEXT) | instid1(VALU_DEP_1)
	v_lshrrev_b32_e32 v5, 3, v4
	v_add_nc_u32_e32 v5, s9, v5
	s_mul_hi_u32 s9, s0, s7
	s_delay_alu instid0(VALU_DEP_1) | instskip(SKIP_1) | instid1(SALU_CYCLE_1)
	v_cmp_le_i32_e32 vcc_lo, s8, v5
	s_or_b32 s7, vcc_lo, s11
	s_and_saveexec_b32 s11, s7
	s_delay_alu instid0(SALU_CYCLE_1)
	s_xor_b32 s7, exec_lo, s11
	s_cbranch_execz .LBB19_485
; %bb.484:
	v_mad_u32_u24 v2, v4, 60, v6
	v_mov_b32_e32 v3, 0
                                        ; implicit-def: $vgpr5
                                        ; implicit-def: $vgpr167
                                        ; implicit-def: $vgpr4
	s_delay_alu instid0(VALU_DEP_2)
	v_lshl_add_u32 v2, v2, 2, 0
	ds_store_b32 v2, v3 offset:192
                                        ; implicit-def: $vgpr2
                                        ; implicit-def: $vgpr3
.LBB19_485:
	s_or_saveexec_b32 s11, s7
	s_ashr_i32 s7, s1, 31
	s_xor_b32 exec_lo, exec_lo, s11
	s_cbranch_execz .LBB19_487
; %bb.486:
	v_mul_lo_u32 v5, v5, s51
	v_mul_lo_u32 v2, v2, s55
	s_delay_alu instid0(VALU_DEP_1) | instskip(NEXT) | instid1(VALU_DEP_1)
	v_add3_u32 v2, v2, v3, v5
	v_ashrrev_i32_e32 v3, 31, v2
	s_delay_alu instid0(VALU_DEP_1) | instskip(NEXT) | instid1(VALU_DEP_1)
	v_lshlrev_b64 v[2:3], 3, v[2:3]
	v_add_co_u32 v2, vcc_lo, s4, v2
	s_delay_alu instid0(VALU_DEP_2) | instskip(SKIP_4) | instid1(VALU_DEP_1)
	v_add_co_ci_u32_e32 v3, vcc_lo, s6, v3, vcc_lo
	global_load_b64 v[2:3], v[2:3], off
	s_waitcnt vmcnt(0)
	v_cvt_f16_f32_e32 v2, v2
	v_cvt_f16_f32_e32 v3, v3
	v_pack_b32_f16 v2, v2, v3
	v_mad_u32_u24 v3, v4, 60, v6
	s_delay_alu instid0(VALU_DEP_2) | instskip(NEXT) | instid1(VALU_DEP_2)
	v_pk_mul_f16 v2, v167, v2
	v_lshl_add_u32 v3, v3, 2, 0
	ds_store_b32 v3, v2 offset:192
.LBB19_487:
	s_or_b32 exec_lo, exec_lo, s11
	s_mul_i32 s4, s1, s37
	s_mul_hi_u32 s6, s1, s36
	v_dual_mov_b32 v7, 0 :: v_dual_and_b32 v2, 0x1ff0, v91
	s_add_i32 s4, s6, s4
	s_mul_i32 s6, s7, s36
	s_mul_i32 s11, s1, s36
	s_add_i32 s4, s4, s6
	s_add_u32 s6, s18, s11
	s_mul_i32 s11, s2, s47
	v_mul_u32_u24_e32 v3, 0xf0, v2
	v_mul_u32_u24_e32 v44, 0xf0, v155
	s_addc_u32 s4, s19, s4
	s_ashr_i32 s16, s11, 31
	s_mul_i32 s9, s9, s3
	s_add_u32 s13, s6, s11
	s_addc_u32 s16, s4, s16
	s_sub_i32 s0, s0, s9
	v_add3_u32 v3, 0, v3, v44
	s_sub_i32 s4, s0, s3
	s_cmp_ge_u32 s0, s3
	scratch_store_b32 off, v6, off offset:8 ; 4-byte Folded Spill
	s_cselect_b32 s0, s4, s0
	s_waitcnt lgkmcnt(0)
	s_waitcnt_vscnt null, 0x0
	s_barrier
	buffer_gl0_inv
	ds_load_b128 v[32:35], v3
	ds_load_b128 v[36:39], v3 offset:16
	ds_load_b128 v[24:27], v3 offset:32
	;; [unrolled: 1-line block ×9, first 2 shown]
	s_sub_i32 s4, s0, s3
	s_cmp_ge_u32 s0, s3
	ds_load_b128 v[80:83], v3 offset:160
	ds_load_b128 v[84:87], v3 offset:176
	;; [unrolled: 1-line block ×4, first 2 shown]
	s_cselect_b32 s0, s4, s0
	v_mul_lo_u32 v121, s12, v1
	s_xor_b32 s0, s0, s7
	v_mul_lo_u32 v141, s10, v1
	s_sub_i32 s0, s0, s7
	v_add_nc_u32_e32 v167, -1, v0
	s_mul_i32 s3, s0, s45
	s_mul_hi_u32 s4, s0, s44
	s_ashr_i32 s6, s0, 31
	s_add_i32 s3, s4, s3
	s_mul_i32 s6, s6, s44
	s_mul_i32 s0, s0, s44
	s_add_i32 s3, s3, s6
	s_add_u32 s17, s22, s0
	s_mul_i32 s0, s1, s43
	s_mul_hi_u32 s4, s1, s42
	s_addc_u32 s18, s23, s3
	s_add_i32 s0, s4, s0
	s_mul_i32 s7, s7, s42
	s_mul_i32 s1, s1, s42
	s_add_i32 s0, s0, s7
	s_mul_i32 s2, s2, s39
	s_add_u32 s1, s20, s1
	s_addc_u32 s0, s21, s0
	s_ashr_i32 s3, s2, 31
	v_cmp_ge_i32_e32 vcc_lo, s102, v167
	s_add_u32 s9, s1, s2
	s_addc_u32 s11, s0, s3
	v_mov_b32_e32 v193, 0xfeffffff
	v_cmp_gt_u32_e64 s0, 2, v139
	v_lshrrev_b32_e32 v6, 1, v89
	v_lshrrev_b32_e32 v4, 2, v89
	v_mul_u32_u24_e32 v45, 0xf0, v1
	v_ashrrev_i32_e32 v122, 31, v121
	v_and_or_b32 v2, v89, 8, v2
	v_lshlrev_b32_e32 v43, 1, v158
	v_mbcnt_lo_u32_b32 v46, -1, 0
	v_xor_b32_e32 v160, 1, v158
	v_ashrrev_i32_e32 v142, 31, v141
	s_and_b32 vcc_lo, exec_lo, vcc_lo
	s_waitcnt lgkmcnt(0)
	s_barrier
	buffer_gl0_inv
	scratch_store_b32 off, v2, off          ; 4-byte Folded Spill
	s_cbranch_vccnz .LBB19_494
; %bb.488:
	scratch_load_b32 v0, off, off offset:156 ; 4-byte Folded Reload
	v_dual_mov_b32 v164, v89 :: v_dual_lshlrev_b32 v1, 2, v89
	v_dual_mov_b32 v112, 0 :: v_dual_add_nc_u32 v7, v90, v6
	v_mov_b32_e32 v166, v6
	v_dual_mov_b32 v159, v45 :: v_dual_add_nc_u32 v6, v4, v91
	v_lshrrev_b32_e32 v9, 3, v2
	v_and_b32_e32 v16, 60, v1
	v_xor_b32_e32 v17, 16, v46
	s_lshl_b32 s1, s12, 3
	v_and_b32_e32 v40, 4, v1
	v_mad_u32_u24 v18, 0x50, v9, 0
	v_and_b32_e32 v41, 12, v1
	v_mad_u32_u24 v11, 0xf0, v7, 0
	v_mul_lo_u32 v2, s12, v7
	v_mul_u32_u24_e32 v15, 0xf0, v6
	v_mul_u32_u24_e32 v3, 0x50, v139
	v_lshlrev_b32_e32 v22, 2, v41
	v_and_b32_e32 v42, 28, v1
	v_lshlrev_b64 v[129:130], 2, v[121:122]
	v_lshlrev_b64 v[147:148], 2, v[141:142]
	v_dual_mov_b32 v156, v91 :: v_dual_mov_b32 v165, v90
	v_dual_mov_b32 v88, 0 :: v_dual_lshlrev_b32 v189, 2, v41
	v_mov_b32_e32 v107, v112
	v_mov_b32_e32 v92, v112
	;; [unrolled: 1-line block ×3, first 2 shown]
	v_dual_mov_b32 v96, 0 :: v_dual_mov_b32 v109, v112
	v_mov_b32_e32 v98, v112
	v_mov_b32_e32 v100, v112
	;; [unrolled: 1-line block ×3, first 2 shown]
	v_dual_mov_b32 v104, 0 :: v_dual_mov_b32 v111, v112
	v_mov_b32_e32 v106, v112
	v_mov_b32_e32 v108, v112
	;; [unrolled: 1-line block ×3, first 2 shown]
	s_lshl_b32 s6, s102, 5
	v_mov_b32_e32 v161, v4
	v_dual_mov_b32 v191, 0 :: v_dual_mov_b32 v162, v44
	v_mov_b32_e32 v47, v112
	v_mov_b32_e32 v91, v112
	;; [unrolled: 1-line block ×3, first 2 shown]
	v_dual_mov_b32 v105, v112 :: v_dual_mov_b32 v192, 0xfeffffff
	v_mov_b32_e32 v41, v112
	v_mov_b32_e32 v103, v112
	;; [unrolled: 1-line block ×6, first 2 shown]
	s_waitcnt vmcnt(0)
	v_dual_mov_b32 v99, v112 :: v_dual_add_nc_u32 v0, s5, v0
	s_delay_alu instid0(VALU_DEP_1) | instskip(SKIP_1) | instid1(VALU_DEP_2)
	v_lshl_add_u32 v5, v0, 1, v158
	v_add_nc_u32_e32 v0, s1, v121
	v_mul_hi_u32 v4, s34, v5
	s_delay_alu instid0(VALU_DEP_2) | instskip(NEXT) | instid1(VALU_DEP_1)
	v_ashrrev_i32_e32 v1, 31, v0
	v_lshlrev_b64 v[131:132], 2, v[0:1]
	s_delay_alu instid0(VALU_DEP_3) | instskip(SKIP_2) | instid1(VALU_DEP_3)
	v_dual_mov_b32 v1, v112 :: v_dual_add_nc_u32 v10, v5, v4
	v_mul_lo_u32 v4, s12, v6
	v_mul_lo_u32 v6, s10, v6
	v_lshrrev_b32_e32 v10, s35, v10
	s_delay_alu instid0(VALU_DEP_3) | instskip(NEXT) | instid1(VALU_DEP_2)
	v_lshl_add_u32 v14, s12, 4, v4
	v_mul_lo_u32 v9, v10, s8
	s_delay_alu instid0(VALU_DEP_1) | instskip(NEXT) | instid1(VALU_DEP_1)
	v_sub_nc_u32_e32 v5, v5, v9
	v_mad_i64_i32 v[12:13], null, v5, s40, 0
	v_ashrrev_i32_e32 v5, 31, v4
	s_delay_alu instid0(VALU_DEP_1) | instskip(NEXT) | instid1(VALU_DEP_3)
	v_lshlrev_b64 v[125:126], 2, v[4:5]
	v_lshlrev_b64 v[12:13], 1, v[12:13]
	v_mov_b32_e32 v4, v112
	v_mov_b32_e32 v5, v112
	s_delay_alu instid0(VALU_DEP_3) | instskip(NEXT) | instid1(VALU_DEP_4)
	v_add_co_u32 v12, vcc_lo, s17, v12
	v_add_co_ci_u32_e32 v13, vcc_lo, s18, v13, vcc_lo
	s_delay_alu instid0(VALU_DEP_2) | instskip(SKIP_1) | instid1(VALU_DEP_3)
	v_add_co_u32 v176, vcc_lo, v12, v16
	v_mul_lo_u32 v12, s10, v7
	v_add_co_ci_u32_e32 v177, vcc_lo, 0, v13, vcc_lo
	v_cmp_gt_i32_e32 vcc_lo, 32, v17
	v_and_b32_e32 v8, 16, v90
	v_dual_mov_b32 v90, v112 :: v_dual_cndmask_b32 v7, v46, v17
	v_ashrrev_i32_e32 v13, 31, v12
	s_delay_alu instid0(VALU_DEP_3)
	v_mad_u32_u24 v19, 0xf0, v8, 0
	v_lshlrev_b32_e32 v20, 1, v8
	v_add_nc_u32_e32 v8, s1, v0
	v_lshlrev_b32_e32 v180, 2, v7
	v_lshlrev_b64 v[137:138], 2, v[12:13]
	v_mov_b32_e32 v13, v112
	v_lshlrev_b32_e32 v21, 2, v40
	v_ashrrev_i32_e32 v9, 31, v8
	v_add_nc_u32_e32 v10, s1, v8
	s_lshl_b32 s1, s10, 3
	v_add_nc_u32_e32 v178, v19, v44
	v_add3_u32 v169, v11, v21, 0xc0
	v_add3_u32 v21, 0, v15, v22
	v_ashrrev_i32_e32 v15, 31, v14
	v_lshlrev_b64 v[133:134], 2, v[8:9]
	v_mov_b32_e32 v9, v112
	v_add3_u32 v168, 0, v3, v16
	v_add_nc_u32_e32 v16, s1, v141
	v_lshlrev_b64 v[127:128], 2, v[14:15]
	v_mov_b32_e32 v15, v112
	v_lshlrev_b32_e32 v23, 2, v42
	v_ashrrev_i32_e32 v3, 31, v2
	v_dual_mov_b32 v8, 0 :: v_dual_add_nc_u32 v171, 0x80, v21
	v_add_nc_u32_e32 v172, 0xf80, v21
	s_delay_alu instid0(VALU_DEP_4)
	v_add3_u32 v170, 0, v45, v23
	v_mov_b32_e32 v45, v112
	v_ashrrev_i32_e32 v17, 31, v16
	v_ashrrev_i32_e32 v7, 31, v6
	v_lshlrev_b64 v[123:124], 2, v[2:3]
	v_add_nc_u32_e32 v173, 0x780, v170
	v_add_nc_u32_e32 v174, 0xf00, v170
	v_lshlrev_b64 v[149:150], 2, v[16:17]
	v_mov_b32_e32 v17, v112
	v_add3_u32 v179, v18, v20, v43
	v_add_nc_u32_e32 v18, s1, v16
	v_lshl_add_u32 v20, s10, 4, v6
	v_lshl_add_u32 v43, v155, 1, v19
	v_lshlrev_b64 v[143:144], 2, v[6:7]
	v_dual_mov_b32 v12, v112 :: v_dual_add_nc_u32 v175, 0x1680, v170
	v_add_nc_u32_e32 v22, s1, v18
	v_ashrrev_i32_e32 v21, 31, v20
	v_ashrrev_i32_e32 v19, 31, v18
	v_mad_i32_i24 v181, 0xffffff12, v155, v178
	v_add_nc_u32_e32 v182, 32, v43
	v_ashrrev_i32_e32 v23, 31, v22
	v_lshlrev_b64 v[145:146], 2, v[20:21]
	v_lshlrev_b64 v[151:152], 2, v[18:19]
	v_dual_mov_b32 v14, v112 :: v_dual_add_nc_u32 v183, 64, v43
	s_delay_alu instid0(VALU_DEP_4)
	v_lshlrev_b64 v[153:154], 2, v[22:23]
	v_mov_b32_e32 v23, v112
	v_ashrrev_i32_e32 v11, 31, v10
	v_add_nc_u32_e32 v184, 0x60, v43
	v_dual_mov_b32 v16, 0 :: v_dual_add_nc_u32 v185, 0x80, v43
	v_add_nc_u32_e32 v186, 0xa0, v43
	s_delay_alu instid0(VALU_DEP_4)
	v_lshlrev_b64 v[135:136], 2, v[10:11]
	v_dual_mov_b32 v18, v112 :: v_dual_add_nc_u32 v187, 0xc0, v43
	v_lshlrev_b32_e32 v188, 2, v40
	v_lshlrev_b32_e32 v190, 2, v42
	v_mov_b32_e32 v10, v112
	v_mov_b32_e32 v11, v112
	;; [unrolled: 1-line block ×16, first 2 shown]
	s_ashr_i32 s7, s6, 31
	s_and_saveexec_b32 s1, s0
	s_cbranch_execz .LBB19_490
.LBB19_489:
	s_lshl_b64 s[2:3], s[6:7], 1
	s_delay_alu instid0(SALU_CYCLE_1)
	v_add_co_u32 v113, vcc_lo, v176, s2
	v_add_co_ci_u32_e32 v114, vcc_lo, s3, v177, vcc_lo
	global_load_b32 v113, v[113:114], off
	s_waitcnt vmcnt(0)
	ds_store_b32 v168, v113 offset:7680
.LBB19_490:                             ; =>This Inner Loop Header: Depth=1
	s_or_b32 exec_lo, exec_lo, s1
	s_mul_hi_i32 s3, s6, s12
	s_mul_i32 s2, s6, s12
	s_delay_alu instid0(SALU_CYCLE_1) | instskip(NEXT) | instid1(SALU_CYCLE_1)
	s_lshl_b64 s[2:3], s[2:3], 2
	s_add_u32 s1, s13, s2
	s_addc_u32 s2, s16, s3
	v_add_co_u32 v113, vcc_lo, s1, v123
	v_add_co_ci_u32_e32 v114, vcc_lo, s2, v124, vcc_lo
	s_mul_hi_i32 s3, s6, s10
	s_delay_alu instid0(VALU_DEP_2) | instskip(NEXT) | instid1(VALU_DEP_2)
	v_add_co_u32 v113, vcc_lo, v113, v188
	v_add_co_ci_u32_e32 v114, vcc_lo, 0, v114, vcc_lo
	v_add_co_u32 v115, vcc_lo, s1, v125
	v_add_co_ci_u32_e32 v116, vcc_lo, s2, v126, vcc_lo
	s_delay_alu instid0(VALU_DEP_2) | instskip(NEXT) | instid1(VALU_DEP_2)
	v_add_co_u32 v117, vcc_lo, v115, v189
	v_add_co_ci_u32_e32 v118, vcc_lo, 0, v116, vcc_lo
	s_clause 0x1
	global_load_b128 v[113:116], v[113:114], off offset:192
	global_load_b128 v[117:120], v[117:118], off offset:128
	s_waitcnt vmcnt(1)
	ds_store_b128 v169, v[113:116]
	v_add_co_u32 v113, vcc_lo, s1, v127
	v_add_co_ci_u32_e32 v114, vcc_lo, s2, v128, vcc_lo
	s_delay_alu instid0(VALU_DEP_2) | instskip(NEXT) | instid1(VALU_DEP_2)
	v_add_co_u32 v113, vcc_lo, v113, v189
	v_add_co_ci_u32_e32 v114, vcc_lo, 0, v114, vcc_lo
	v_add_co_u32 v115, vcc_lo, s1, v129
	v_add_co_ci_u32_e32 v116, vcc_lo, s2, v130, vcc_lo
	s_delay_alu instid0(VALU_DEP_2) | instskip(NEXT) | instid1(VALU_DEP_2)
	v_add_co_u32 v193, vcc_lo, v115, v190
	v_add_co_ci_u32_e32 v194, vcc_lo, 0, v116, vcc_lo
	s_clause 0x1
	global_load_b128 v[113:116], v[113:114], off offset:128
	global_load_b128 v[193:196], v[193:194], off
	s_waitcnt vmcnt(2)
	ds_store_b128 v171, v[117:120]
	s_waitcnt vmcnt(1)
	ds_store_b128 v172, v[113:116]
	v_add_co_u32 v113, vcc_lo, s1, v131
	v_add_co_ci_u32_e32 v114, vcc_lo, s2, v132, vcc_lo
	s_delay_alu instid0(VALU_DEP_2) | instskip(NEXT) | instid1(VALU_DEP_2)
	v_add_co_u32 v113, vcc_lo, v113, v190
	v_add_co_ci_u32_e32 v114, vcc_lo, 0, v114, vcc_lo
	v_add_co_u32 v115, vcc_lo, s1, v133
	v_add_co_ci_u32_e32 v116, vcc_lo, s2, v134, vcc_lo
	s_delay_alu instid0(VALU_DEP_2) | instskip(NEXT) | instid1(VALU_DEP_2)
	v_add_co_u32 v117, vcc_lo, v115, v190
	v_add_co_ci_u32_e32 v118, vcc_lo, 0, v116, vcc_lo
	s_clause 0x1
	global_load_b128 v[113:116], v[113:114], off
	global_load_b128 v[117:120], v[117:118], off
	s_waitcnt vmcnt(2)
	ds_store_b128 v170, v[193:196]
	s_waitcnt vmcnt(1)
	ds_store_b128 v173, v[113:116]
	v_add_co_u32 v113, vcc_lo, s1, v135
	v_add_co_ci_u32_e32 v114, vcc_lo, s2, v136, vcc_lo
	s_mul_i32 s2, s6, s10
	s_delay_alu instid0(VALU_DEP_2) | instskip(NEXT) | instid1(VALU_DEP_2)
	v_add_co_u32 v113, vcc_lo, v113, v190
	v_add_co_ci_u32_e32 v114, vcc_lo, 0, v114, vcc_lo
	s_lshl_b64 s[2:3], s[2:3], 2
	s_delay_alu instid0(SALU_CYCLE_1)
	s_add_u32 s1, s9, s2
	global_load_b128 v[113:116], v[113:114], off
	s_addc_u32 s2, s11, s3
	v_cmp_eq_u32_e64 s3, 1, v158
	s_add_i32 s102, s102, 1
	s_add_i32 s6, s6, 32
	s_waitcnt vmcnt(1)
	ds_store_b128 v174, v[117:120]
	s_waitcnt vmcnt(0)
	ds_store_b128 v175, v[113:116]
	s_waitcnt lgkmcnt(0)
	s_waitcnt_vscnt null, 0x0
	s_barrier
	buffer_gl0_inv
	ds_load_b128 v[193:196], v178
	ds_load_b128 v[197:200], v178 offset:16
	v_mov_b32_e32 v119, v112
	v_mov_b32_e32 v113, v112
	;; [unrolled: 1-line block ×8, first 2 shown]
	s_delay_alu instid0(VALU_DEP_2) | instskip(NEXT) | instid1(VALU_DEP_4)
	v_mov_b32_e32 v119, v118
	v_mov_b32_e32 v118, v117
	;; [unrolled: 1-line block ×7, first 2 shown]
	s_waitcnt lgkmcnt(0)
	s_delay_alu instid0(VALU_DEP_1)
	v_wmma_f32_16x16x16_f16 v[113:120], v[193:200], v[32:39], v[113:120]
	ds_load_b128 v[193:196], v178 offset:32
	ds_load_b128 v[197:200], v178 offset:48
	s_waitcnt lgkmcnt(0)
	v_wmma_f32_16x16x16_f16 v[113:120], v[193:200], v[24:31], v[113:120]
	ds_load_b128 v[193:196], v178 offset:64
	ds_load_b128 v[197:200], v178 offset:80
	s_waitcnt lgkmcnt(0)
	;; [unrolled: 4-line block ×6, first 2 shown]
	s_barrier
	buffer_gl0_inv
	v_wmma_f32_16x16x16_f16 v[113:120], v[193:200], v[72:79], v[113:120]
	ds_load_u16 v140, v179 offset:7680
	ds_load_u16 v193, v179 offset:7684
	;; [unrolled: 1-line block ×8, first 2 shown]
	s_waitcnt lgkmcnt(7)
	v_cvt_f32_f16_e64 v140, v140
	s_waitcnt lgkmcnt(6)
	v_cvt_f32_f16_e64 v193, v193
	;; [unrolled: 2-line block ×5, first 2 shown]
	v_add_f32_e32 v194, v113, v140
	v_add_co_u32 v113, vcc_lo, s1, v137
	v_add_f32_e32 v195, v114, v193
	v_add_co_ci_u32_e32 v114, vcc_lo, s2, v138, vcc_lo
	s_delay_alu instid0(VALU_DEP_3) | instskip(SKIP_1) | instid1(VALU_DEP_3)
	v_add_co_u32 v113, vcc_lo, v113, v188
	v_add_f32_e32 v115, v115, v200
	v_add_co_ci_u32_e32 v114, vcc_lo, 0, v114, vcc_lo
	v_add_co_u32 v140, vcc_lo, s1, v143
	v_add_co_ci_u32_e32 v193, vcc_lo, s2, v144, vcc_lo
	s_waitcnt lgkmcnt(2)
	v_cvt_f32_f16_e64 v197, v197
	s_delay_alu instid0(VALU_DEP_3)
	v_add_co_u32 v200, vcc_lo, v140, v189
	s_waitcnt lgkmcnt(1)
	v_cvt_f32_f16_e64 v198, v198
	s_waitcnt lgkmcnt(0)
	v_cvt_f32_f16_e64 v199, v199
	v_add_f32_e32 v116, v116, v201
	v_add_co_ci_u32_e32 v201, vcc_lo, 0, v193, vcc_lo
	v_dual_add_f32 v117, v117, v196 :: v_dual_add_f32 v118, v118, v197
	s_delay_alu instid0(VALU_DEP_4)
	v_dual_add_f32 v119, v119, v198 :: v_dual_add_f32 v120, v120, v199
	s_clause 0x1
	global_load_b128 v[196:199], v[113:114], off offset:192
	global_load_b128 v[200:203], v[200:201], off offset:128
	v_add_co_u32 v113, vcc_lo, s1, v145
	v_add_co_ci_u32_e32 v114, vcc_lo, s2, v146, vcc_lo
	s_delay_alu instid0(VALU_DEP_2) | instskip(NEXT) | instid1(VALU_DEP_2)
	v_add_co_u32 v113, vcc_lo, v113, v189
	v_add_co_ci_u32_e32 v114, vcc_lo, 0, v114, vcc_lo
	v_add_co_u32 v140, vcc_lo, s1, v147
	v_add_co_ci_u32_e32 v193, vcc_lo, s2, v148, vcc_lo
	s_delay_alu instid0(VALU_DEP_2) | instskip(NEXT) | instid1(VALU_DEP_2)
	v_add_co_u32 v204, vcc_lo, v140, v190
	v_add_co_ci_u32_e32 v205, vcc_lo, 0, v193, vcc_lo
	s_waitcnt vmcnt(1)
	ds_store_b128 v169, v[196:199]
	s_clause 0x1
	global_load_b128 v[196:199], v[113:114], off offset:128
	global_load_b128 v[204:207], v[204:205], off
	v_add_co_u32 v113, vcc_lo, s1, v149
	v_add_co_ci_u32_e32 v114, vcc_lo, s2, v150, vcc_lo
	s_waitcnt vmcnt(2)
	ds_store_b128 v171, v[200:203]
	s_waitcnt vmcnt(1)
	ds_store_b128 v172, v[196:199]
	v_add_co_u32 v113, vcc_lo, v113, v190
	v_add_co_ci_u32_e32 v114, vcc_lo, 0, v114, vcc_lo
	v_add_co_u32 v140, vcc_lo, s1, v151
	v_add_co_ci_u32_e32 v193, vcc_lo, s2, v152, vcc_lo
	s_delay_alu instid0(VALU_DEP_2) | instskip(NEXT) | instid1(VALU_DEP_2)
	v_add_co_u32 v200, vcc_lo, v140, v190
	v_add_co_ci_u32_e32 v201, vcc_lo, 0, v193, vcc_lo
	s_clause 0x1
	global_load_b128 v[196:199], v[113:114], off
	global_load_b128 v[200:203], v[200:201], off
	v_add_co_u32 v113, vcc_lo, s1, v153
	v_add_co_ci_u32_e32 v114, vcc_lo, s2, v154, vcc_lo
	v_add_f32_e32 v140, 0x40051340, v116
	s_delay_alu instid0(VALU_DEP_3) | instskip(NEXT) | instid1(VALU_DEP_3)
	v_add_co_u32 v113, vcc_lo, v113, v190
	v_add_co_ci_u32_e32 v114, vcc_lo, 0, v114, vcc_lo
	v_cmp_eq_u32_e64 s2, 0, v158
	s_waitcnt vmcnt(2)
	ds_store_b128 v170, v[204:207]
	s_waitcnt vmcnt(1)
	ds_store_b128 v173, v[196:199]
	global_load_b128 v[196:199], v[113:114], off
	v_dual_add_f32 v113, 0x40051340, v194 :: v_dual_add_f32 v114, 0x40051340, v195
	s_waitcnt vmcnt(1)
	ds_store_b128 v174, v[200:203]
	s_waitcnt vmcnt(0)
	ds_store_b128 v175, v[196:199]
	v_max3_f32 v113, v192, v113, v114
	v_add_f32_e32 v114, 0x40051340, v115
	s_waitcnt lgkmcnt(0)
	s_barrier
	buffer_gl0_inv
	v_max3_f32 v113, v113, v114, v140
	v_add_f32_e32 v114, 0x40051340, v117
	v_add_f32_e32 v140, 0x40051340, v118
	s_delay_alu instid0(VALU_DEP_1) | instskip(SKIP_2) | instid1(VALU_DEP_1)
	v_max3_f32 v113, v113, v114, v140
	v_add_f32_e32 v114, 0x40051340, v119
	v_add_f32_e32 v140, 0x40051340, v120
	v_max3_f32 v113, v113, v114, v140
	ds_bpermute_b32 v114, v180, v113
	s_waitcnt lgkmcnt(0)
	v_max_f32_e32 v114, v114, v114
	s_delay_alu instid0(VALU_DEP_1) | instskip(NEXT) | instid1(VALU_DEP_1)
	v_max_f32_e32 v193, v113, v114
	v_sub_f32_e32 v113, v195, v193
	v_sub_f32_e32 v116, v116, v193
	;; [unrolled: 1-line block ×5, first 2 shown]
	v_mul_f32_e32 v114, 0x3fb8aa3b, v113
	v_cmp_ngt_f32_e32 vcc_lo, 0xc2ce8ed0, v113
	v_sub_f32_e32 v115, v115, v193
	v_sub_f32_e32 v120, v120, v193
	s_delay_alu instid0(VALU_DEP_4) | instskip(SKIP_1) | instid1(VALU_DEP_4)
	v_fma_f32 v140, 0x3fb8aa3b, v113, -v114
	v_rndne_f32_e32 v195, v114
	v_cmp_ngt_f32_e64 s4, 0xc2ce8ed0, v115
	s_delay_alu instid0(VALU_DEP_3) | instskip(NEXT) | instid1(VALU_DEP_3)
	v_fmac_f32_e32 v140, 0x32a5705f, v113
	v_sub_f32_e32 v114, v114, v195
	v_cvt_i32_f32_e32 v195, v195
	s_delay_alu instid0(VALU_DEP_2) | instskip(NEXT) | instid1(VALU_DEP_1)
	v_add_f32_e32 v114, v114, v140
	v_exp_f32_e32 v114, v114
	s_waitcnt_depctr 0xfff
	v_ldexp_f32 v114, v114, v195
	s_delay_alu instid0(VALU_DEP_1) | instskip(SKIP_2) | instid1(VALU_DEP_1)
	v_cndmask_b32_e32 v114, 0, v114, vcc_lo
	v_cmp_nlt_f32_e32 vcc_lo, 0x42b17218, v113
	v_sub_f32_e32 v140, v194, v193
	v_mul_f32_e32 v194, 0x3fb8aa3b, v140
	s_delay_alu instid0(VALU_DEP_1) | instskip(SKIP_1) | instid1(VALU_DEP_2)
	v_fma_f32 v196, 0x3fb8aa3b, v140, -v194
	v_rndne_f32_e32 v197, v194
	v_fmac_f32_e32 v196, 0x32a5705f, v140
	s_delay_alu instid0(VALU_DEP_2) | instskip(SKIP_1) | instid1(VALU_DEP_2)
	v_sub_f32_e32 v194, v194, v197
	v_cvt_i32_f32_e32 v195, v197
	v_add_f32_e32 v194, v194, v196
	s_delay_alu instid0(VALU_DEP_1)
	v_exp_f32_e32 v194, v194
	s_waitcnt_depctr 0xfff
	v_ldexp_f32 v194, v194, v195
	v_cndmask_b32_e32 v195, 0x7f800000, v114, vcc_lo
	v_cmp_ngt_f32_e64 s1, 0xc2ce8ed0, v140
	v_cmp_eq_u32_e32 vcc_lo, 1, v160
	s_delay_alu instid0(VALU_DEP_2)
	v_cndmask_b32_e64 v113, 0, v194, s1
	v_cmp_nlt_f32_e64 s1, 0x42b17218, v140
	ds_bpermute_b32 v140, v180, v195
	v_cndmask_b32_e64 v194, 0x7f800000, v113, s1
	v_cmp_eq_u32_e64 s1, 0, v160
	ds_bpermute_b32 v113, v180, v194
	s_waitcnt lgkmcnt(0)
	v_cndmask_b32_e32 v114, v194, v113, vcc_lo
	v_cndmask_b32_e64 v113, v194, v113, s1
	s_delay_alu instid0(VALU_DEP_1) | instskip(SKIP_1) | instid1(VALU_DEP_2)
	v_cndmask_b32_e64 v196, v113, v195, s2
	v_cvt_f16_f32_e32 v113, v113
	v_cndmask_b32_e64 v197, v196, v140, s1
	v_cndmask_b32_e64 v196, v114, v195, s3
	v_cvt_f16_f32_e32 v114, v114
	s_delay_alu instid0(VALU_DEP_2) | instskip(NEXT) | instid1(VALU_DEP_4)
	v_cndmask_b32_e32 v140, v196, v140, vcc_lo
	v_cvt_f16_f32_e64 v196, v197
	s_delay_alu instid0(VALU_DEP_3) | instskip(NEXT) | instid1(VALU_DEP_3)
	v_pack_b32_f16 v113, v113, v114
	v_cvt_f16_f32_e64 v198, v140
	s_delay_alu instid0(VALU_DEP_1) | instskip(SKIP_1) | instid1(VALU_DEP_1)
	v_pack_b32_f16 v114, v196, v198
	v_mul_f32_e32 v196, 0x3fb8aa3b, v115
	v_fma_f32 v198, 0x3fb8aa3b, v115, -v196
	v_rndne_f32_e32 v199, v196
	s_delay_alu instid0(VALU_DEP_2) | instskip(NEXT) | instid1(VALU_DEP_2)
	v_fmac_f32_e32 v198, 0x32a5705f, v115
	v_sub_f32_e32 v196, v196, v199
	s_delay_alu instid0(VALU_DEP_1) | instskip(SKIP_1) | instid1(VALU_DEP_2)
	v_add_f32_e32 v196, v196, v198
	v_cvt_i32_f32_e32 v198, v199
	v_exp_f32_e32 v196, v196
	s_waitcnt_depctr 0xfff
	v_ldexp_f32 v196, v196, v198
	s_delay_alu instid0(VALU_DEP_1) | instskip(SKIP_1) | instid1(VALU_DEP_1)
	v_cndmask_b32_e64 v196, 0, v196, s4
	v_cmp_nlt_f32_e64 s4, 0x42b17218, v115
	v_cndmask_b32_e64 v196, 0x7f800000, v196, s4
	v_cmp_ngt_f32_e64 s4, 0xc2ce8ed0, v116
	s_delay_alu instid0(VALU_DEP_2)
	v_cndmask_b32_e64 v115, v140, v196, s3
	v_cndmask_b32_e64 v140, v197, v196, s2
	ds_bpermute_b32 v197, v180, v196
	s_waitcnt lgkmcnt(0)
	v_cndmask_b32_e64 v140, v140, v197, s1
	v_cndmask_b32_e32 v198, v115, v197, vcc_lo
	s_delay_alu instid0(VALU_DEP_2) | instskip(NEXT) | instid1(VALU_DEP_2)
	v_cvt_f16_f32_e64 v115, v140
	v_cvt_f16_f32_e64 v197, v198
	s_delay_alu instid0(VALU_DEP_1) | instskip(SKIP_1) | instid1(VALU_DEP_1)
	v_pack_b32_f16 v115, v115, v197
	v_mul_f32_e32 v197, 0x3fb8aa3b, v116
	v_fma_f32 v199, 0x3fb8aa3b, v116, -v197
	v_rndne_f32_e32 v200, v197
	s_delay_alu instid0(VALU_DEP_2) | instskip(NEXT) | instid1(VALU_DEP_2)
	v_fmac_f32_e32 v199, 0x32a5705f, v116
	v_sub_f32_e32 v197, v197, v200
	s_delay_alu instid0(VALU_DEP_1) | instskip(SKIP_1) | instid1(VALU_DEP_2)
	v_add_f32_e32 v197, v197, v199
	v_cvt_i32_f32_e32 v199, v200
	v_exp_f32_e32 v197, v197
	s_waitcnt_depctr 0xfff
	v_ldexp_f32 v197, v197, v199
	s_delay_alu instid0(VALU_DEP_1) | instskip(SKIP_1) | instid1(VALU_DEP_1)
	v_cndmask_b32_e64 v197, 0, v197, s4
	v_cmp_nlt_f32_e64 s4, 0x42b17218, v116
	v_cndmask_b32_e64 v197, 0x7f800000, v197, s4
	v_cmp_ngt_f32_e64 s4, 0xc2ce8ed0, v117
	s_delay_alu instid0(VALU_DEP_2) | instskip(SKIP_3) | instid1(VALU_DEP_1)
	v_cndmask_b32_e64 v116, v198, v197, s3
	ds_bpermute_b32 v198, v180, v197
	v_cndmask_b32_e64 v140, v140, v197, s2
	s_waitcnt lgkmcnt(0)
	v_cndmask_b32_e64 v140, v140, v198, s1
	v_cndmask_b32_e32 v198, v116, v198, vcc_lo
	s_delay_alu instid0(VALU_DEP_2) | instskip(NEXT) | instid1(VALU_DEP_2)
	v_cvt_f16_f32_e64 v116, v140
	v_cvt_f16_f32_e64 v199, v198
	s_delay_alu instid0(VALU_DEP_1) | instskip(SKIP_1) | instid1(VALU_DEP_1)
	v_pack_b32_f16 v116, v116, v199
	v_mul_f32_e32 v199, 0x3fb8aa3b, v117
	v_fma_f32 v200, 0x3fb8aa3b, v117, -v199
	v_rndne_f32_e32 v201, v199
	s_delay_alu instid0(VALU_DEP_2) | instskip(NEXT) | instid1(VALU_DEP_2)
	v_fmac_f32_e32 v200, 0x32a5705f, v117
	v_sub_f32_e32 v199, v199, v201
	s_delay_alu instid0(VALU_DEP_1) | instskip(SKIP_1) | instid1(VALU_DEP_2)
	v_add_f32_e32 v199, v199, v200
	v_cvt_i32_f32_e32 v200, v201
	v_exp_f32_e32 v199, v199
	s_waitcnt_depctr 0xfff
	v_ldexp_f32 v199, v199, v200
	s_delay_alu instid0(VALU_DEP_1) | instskip(SKIP_1) | instid1(VALU_DEP_1)
	v_cndmask_b32_e64 v199, 0, v199, s4
	v_cmp_nlt_f32_e64 s4, 0x42b17218, v117
	v_cndmask_b32_e64 v254, 0x7f800000, v199, s4
	v_cmp_ngt_f32_e64 s4, 0xc2ce8ed0, v118
	s_delay_alu instid0(VALU_DEP_2) | instskip(SKIP_3) | instid1(VALU_DEP_1)
	v_cndmask_b32_e64 v117, v198, v254, s3
	ds_bpermute_b32 v198, v180, v254
	v_cndmask_b32_e64 v140, v140, v254, s2
	s_waitcnt lgkmcnt(0)
	v_cndmask_b32_e64 v140, v140, v198, s1
	v_cndmask_b32_e32 v198, v117, v198, vcc_lo
	s_delay_alu instid0(VALU_DEP_2) | instskip(NEXT) | instid1(VALU_DEP_2)
	v_cvt_f16_f32_e64 v117, v140
	v_cvt_f16_f32_e64 v199, v198
	s_delay_alu instid0(VALU_DEP_1) | instskip(SKIP_1) | instid1(VALU_DEP_1)
	v_pack_b32_f16 v117, v117, v199
	v_mul_f32_e32 v199, 0x3fb8aa3b, v118
	v_fma_f32 v200, 0x3fb8aa3b, v118, -v199
	v_rndne_f32_e32 v201, v199
	s_delay_alu instid0(VALU_DEP_1) | instskip(NEXT) | instid1(VALU_DEP_1)
	v_dual_fmac_f32 v200, 0x32a5705f, v118 :: v_dual_sub_f32 v199, v199, v201
	v_add_f32_e32 v199, v199, v200
	v_cvt_i32_f32_e32 v200, v201
	s_delay_alu instid0(VALU_DEP_2) | instskip(SKIP_2) | instid1(VALU_DEP_1)
	v_exp_f32_e32 v199, v199
	s_waitcnt_depctr 0xfff
	v_ldexp_f32 v199, v199, v200
	v_cndmask_b32_e64 v199, 0, v199, s4
	v_cmp_nlt_f32_e64 s4, 0x42b17218, v118
	s_delay_alu instid0(VALU_DEP_1) | instskip(SKIP_1) | instid1(VALU_DEP_2)
	v_cndmask_b32_e64 v255, 0x7f800000, v199, s4
	v_cmp_ngt_f32_e64 s4, 0xc2ce8ed0, v119
	v_cndmask_b32_e64 v118, v198, v255, s3
	ds_bpermute_b32 v198, v180, v255
	v_cndmask_b32_e64 v140, v140, v255, s2
	s_waitcnt lgkmcnt(0)
	s_delay_alu instid0(VALU_DEP_1) | instskip(SKIP_1) | instid1(VALU_DEP_2)
	v_cndmask_b32_e64 v140, v140, v198, s1
	v_cndmask_b32_e32 v198, v118, v198, vcc_lo
	v_cvt_f16_f32_e64 v118, v140
	s_delay_alu instid0(VALU_DEP_2) | instskip(NEXT) | instid1(VALU_DEP_1)
	v_cvt_f16_f32_e64 v199, v198
	v_pack_b32_f16 v118, v118, v199
	v_mul_f32_e32 v199, 0x3fb8aa3b, v119
	s_delay_alu instid0(VALU_DEP_1) | instskip(SKIP_1) | instid1(VALU_DEP_1)
	v_fma_f32 v200, 0x3fb8aa3b, v119, -v199
	v_rndne_f32_e32 v201, v199
	v_dual_fmac_f32 v200, 0x32a5705f, v119 :: v_dual_sub_f32 v199, v199, v201
	s_delay_alu instid0(VALU_DEP_1) | instskip(SKIP_1) | instid1(VALU_DEP_2)
	v_add_f32_e32 v199, v199, v200
	v_cvt_i32_f32_e32 v200, v201
	v_exp_f32_e32 v199, v199
	s_waitcnt_depctr 0xfff
	v_ldexp_f32 v199, v199, v200
	s_delay_alu instid0(VALU_DEP_1) | instskip(SKIP_1) | instid1(VALU_DEP_1)
	v_cndmask_b32_e64 v199, 0, v199, s4
	v_cmp_nlt_f32_e64 s4, 0x42b17218, v119
	v_cndmask_b32_e64 v157, 0x7f800000, v199, s4
	v_cmp_ngt_f32_e64 s4, 0xc2ce8ed0, v120
	s_delay_alu instid0(VALU_DEP_2) | instskip(SKIP_3) | instid1(VALU_DEP_1)
	v_cndmask_b32_e64 v119, v198, v157, s3
	ds_bpermute_b32 v198, v180, v157
	v_cndmask_b32_e64 v140, v140, v157, s2
	s_waitcnt lgkmcnt(0)
	v_cndmask_b32_e64 v140, v140, v198, s1
	v_cndmask_b32_e32 v198, v119, v198, vcc_lo
	s_delay_alu instid0(VALU_DEP_2) | instskip(NEXT) | instid1(VALU_DEP_2)
	v_cvt_f16_f32_e64 v119, v140
	v_cvt_f16_f32_e64 v199, v198
	s_delay_alu instid0(VALU_DEP_1) | instskip(SKIP_1) | instid1(VALU_DEP_1)
	v_pack_b32_f16 v119, v119, v199
	v_mul_f32_e32 v199, 0x3fb8aa3b, v120
	v_fma_f32 v200, 0x3fb8aa3b, v120, -v199
	v_rndne_f32_e32 v201, v199
	s_delay_alu instid0(VALU_DEP_1) | instskip(NEXT) | instid1(VALU_DEP_1)
	v_dual_fmac_f32 v200, 0x32a5705f, v120 :: v_dual_sub_f32 v199, v199, v201
	v_add_f32_e32 v199, v199, v200
	v_cvt_i32_f32_e32 v200, v201
	s_delay_alu instid0(VALU_DEP_2) | instskip(SKIP_2) | instid1(VALU_DEP_1)
	v_exp_f32_e32 v199, v199
	s_waitcnt_depctr 0xfff
	v_ldexp_f32 v199, v199, v200
	v_cndmask_b32_e64 v199, 0, v199, s4
	v_cmp_nlt_f32_e64 s4, 0x42b17218, v120
	s_delay_alu instid0(VALU_DEP_1) | instskip(NEXT) | instid1(VALU_DEP_1)
	v_cndmask_b32_e64 v163, 0x7f800000, v199, s4
	v_cndmask_b32_e64 v120, v198, v163, s3
	ds_bpermute_b32 v198, v180, v163
	v_cndmask_b32_e64 v140, v140, v163, s2
	s_waitcnt lgkmcnt(0)
	s_delay_alu instid0(VALU_DEP_1) | instskip(SKIP_1) | instid1(VALU_DEP_2)
	v_cndmask_b32_e64 v140, v140, v198, s1
	v_cndmask_b32_e32 v120, v120, v198, vcc_lo
	v_cvt_f16_f32_e64 v140, v140
	s_delay_alu instid0(VALU_DEP_2) | instskip(NEXT) | instid1(VALU_DEP_1)
	v_cvt_f16_f32_e32 v120, v120
	v_pack_b32_f16 v120, v140, v120
	v_sub_f32_e32 v140, v192, v193
	s_delay_alu instid0(VALU_DEP_1) | instskip(SKIP_1) | instid1(VALU_DEP_2)
	v_mul_f32_e32 v192, 0x3fb8aa3b, v140
	v_cmp_ngt_f32_e32 vcc_lo, 0xc2ce8ed0, v140
	v_fma_f32 v198, 0x3fb8aa3b, v140, -v192
	v_rndne_f32_e32 v199, v192
	s_delay_alu instid0(VALU_DEP_2) | instskip(NEXT) | instid1(VALU_DEP_2)
	v_fmac_f32_e32 v198, 0x32a5705f, v140
	v_sub_f32_e32 v192, v192, v199
	s_delay_alu instid0(VALU_DEP_1) | instskip(SKIP_1) | instid1(VALU_DEP_2)
	v_add_f32_e32 v192, v192, v198
	v_cvt_i32_f32_e32 v198, v199
	v_exp_f32_e32 v192, v192
	s_waitcnt_depctr 0xfff
	v_ldexp_f32 v192, v192, v198
	ds_load_u16 v200, v181 offset:960
	ds_load_u16 v201, v181 offset:1440
	ds_load_u16 v208, v182 offset:960
	ds_load_u16 v209, v182 offset:1440
	ds_load_u16 v210, v182 offset:1920
	ds_load_u16 v211, v182 offset:2400
	ds_load_u16 v212, v182 offset:2880
	ds_load_u16 v213, v182 offset:3360
	ds_load_u16 v215, v183 offset:480
	ds_load_u16 v207, v182 offset:480
	ds_load_u16 v216, v183 offset:960
	ds_load_u16 v217, v183 offset:1440
	ds_load_u16 v218, v183 offset:1920
	ds_load_u16 v219, v183 offset:2400
	ds_load_u16 v220, v183 offset:2880
	ds_load_u16 v221, v183 offset:3360
	ds_load_u16 v223, v184 offset:480
	ds_load_u16 v224, v184 offset:960
	ds_load_u16 v225, v184 offset:1440
	ds_load_u16 v226, v184 offset:1920
	ds_load_u16 v227, v184 offset:2400
	ds_load_u16 v228, v184 offset:2880
	ds_load_u16 v229, v184 offset:3360
	ds_load_u16 v231, v185 offset:480
	ds_load_u16 v232, v185 offset:960
	ds_load_u16 v233, v185 offset:1440
	ds_load_u16 v234, v185 offset:1920
	ds_load_u16 v235, v185 offset:2400
	ds_load_u16 v236, v185 offset:2880
	ds_load_u16 v237, v185 offset:3360
	ds_load_u16 v239, v186 offset:480
	ds_load_u16 v240, v186 offset:960
	ds_load_u16 v241, v186 offset:1440
	ds_load_u16 v242, v186 offset:1920
	ds_load_u16 v198, v181
	ds_load_u16 v206, v181 offset:32
	ds_load_u16 v214, v181 offset:64
	;; [unrolled: 1-line block ×17, first 2 shown]
	s_waitcnt lgkmcnt(49)
	ds_load_u16_d16_hi v208, v181 offset:1232
	s_waitcnt lgkmcnt(49)
	ds_load_u16_d16_hi v209, v181 offset:1712
	ds_load_u16 v202, v181 offset:1920
	s_waitcnt lgkmcnt(50)
	ds_load_u16_d16_hi v210, v181 offset:2192
	ds_load_u16 v203, v181 offset:2400
	;; [unrolled: 3-line block ×4, first 2 shown]
	s_waitcnt lgkmcnt(53)
	ds_load_u16_d16_hi v213, v181 offset:3632
	s_waitcnt lgkmcnt(18)
	ds_load_u16_d16_hi v247, v181 offset:912
	ds_load_u16_d16_hi v200, v181 offset:1200
	;; [unrolled: 1-line block ×6, first 2 shown]
	s_waitcnt lgkmcnt(23)
	ds_load_u16_d16_hi v248, v181 offset:1392
	ds_load_u16_d16_hi v201, v181 offset:1680
	;; [unrolled: 1-line block ×6, first 2 shown]
	s_waitcnt lgkmcnt(28)
	ds_load_u16_d16_hi v249, v181 offset:1872
	v_cndmask_b32_e32 v192, 0, v192, vcc_lo
	v_cmp_nlt_f32_e32 vcc_lo, 0x42b17218, v140
	s_waitcnt lgkmcnt(20)
	ds_load_u16_d16_hi v202, v181 offset:2160
	ds_load_u16_d16_hi v218, v181 offset:2224
	ds_load_u16_d16_hi v226, v181 offset:2256
	ds_load_u16_d16_hi v234, v181 offset:2288
	ds_load_u16_d16_hi v242, v181 offset:2320
	ds_load_u16_d16_hi v250, v181 offset:2352
	s_waitcnt lgkmcnt(24)
	ds_load_u16_d16_hi v203, v181 offset:2640
	ds_load_u16_d16_hi v219, v181 offset:2704
	ds_load_u16_d16_hi v227, v181 offset:2736
	ds_load_u16_d16_hi v235, v181 offset:2768
	ds_load_u16_d16_hi v243, v181 offset:2800
	ds_load_u16_d16_hi v251, v181 offset:2832
	;; [unrolled: 7-line block ×4, first 2 shown]
	ds_load_u16_d16_hi v230, v181 offset:368
	ds_load_u16_d16_hi v238, v181 offset:400
	;; [unrolled: 1-line block ×13, first 2 shown]
	v_cndmask_b32_e32 v192, 0x7f800000, v192, vcc_lo
	v_cmp_le_f32_e32 vcc_lo, 0xc1a00000, v140
	s_waitcnt lgkmcnt(0)
	s_barrier
	buffer_gl0_inv
	v_cndmask_b32_e32 v140, 0, v192, vcc_lo
	v_cmp_lt_i32_e32 vcc_lo, s102, v167
	s_delay_alu instid0(VALU_DEP_2)
	v_mul_f32_e32 v104, v104, v140
	v_mul_f32_e32 v105, v105, v140
	;; [unrolled: 1-line block ×56, first 2 shown]
	v_wmma_f32_16x16x16_f16 v[104:111], v[198:205], v[113:120], v[104:111]
	v_wmma_f32_16x16x16_f16 v[96:103], v[206:213], v[113:120], v[96:103]
	;; [unrolled: 1-line block ×7, first 2 shown]
	v_add_f32_e32 v113, v194, v195
	s_and_b32 vcc_lo, exec_lo, vcc_lo
	s_delay_alu instid0(VALU_DEP_1) | instskip(NEXT) | instid1(VALU_DEP_1)
	v_add_f32_e32 v113, v196, v113
	v_add_f32_e32 v113, v197, v113
	s_delay_alu instid0(VALU_DEP_1) | instskip(NEXT) | instid1(VALU_DEP_1)
	v_add_f32_e32 v113, v254, v113
	v_add_f32_e32 v113, v255, v113
	;; [unrolled: 3-line block ×3, first 2 shown]
	s_delay_alu instid0(VALU_DEP_1)
	v_fmac_f32_e32 v192, v191, v140
	s_cbranch_vccz .LBB19_495
; %bb.491:                              ;   in Loop: Header=BB19_490 Depth=1
	s_delay_alu instid0(VALU_DEP_1)
	v_dual_mov_b32 v191, v192 :: v_dual_mov_b32 v192, v193
	s_ashr_i32 s7, s6, 31
	s_and_saveexec_b32 s1, s0
	s_cbranch_execnz .LBB19_489
	s_branch .LBB19_490
.LBB19_492:
                                        ; implicit-def: $sgpr50_sgpr51
	s_load_b64 s[48:49], s[0:1], 0x74
	v_cvt_f32_u32_e32 v2, s14
	s_branch .LBB19_2
.LBB19_493:
                                        ; implicit-def: $sgpr54_sgpr55
	s_load_b64 s[34:35], s[0:1], 0x5c
	s_branch .LBB19_5
.LBB19_494:
	v_dual_mov_b32 v166, v6 :: v_dual_mov_b32 v161, v4
	v_dual_mov_b32 v162, v44 :: v_dual_mov_b32 v159, v45
	;; [unrolled: 1-line block ×4, first 2 shown]
	v_mov_b32_e32 v6, v7
	v_mov_b32_e32 v4, v7
	;; [unrolled: 1-line block ×55, first 2 shown]
.LBB19_495:
	s_lshl_b32 s0, s102, 5
	s_mov_b32 s2, exec_lo
	s_ashr_i32 s1, s0, 31
	v_cmpx_gt_u32_e32 2, v139
	s_cbranch_execz .LBB19_497
; %bb.496:
	scratch_load_b32 v112, off, off offset:156 ; 4-byte Folded Reload
	s_waitcnt vmcnt(0)
	v_add_nc_u32_e32 v112, s5, v112
	s_lshl_b64 s[4:5], s[0:1], 1
	s_delay_alu instid0(SALU_CYCLE_1) | instskip(SKIP_1) | instid1(VALU_DEP_1)
	s_add_u32 s1, s17, s4
	s_addc_u32 s3, s18, s5
	v_lshl_or_b32 v112, v112, 1, v158
	s_delay_alu instid0(VALU_DEP_1) | instskip(NEXT) | instid1(VALU_DEP_1)
	v_mul_hi_u32 v113, s34, v112
	v_add_nc_u32_e32 v113, v112, v113
	s_delay_alu instid0(VALU_DEP_1) | instskip(NEXT) | instid1(VALU_DEP_1)
	v_lshrrev_b32_e32 v113, s35, v113
	v_mul_lo_u32 v113, v113, s8
	s_delay_alu instid0(VALU_DEP_1) | instskip(NEXT) | instid1(VALU_DEP_1)
	v_sub_nc_u32_e32 v114, v112, v113
	v_mad_i64_i32 v[112:113], null, v114, s40, 0
	v_lshlrev_b32_e32 v114, 2, v164
	s_delay_alu instid0(VALU_DEP_1) | instskip(NEXT) | instid1(VALU_DEP_3)
	v_and_b32_e32 v114, 60, v114
	v_lshlrev_b64 v[112:113], 1, v[112:113]
	s_delay_alu instid0(VALU_DEP_1) | instskip(NEXT) | instid1(VALU_DEP_2)
	v_add_co_u32 v112, vcc_lo, s1, v112
	v_add_co_ci_u32_e32 v113, vcc_lo, s3, v113, vcc_lo
	s_delay_alu instid0(VALU_DEP_2) | instskip(NEXT) | instid1(VALU_DEP_2)
	v_add_co_u32 v112, vcc_lo, v112, v114
	v_add_co_ci_u32_e32 v113, vcc_lo, 0, v113, vcc_lo
	global_load_b32 v112, v[112:113], off
	v_mul_u32_u24_e32 v113, 0x50, v139
	s_delay_alu instid0(VALU_DEP_1)
	v_add3_u32 v113, 0, v113, v114
	s_waitcnt vmcnt(0)
	ds_store_b32 v113, v112 offset:7680
.LBB19_497:
	s_or_b32 exec_lo, exec_lo, s2
	v_dual_mov_b32 v221, v165 :: v_dual_mov_b32 v220, v164
	v_add_nc_u32_e32 v146, v161, v156
	s_mul_hi_i32 s3, s0, s12
	s_mul_i32 s2, s0, s12
	s_delay_alu instid0(VALU_DEP_2)
	v_add_nc_u32_e32 v144, v221, v166
	v_lshlrev_b32_e32 v126, 4, v220
	v_mul_lo_u32 v114, s12, v146
	s_lshl_b64 s[2:3], s[2:3], 2
	v_mul_lo_u32 v151, s10, v146
	v_mul_lo_u32 v112, s12, v144
	s_add_u32 s1, s13, s2
	s_addc_u32 s2, s16, s3
	v_and_b32_e32 v145, 16, v126
	v_and_b32_e32 v143, 48, v126
	v_ashrrev_i32_e32 v115, 31, v114
	v_lshl_add_u32 v116, s12, 4, v114
	s_lshl_b32 s3, s12, 3
	v_ashrrev_i32_e32 v113, 31, v112
	v_add_nc_u32_e32 v120, s3, v121
	v_lshlrev_b64 v[114:115], 2, v[114:115]
	v_ashrrev_i32_e32 v117, 31, v116
	v_and_b32_e32 v147, 0x70, v126
	v_lshlrev_b64 v[112:113], 2, v[112:113]
	v_add_nc_u32_e32 v126, s3, v120
	v_mul_lo_u32 v140, s10, v144
	v_lshlrev_b64 v[123:124], 2, v[116:117]
	v_lshlrev_b64 v[149:150], 2, v[141:142]
	v_mul_u32_u24_e32 v142, 0xf0, v144
	v_add_co_u32 v112, vcc_lo, s1, v112
	v_add_co_ci_u32_e32 v113, vcc_lo, s2, v113, vcc_lo
	v_add_co_u32 v114, vcc_lo, s1, v114
	v_add_co_ci_u32_e32 v115, vcc_lo, s2, v115, vcc_lo
	s_delay_alu instid0(VALU_DEP_4) | instskip(NEXT) | instid1(VALU_DEP_4)
	v_add_co_u32 v112, vcc_lo, v112, v145
	v_add_co_ci_u32_e32 v113, vcc_lo, 0, v113, vcc_lo
	s_delay_alu instid0(VALU_DEP_4) | instskip(NEXT) | instid1(VALU_DEP_4)
	v_add_co_u32 v118, vcc_lo, v114, v143
	v_add_co_ci_u32_e32 v119, vcc_lo, 0, v115, vcc_lo
	v_add_co_u32 v125, vcc_lo, s1, v123
	v_add_co_ci_u32_e32 v127, vcc_lo, s2, v124, vcc_lo
	v_lshlrev_b64 v[122:123], 2, v[121:122]
	s_delay_alu instid0(VALU_DEP_3) | instskip(SKIP_1) | instid1(VALU_DEP_4)
	v_add_co_u32 v124, vcc_lo, v125, v143
	v_ashrrev_i32_e32 v121, 31, v120
	v_add_co_ci_u32_e32 v125, vcc_lo, 0, v127, vcc_lo
	s_delay_alu instid0(VALU_DEP_4) | instskip(SKIP_1) | instid1(VALU_DEP_4)
	v_add_co_u32 v127, vcc_lo, s1, v122
	v_add_co_ci_u32_e32 v123, vcc_lo, s2, v123, vcc_lo
	v_lshlrev_b64 v[121:122], 2, v[120:121]
	v_add_nc_u32_e32 v120, s3, v126
	s_delay_alu instid0(VALU_DEP_4)
	v_add_co_u32 v128, vcc_lo, v127, v147
	v_ashrrev_i32_e32 v127, 31, v126
	v_add_co_ci_u32_e32 v129, vcc_lo, 0, v123, vcc_lo
	v_add_co_u32 v130, vcc_lo, s1, v121
	v_ashrrev_i32_e32 v121, 31, v120
	v_add_co_ci_u32_e32 v131, vcc_lo, s2, v122, vcc_lo
	v_lshlrev_b64 v[122:123], 2, v[126:127]
	s_delay_alu instid0(VALU_DEP_4) | instskip(NEXT) | instid1(VALU_DEP_4)
	v_add_co_u32 v130, vcc_lo, v130, v147
	v_lshlrev_b64 v[120:121], 2, v[120:121]
	s_delay_alu instid0(VALU_DEP_4) | instskip(NEXT) | instid1(VALU_DEP_4)
	v_add_co_ci_u32_e32 v131, vcc_lo, 0, v131, vcc_lo
	v_add_co_u32 v122, vcc_lo, s1, v122
	v_add_co_ci_u32_e32 v123, vcc_lo, s2, v123, vcc_lo
	s_delay_alu instid0(VALU_DEP_4) | instskip(SKIP_1) | instid1(VALU_DEP_4)
	v_add_co_u32 v120, vcc_lo, s1, v120
	v_add_co_ci_u32_e32 v121, vcc_lo, s2, v121, vcc_lo
	v_add_co_u32 v132, vcc_lo, v122, v147
	s_delay_alu instid0(VALU_DEP_4) | instskip(NEXT) | instid1(VALU_DEP_4)
	v_add_co_ci_u32_e32 v133, vcc_lo, 0, v123, vcc_lo
	v_add_co_u32 v136, vcc_lo, v120, v147
	s_delay_alu instid0(VALU_DEP_4)
	v_add_co_ci_u32_e32 v137, vcc_lo, 0, v121, vcc_lo
	s_clause 0x6
	global_load_b128 v[112:115], v[112:113], off offset:192
	global_load_b128 v[116:119], v[118:119], off offset:128
	;; [unrolled: 1-line block ×3, first 2 shown]
	global_load_b128 v[124:127], v[128:129], off
	global_load_b128 v[128:131], v[130:131], off
	;; [unrolled: 1-line block ×4, first 2 shown]
	s_mul_hi_i32 s1, s0, s10
	s_mul_i32 s0, s0, s10
	v_mul_u32_u24_e32 v152, 0xf0, v146
	s_lshl_b64 s[0:1], s[0:1], 2
	v_add3_u32 v163, 0, v142, v145
	s_add_u32 s0, s9, s0
	s_addc_u32 s1, s11, s1
	s_lshl_b32 s2, s10, 3
	v_add3_u32 v218, 0, v152, v143
	v_add_nc_u32_e32 v153, s2, v141
	v_ashrrev_i32_e32 v141, 31, v140
	v_add_co_u32 v142, vcc_lo, s0, v149
	v_ashrrev_i32_e32 v152, 31, v151
	v_add_co_ci_u32_e32 v144, vcc_lo, s1, v150, vcc_lo
	s_delay_alu instid0(VALU_DEP_4)
	v_lshlrev_b64 v[140:141], 2, v[140:141]
	v_ashrrev_i32_e32 v154, 31, v153
	v_lshl_add_u32 v149, s10, 4, v151
	v_add_co_u32 v194, vcc_lo, v142, v147
	v_lshlrev_b64 v[151:152], 2, v[151:152]
	v_add_co_ci_u32_e32 v195, vcc_lo, 0, v144, vcc_lo
	v_add_nc_u32_e32 v164, s2, v153
	v_lshlrev_b64 v[153:154], 2, v[153:154]
	v_add_co_u32 v142, vcc_lo, s0, v140
	v_add_co_ci_u32_e32 v161, vcc_lo, s1, v141, vcc_lo
	v_add_co_u32 v151, vcc_lo, s0, v151
	v_ashrrev_i32_e32 v150, 31, v149
	v_add_co_ci_u32_e32 v152, vcc_lo, s1, v152, vcc_lo
	v_add_co_u32 v153, vcc_lo, s0, v153
	v_add_co_ci_u32_e32 v154, vcc_lo, s1, v154, vcc_lo
	s_delay_alu instid0(VALU_DEP_4)
	v_lshlrev_b64 v[149:150], 2, v[149:150]
	v_add_co_u32 v144, vcc_lo, v142, v145
	v_ashrrev_i32_e32 v165, 31, v164
	v_add_nc_u32_e32 v166, s2, v164
	v_add_co_ci_u32_e32 v145, vcc_lo, 0, v161, vcc_lo
	v_add_co_u32 v151, vcc_lo, v151, v143
	v_add_co_ci_u32_e32 v152, vcc_lo, 0, v152, vcc_lo
	v_lshlrev_b64 v[140:141], 2, v[164:165]
	v_add_co_u32 v142, vcc_lo, s0, v149
	v_ashrrev_i32_e32 v167, 31, v166
	v_add_co_ci_u32_e32 v161, vcc_lo, s1, v150, vcc_lo
	v_add_co_u32 v153, vcc_lo, v153, v147
	v_and_b32_e32 v148, 16, v221
	v_add_co_ci_u32_e32 v154, vcc_lo, 0, v154, vcc_lo
	v_lshlrev_b64 v[149:150], 2, v[166:167]
	v_add_co_u32 v140, vcc_lo, s0, v140
	v_add_co_ci_u32_e32 v141, vcc_lo, s1, v141, vcc_lo
	v_add_co_u32 v188, vcc_lo, v142, v143
	v_mad_u32_u24 v157, 0xf0, v148, 0
	v_add_co_ci_u32_e32 v189, vcc_lo, 0, v161, vcc_lo
	v_add_co_u32 v142, vcc_lo, s0, v149
	v_add_co_ci_u32_e32 v143, vcc_lo, s1, v150, vcc_lo
	s_delay_alu instid0(VALU_DEP_4)
	v_add_nc_u32_e32 v146, v157, v162
	v_add_co_u32 v196, vcc_lo, v140, v147
	v_add_co_ci_u32_e32 v197, vcc_lo, 0, v141, vcc_lo
	v_add3_u32 v219, 0, v159, v147
	v_add_co_u32 v198, vcc_lo, v142, v147
	v_add_co_ci_u32_e32 v199, vcc_lo, 0, v143, vcc_lo
	v_lshlrev_b32_e32 v148, 1, v148
	v_mbcnt_lo_u32_b32 v162, -1, 0
	v_cmp_eq_u32_e64 s0, 0, v160
	v_cmp_eq_u32_e64 s1, 1, v158
	;; [unrolled: 1-line block ×3, first 2 shown]
	s_waitcnt vmcnt(6)
	ds_store_b128 v163, v[112:115] offset:192
	s_waitcnt vmcnt(5)
	ds_store_b128 v218, v[116:119] offset:128
	;; [unrolled: 2-line block ×3, first 2 shown]
	s_waitcnt vmcnt(3)
	ds_store_b128 v219, v[124:127]
	s_waitcnt vmcnt(2)
	ds_store_b128 v219, v[128:131] offset:1920
	s_waitcnt vmcnt(1)
	ds_store_b128 v219, v[132:135] offset:3840
	;; [unrolled: 2-line block ×3, first 2 shown]
	s_waitcnt lgkmcnt(0)
	s_waitcnt_vscnt null, 0x0
	s_barrier
	buffer_gl0_inv
	ds_load_b128 v[112:115], v146
	ds_load_b128 v[116:119], v146 offset:16
	ds_load_b128 v[120:123], v146 offset:32
	;; [unrolled: 1-line block ×13, first 2 shown]
	s_waitcnt lgkmcnt(0)
	s_barrier
	buffer_gl0_inv
	s_clause 0x6
	global_load_b128 v[144:147], v[144:145], off offset:192
	global_load_b128 v[149:152], v[151:152], off offset:128
	;; [unrolled: 1-line block ×3, first 2 shown]
	global_load_b128 v[202:205], v[194:195], off
	global_load_b128 v[206:209], v[153:154], off
	;; [unrolled: 1-line block ×4, first 2 shown]
	scratch_load_b32 v153, off, off         ; 4-byte Folded Reload
	v_mov_b32_e32 v194, 0
	s_delay_alu instid0(VALU_DEP_1)
	v_mov_b32_e32 v195, v194
	v_mov_b32_e32 v196, v194
	;; [unrolled: 1-line block ×7, first 2 shown]
	s_delay_alu instid0(VALU_DEP_1) | instskip(SKIP_1) | instid1(VALU_DEP_2)
	v_wmma_f32_16x16x16_f16 v[194:201], v[112:119], v[32:39], v[194:201]
	v_lshl_add_u32 v115, v155, 1, v157
	v_wmma_f32_16x16x16_f16 v[194:201], v[120:127], v[24:31], v[194:201]
	s_delay_alu instid0(VALU_DEP_1) | instskip(NEXT) | instid1(VALU_DEP_1)
	v_wmma_f32_16x16x16_f16 v[194:201], v[128:135], v[48:55], v[194:201]
	v_wmma_f32_16x16x16_f16 v[194:201], v[136:143], v[56:63], v[194:201]
	s_delay_alu instid0(VALU_DEP_1) | instskip(NEXT) | instid1(VALU_DEP_1)
	v_wmma_f32_16x16x16_f16 v[194:201], v[164:171], v[64:71], v[194:201]
	v_wmma_f32_16x16x16_f16 v[194:201], v[172:179], v[80:87], v[194:201]
	s_delay_alu instid0(VALU_DEP_1) | instskip(SKIP_3) | instid1(VALU_DEP_1)
	v_wmma_f32_16x16x16_f16 v[194:201], v[180:187], v[72:79], v[194:201]
	v_lshlrev_b32_e32 v159, 1, v158
	s_waitcnt vmcnt(0)
	v_lshrrev_b32_e32 v153, 3, v153
	v_mad_u32_u24 v153, 0x50, v153, 0
	s_delay_alu instid0(VALU_DEP_1)
	v_add3_u32 v32, v153, v148, v159
	ds_load_u16 v24, v32 offset:7680
	ds_load_u16 v25, v32 offset:7684
	;; [unrolled: 1-line block ×8, first 2 shown]
	v_xor_b32_e32 v32, 16, v162
	ds_store_b128 v163, v[144:147] offset:192
	ds_store_b128 v218, v[149:152] offset:128
	;; [unrolled: 1-line block ×3, first 2 shown]
	ds_store_b128 v219, v[202:205]
	ds_store_b128 v219, v[206:209] offset:1920
	ds_store_b128 v219, v[210:213] offset:3840
	;; [unrolled: 1-line block ×3, first 2 shown]
	s_waitcnt lgkmcnt(0)
	s_barrier
	buffer_gl0_inv
	v_cmp_gt_i32_e32 vcc_lo, 32, v32
	v_cvt_f32_f16_e32 v24, v24
	v_cvt_f32_f16_e32 v25, v25
	v_cvt_f32_f16_e32 v26, v26
	v_cvt_f32_f16_e32 v27, v27
	v_cvt_f32_f16_e32 v30, v30
	s_delay_alu instid0(VALU_DEP_4) | instskip(SKIP_3) | instid1(VALU_DEP_4)
	v_dual_add_f32 v24, v194, v24 :: v_dual_add_f32 v25, v195, v25
	v_cvt_f32_f16_e32 v28, v28
	v_cvt_f32_f16_e32 v29, v29
	v_dual_add_f32 v26, v196, v26 :: v_dual_add_f32 v27, v197, v27
	v_dual_add_f32 v33, 0x40051340, v24 :: v_dual_add_f32 v30, v200, v30
	v_add_f32_e32 v34, 0x40051340, v25
	v_cvt_f32_f16_e32 v31, v31
	v_dual_add_f32 v28, v198, v28 :: v_dual_add_f32 v29, v199, v29
	v_dual_add_f32 v35, 0x40051340, v26 :: v_dual_add_f32 v36, 0x40051340, v27
	s_delay_alu instid0(VALU_DEP_4) | instskip(NEXT) | instid1(VALU_DEP_3)
	v_max3_f32 v33, v193, v33, v34
	v_dual_add_f32 v31, v201, v31 :: v_dual_add_f32 v34, 0x40051340, v28
	s_delay_alu instid0(VALU_DEP_4) | instskip(NEXT) | instid1(VALU_DEP_3)
	v_dual_add_f32 v37, 0x40051340, v29 :: v_dual_cndmask_b32 v32, v162, v32
	v_max3_f32 v33, v33, v35, v36
	s_delay_alu instid0(VALU_DEP_3) | instskip(NEXT) | instid1(VALU_DEP_3)
	v_dual_add_f32 v35, 0x40051340, v30 :: v_dual_add_f32 v36, 0x40051340, v31
	v_lshlrev_b32_e32 v120, 2, v32
	s_delay_alu instid0(VALU_DEP_3) | instskip(NEXT) | instid1(VALU_DEP_1)
	v_max3_f32 v33, v33, v34, v37
	v_max3_f32 v32, v33, v35, v36
	ds_bpermute_b32 v33, v120, v32
	s_waitcnt lgkmcnt(0)
	v_max_f32_e32 v33, v33, v33
	s_delay_alu instid0(VALU_DEP_1) | instskip(NEXT) | instid1(VALU_DEP_1)
	v_max_f32_e32 v121, v32, v33
	v_sub_f32_e32 v27, v27, v121
	v_sub_f32_e32 v32, v193, v121
	;; [unrolled: 1-line block ×6, first 2 shown]
	v_dual_mul_f32 v49, 0x3fb8aa3b, v32 :: v_dual_sub_f32 v28, v28, v121
	v_dual_mul_f32 v39, 0x3fb8aa3b, v30 :: v_dual_sub_f32 v24, v24, v121
	s_delay_alu instid0(VALU_DEP_2) | instskip(NEXT) | instid1(VALU_DEP_3)
	v_rndne_f32_e32 v67, v49
	v_dual_mul_f32 v37, 0x3fb8aa3b, v28 :: v_dual_sub_f32 v26, v26, v121
	s_delay_alu instid0(VALU_DEP_3) | instskip(NEXT) | instid1(VALU_DEP_4)
	v_mul_f32_e32 v33, 0x3fb8aa3b, v24
	v_rndne_f32_e32 v63, v39
	v_fma_f32 v62, 0x3fb8aa3b, v30, -v39
	v_cmp_ngt_f32_e32 vcc_lo, 0xc2ce8ed0, v24
	v_mul_f32_e32 v35, 0x3fb8aa3b, v26
	v_fma_f32 v50, 0x3fb8aa3b, v24, -v33
	v_rndne_f32_e32 v51, v33
	v_dual_mul_f32 v34, 0x3fb8aa3b, v25 :: v_dual_sub_f32 v39, v39, v63
	s_delay_alu instid0(VALU_DEP_4) | instskip(NEXT) | instid1(VALU_DEP_3)
	v_fma_f32 v54, 0x3fb8aa3b, v26, -v35
	v_dual_fmac_f32 v50, 0x32a5705f, v24 :: v_dual_sub_f32 v33, v33, v51
	v_cvt_i32_f32_e32 v51, v51
	v_rndne_f32_e32 v55, v35
	v_fma_f32 v52, 0x3fb8aa3b, v25, -v34
	v_rndne_f32_e32 v53, v34
	v_add_f32_e32 v33, v33, v50
	v_cvt_i32_f32_e32 v50, v67
	v_sub_f32_e32 v35, v35, v55
	v_fma_f32 v66, 0x3fb8aa3b, v32, -v49
	v_dual_fmac_f32 v52, 0x32a5705f, v25 :: v_dual_sub_f32 v49, v49, v67
	v_exp_f32_e32 v33, v33
	v_cvt_i32_f32_e32 v55, v55
	s_delay_alu instid0(VALU_DEP_3)
	v_fmac_f32_e32 v66, 0x32a5705f, v32
	v_fma_f32 v58, 0x3fb8aa3b, v28, -v37
	v_rndne_f32_e32 v59, v37
	v_mul_f32_e32 v38, 0x3fb8aa3b, v29
	v_cvt_i32_f32_e32 v63, v63
	v_add_f32_e32 v49, v49, v66
	s_delay_alu instid0(VALU_DEP_4) | instskip(NEXT) | instid1(TRANS32_DEP_1)
	v_sub_f32_e32 v37, v37, v59
	v_ldexp_f32 v33, v33, v51
	v_fmac_f32_e32 v54, 0x32a5705f, v26
	s_delay_alu instid0(VALU_DEP_4)
	v_exp_f32_e32 v49, v49
	v_fma_f32 v60, 0x3fb8aa3b, v29, -v38
	v_rndne_f32_e32 v61, v38
	v_dual_cndmask_b32 v33, 0, v33 :: v_dual_mul_f32 v36, 0x3fb8aa3b, v27
	v_add_f32_e32 v35, v35, v54
	v_cmp_ngt_f32_e32 vcc_lo, 0xc2ce8ed0, v25
	v_cvt_i32_f32_e32 v59, v59
	s_delay_alu instid0(VALU_DEP_4) | instskip(NEXT) | instid1(TRANS32_DEP_1)
	v_fma_f32 v56, 0x3fb8aa3b, v27, -v36
	v_ldexp_f32 v49, v49, v50
	v_fmac_f32_e32 v62, 0x32a5705f, v30
	v_sub_f32_e32 v34, v34, v53
	v_cvt_i32_f32_e32 v53, v53
	v_fmac_f32_e32 v56, 0x32a5705f, v27
	v_exp_f32_e32 v35, v35
	s_delay_alu instid0(VALU_DEP_3) | instskip(SKIP_1) | instid1(VALU_DEP_2)
	v_dual_add_f32 v39, v39, v62 :: v_dual_add_f32 v34, v34, v52
	v_rndne_f32_e32 v57, v36
	v_exp_f32_e32 v39, v39
	s_delay_alu instid0(VALU_DEP_2) | instskip(NEXT) | instid1(TRANS32_DEP_3)
	v_exp_f32_e32 v34, v34
	v_ldexp_f32 v35, v35, v55
	s_waitcnt_depctr 0xfff
	v_ldexp_f32 v39, v39, v63
	v_ldexp_f32 v34, v34, v53
	v_fmac_f32_e32 v60, 0x32a5705f, v29
	s_delay_alu instid0(VALU_DEP_2)
	v_cndmask_b32_e32 v34, 0, v34, vcc_lo
	v_cmp_ngt_f32_e32 vcc_lo, 0xc2ce8ed0, v26
	v_sub_f32_e32 v36, v36, v57
	v_cvt_i32_f32_e32 v57, v57
	v_sub_f32_e32 v38, v38, v61
	v_cvt_i32_f32_e32 v61, v61
	s_delay_alu instid0(VALU_DEP_4) | instskip(SKIP_1) | instid1(VALU_DEP_4)
	v_dual_cndmask_b32 v35, 0, v35 :: v_dual_add_f32 v36, v36, v56
	v_cmp_ngt_f32_e32 vcc_lo, 0xc2ce8ed0, v27
	v_add_f32_e32 v38, v38, v60
	s_delay_alu instid0(VALU_DEP_3) | instskip(NEXT) | instid1(VALU_DEP_1)
	v_exp_f32_e32 v36, v36
	v_exp_f32_e32 v38, v38
	s_waitcnt_depctr 0xfff
	v_ldexp_f32 v36, v36, v57
	v_ldexp_f32 v38, v38, v61
	s_delay_alu instid0(VALU_DEP_2) | instskip(SKIP_2) | instid1(VALU_DEP_1)
	v_cndmask_b32_e32 v36, 0, v36, vcc_lo
	v_cmp_ngt_f32_e32 vcc_lo, 0xc2ce8ed0, v28
	v_fmac_f32_e32 v58, 0x32a5705f, v28
	v_dual_mul_f32 v48, 0x3fb8aa3b, v31 :: v_dual_add_f32 v37, v37, v58
	s_delay_alu instid0(VALU_DEP_1) | instskip(SKIP_1) | instid1(VALU_DEP_3)
	v_fma_f32 v64, 0x3fb8aa3b, v31, -v48
	v_rndne_f32_e32 v65, v48
	v_exp_f32_e32 v37, v37
	s_delay_alu instid0(VALU_DEP_2) | instskip(NEXT) | instid1(VALU_DEP_2)
	v_fmac_f32_e32 v64, 0x32a5705f, v31
	v_sub_f32_e32 v48, v48, v65
	v_cvt_i32_f32_e32 v65, v65
	s_delay_alu instid0(VALU_DEP_2) | instskip(SKIP_3) | instid1(VALU_DEP_1)
	v_add_f32_e32 v48, v48, v64
	s_waitcnt_depctr 0xfff
	v_ldexp_f32 v37, v37, v59
	v_exp_f32_e32 v48, v48
	v_cndmask_b32_e32 v37, 0, v37, vcc_lo
	v_cmp_ngt_f32_e32 vcc_lo, 0xc2ce8ed0, v29
	v_cndmask_b32_e32 v38, 0, v38, vcc_lo
	v_cmp_ngt_f32_e32 vcc_lo, 0xc2ce8ed0, v30
	s_waitcnt_depctr 0xfff
	v_ldexp_f32 v48, v48, v65
	v_cndmask_b32_e32 v39, 0, v39, vcc_lo
	v_cmp_ngt_f32_e32 vcc_lo, 0xc2ce8ed0, v31
	s_delay_alu instid0(VALU_DEP_3)
	v_cndmask_b32_e32 v48, 0, v48, vcc_lo
	v_cmp_ngt_f32_e32 vcc_lo, 0xc2ce8ed0, v32
	v_cndmask_b32_e32 v49, 0, v49, vcc_lo
	v_cmp_nlt_f32_e32 vcc_lo, 0x42b17218, v24
	v_cndmask_b32_e32 v68, 0x7f800000, v33, vcc_lo
	v_cmp_nlt_f32_e32 vcc_lo, 0x42b17218, v25
	;; [unrolled: 2-line block ×3, first 2 shown]
	s_delay_alu instid0(VALU_DEP_2)
	v_dual_add_f32 v25, v68, v69 :: v_dual_cndmask_b32 v70, 0x7f800000, v35
	v_cmp_nlt_f32_e32 vcc_lo, 0x42b17218, v27
	ds_bpermute_b32 v77, v120, v69
	v_cndmask_b32_e32 v71, 0x7f800000, v36, vcc_lo
	v_cmp_nlt_f32_e32 vcc_lo, 0x42b17218, v28
	ds_bpermute_b32 v87, v120, v71
	v_cndmask_b32_e32 v112, 0x7f800000, v37, vcc_lo
	v_cmp_nlt_f32_e32 vcc_lo, 0x42b17218, v29
	v_cndmask_b32_e32 v113, 0x7f800000, v38, vcc_lo
	v_cmp_nlt_f32_e32 vcc_lo, 0x42b17218, v30
	ds_bpermute_b32 v119, v120, v113
	v_cndmask_b32_e32 v114, 0x7f800000, v39, vcc_lo
	v_cmp_nlt_f32_e32 vcc_lo, 0x42b17218, v32
	v_cndmask_b32_e32 v24, 0x7f800000, v49, vcc_lo
	v_cmp_nlt_f32_e32 vcc_lo, 0x42b17218, v31
	v_cndmask_b32_e32 v116, 0x7f800000, v48, vcc_lo
	v_cmp_le_f32_e32 vcc_lo, 0xc1a00000, v32
	s_delay_alu instid0(VALU_DEP_4) | instskip(SKIP_1) | instid1(VALU_DEP_2)
	v_cndmask_b32_e32 v117, 0, v24, vcc_lo
	v_cmp_eq_u32_e32 vcc_lo, 1, v160
	v_mul_f32_e32 v35, v91, v117
	v_mul_f32_e32 v55, v103, v117
	v_add_f32_e32 v78, v70, v25
	v_mul_f32_e32 v31, v47, v117
	v_mul_f32_e32 v63, v111, v117
	;; [unrolled: 1-line block ×3, first 2 shown]
	ds_bpermute_b32 v79, v120, v70
	v_add_f32_e32 v47, v71, v78
	ds_bpermute_b32 v76, v120, v68
	v_mul_f32_e32 v30, v46, v117
	v_mul_f32_e32 v48, v96, v117
	;; [unrolled: 1-line block ×4, first 2 shown]
	v_add_f32_e32 v47, v112, v47
	ds_bpermute_b32 v124, v120, v116
	v_mul_f32_e32 v25, v41, v117
	v_mul_f32_e32 v57, v105, v117
	;; [unrolled: 1-line block ×3, first 2 shown]
	v_add_f32_e32 v129, v113, v47
	ds_bpermute_b32 v118, v120, v112
	v_mul_f32_e32 v33, v89, v117
	v_mul_f32_e32 v26, v42, v117
	;; [unrolled: 1-line block ×3, first 2 shown]
	v_add_f32_e32 v129, v114, v129
	v_mul_f32_e32 v51, v99, v117
	v_mul_f32_e32 v34, v90, v117
	;; [unrolled: 1-line block ×3, first 2 shown]
	ds_bpermute_b32 v123, v120, v114
	s_waitcnt lgkmcnt(3)
	v_cndmask_b32_e32 v111, v68, v76, vcc_lo
	v_cndmask_b32_e64 v122, v68, v76, s0
	v_mul_f32_e32 v59, v107, v117
	v_mul_f32_e32 v52, v100, v117
	;; [unrolled: 1-line block ×3, first 2 shown]
	v_cndmask_b32_e64 v44, v111, v69, s1
	v_cndmask_b32_e64 v46, v122, v69, s2
	v_cvt_f16_f32_e64 v133, v111
	v_mul_f32_e32 v29, v45, v117
	v_mul_f32_e32 v61, v109, v117
	v_cndmask_b32_e32 v125, v44, v77, vcc_lo
	v_cndmask_b32_e64 v126, v46, v77, s0
	v_mul_f32_e32 v53, v101, v117
	v_mul_f32_e32 v62, v110, v117
	;; [unrolled: 1-line block ×3, first 2 shown]
	v_cndmask_b32_e64 v46, v125, v70, s1
	v_mul_f32_e32 v56, v104, v117
	ds_load_u16 v64, v115
	ds_load_u16 v40, v115 offset:32
	ds_load_u16 v72, v115 offset:64
	ds_load_u16 v80, v115 offset:96
	ds_load_u16 v88, v115 offset:128
	ds_load_u16 v96, v115 offset:160
	ds_load_u16 v65, v115 offset:480
	ds_load_u16 v104, v115 offset:192
	v_cndmask_b32_e64 v86, v126, v70, s2
	ds_load_u16 v41, v115 offset:512
	v_cndmask_b32_e32 v127, v46, v79, vcc_lo
	ds_load_u16 v73, v115 offset:544
	ds_load_u16 v81, v115 offset:576
	;; [unrolled: 1-line block ×4, first 2 shown]
	s_waitcnt lgkmcnt(12)
	ds_load_u16_d16_hi v64, v115 offset:240
	s_waitcnt lgkmcnt(12)
	ds_load_u16_d16_hi v40, v115 offset:272
	;; [unrolled: 2-line block ×7, first 2 shown]
	ds_load_u16 v66, v115 offset:960
	s_waitcnt lgkmcnt(12)
	ds_load_u16_d16_hi v41, v115 offset:752
	ds_load_u16_d16_hi v65, v115 offset:720
	ds_load_u16 v105, v115 offset:672
	ds_load_u16 v42, v115 offset:992
	ds_load_u16 v74, v115 offset:1024
	v_cndmask_b32_e64 v128, v86, v79, s0
	v_cndmask_b32_e64 v79, v127, v71, s1
	v_mul_f32_e32 v37, v93, v117
	ds_load_u16 v82, v115 offset:1056
	v_mul_f32_e32 v38, v94, v117
	v_cndmask_b32_e64 v71, v128, v71, s2
	v_cndmask_b32_e32 v130, v79, v87, vcc_lo
	v_cvt_f16_f32_e32 v127, v127
	v_mul_f32_e32 v16, v16, v117
	v_mul_f32_e32 v17, v17, v117
	v_cndmask_b32_e64 v131, v71, v87, s0
	v_mul_f32_e32 v18, v18, v117
	v_mul_f32_e32 v19, v19, v117
	;; [unrolled: 1-line block ×4, first 2 shown]
	v_cndmask_b32_e64 v132, v131, v112, s2
	v_cndmask_b32_e64 v112, v130, v112, s1
	v_mul_f32_e32 v39, v95, v117
	v_mul_f32_e32 v22, v22, v117
	;; [unrolled: 1-line block ×3, first 2 shown]
	v_cndmask_b32_e64 v132, v132, v118, s0
	v_cndmask_b32_e32 v118, v112, v118, vcc_lo
	v_cvt_f16_f32_e32 v112, v122
	v_add_f32_e32 v122, v116, v129
	v_mul_f32_e32 v8, v8, v117
	v_cndmask_b32_e64 v129, v132, v113, s2
	v_cndmask_b32_e64 v113, v118, v113, s1
	v_mul_f32_e32 v58, v106, v117
	ds_load_u16 v90, v115 offset:1088
	ds_load_u16 v98, v115 offset:1120
	s_waitcnt lgkmcnt(19)
	ds_load_u16_d16_hi v73, v115 offset:784
	s_waitcnt lgkmcnt(19)
	ds_load_u16_d16_hi v81, v115 offset:816
	s_waitcnt lgkmcnt(19)
	ds_load_u16_d16_hi v89, v115 offset:848
	s_waitcnt lgkmcnt(19)
	ds_load_u16_d16_hi v97, v115 offset:880
	s_waitcnt lgkmcnt(9)
	ds_load_u16_d16_hi v105, v115 offset:912
	s_waitcnt lgkmcnt(9)
	ds_load_u16_d16_hi v42, v115 offset:1232
	s_waitcnt lgkmcnt(9)
	ds_load_u16_d16_hi v74, v115 offset:1264
	ds_load_u16 v67, v115 offset:1440
	s_waitcnt lgkmcnt(10)
	ds_load_u16_d16_hi v82, v115 offset:1296
	ds_load_u16_d16_hi v66, v115 offset:1200
	ds_load_u16 v106, v115 offset:1152
	ds_load_u16 v43, v115 offset:1472
	;; [unrolled: 1-line block ×7, first 2 shown]
	v_cndmask_b32_e64 v129, v129, v119, s0
	v_cndmask_b32_e32 v119, v113, v119, vcc_lo
	v_pack_b32_f16 v112, v112, v133
	v_cvt_f16_f32_e32 v113, v125
	v_cvt_f16_f32_e64 v125, v128
	v_cndmask_b32_e64 v128, v129, v114, s2
	v_cndmask_b32_e64 v133, v119, v114, s1
	v_mul_f32_e32 v60, v108, v117
	ds_load_u16 v69, v115 offset:2400
	ds_load_u16 v45, v115 offset:2432
	s_waitcnt lgkmcnt(20)
	ds_load_u16_d16_hi v90, v115 offset:1328
	s_waitcnt lgkmcnt(20)
	ds_load_u16_d16_hi v98, v115 offset:1360
	;; [unrolled: 2-line block ×8, first 2 shown]
	ds_load_u16_d16_hi v67, v115 offset:1680
	ds_load_u16 v107, v115 offset:1632
	ds_load_u16 v44, v115 offset:1952
	;; [unrolled: 1-line block ×6, first 2 shown]
	s_waitcnt lgkmcnt(17)
	ds_load_u16_d16_hi v68, v115 offset:2160
	ds_load_u16 v108, v115 offset:2112
	ds_load_u16 v77, v115 offset:2464
	;; [unrolled: 1-line block ×6, first 2 shown]
	s_waitcnt lgkmcnt(22)
	ds_load_u16_d16_hi v45, v115 offset:2672
	s_waitcnt lgkmcnt(13)
	ds_load_u16_d16_hi v107, v115 offset:1872
	;; [unrolled: 2-line block ×8, first 2 shown]
	ds_load_u16_d16_hi v69, v115 offset:2640
	ds_load_u16 v109, v115 offset:2592
	ds_load_u16 v46, v115 offset:2912
	;; [unrolled: 1-line block ×6, first 2 shown]
	s_waitcnt lgkmcnt(19)
	ds_load_u16_d16_hi v77, v115 offset:2704
	s_waitcnt lgkmcnt(19)
	ds_load_u16_d16_hi v85, v115 offset:2736
	;; [unrolled: 2-line block ×7, first 2 shown]
	ds_load_u16 v71, v115 offset:3360
	s_waitcnt lgkmcnt(10)
	ds_load_u16_d16_hi v86, v115 offset:3216
	ds_load_u16_d16_hi v70, v115 offset:3120
	ds_load_u16 v110, v115 offset:3072
	ds_load_u16 v47, v115 offset:3392
	;; [unrolled: 1-line block ×6, first 2 shown]
	s_waitcnt lgkmcnt(17)
	ds_load_u16_d16_hi v94, v115 offset:3248
	s_waitcnt lgkmcnt(17)
	ds_load_u16_d16_hi v102, v115 offset:3280
	;; [unrolled: 2-line block ×8, first 2 shown]
	ds_load_u16_d16_hi v71, v115 offset:3600
	ds_load_u16 v111, v115 offset:3552
	v_mul_f32_e32 v9, v9, v117
	v_mul_f32_e32 v10, v10, v117
	;; [unrolled: 1-line block ×15, first 2 shown]
	v_fmac_f32_e32 v122, v192, v117
	v_pack_b32_f16 v114, v125, v127
	v_cndmask_b32_e32 v125, v133, v123, vcc_lo
	v_cndmask_b32_e64 v117, v128, v123, s0
	v_cvt_f16_f32_e64 v127, v130
	s_waitcnt lgkmcnt(0)
	ds_load_u16_d16_hi v111, v115 offset:3792
	ds_bpermute_b32 v123, v120, v122
	v_cvt_f16_f32_e32 v126, v126
	v_cndmask_b32_e64 v130, v117, v116, s2
	v_cndmask_b32_e64 v116, v125, v116, s1
	v_cvt_f16_f32_e64 v128, v132
	v_cvt_f16_f32_e32 v118, v118
	v_pack_b32_f16 v113, v126, v113
	v_cndmask_b32_e64 v115, v130, v124, s0
	v_cndmask_b32_e32 v116, v116, v124, vcc_lo
	v_cvt_f16_f32_e64 v126, v131
	v_cvt_f16_f32_e64 v129, v129
	v_cvt_f16_f32_e32 v119, v119
	v_cvt_f16_f32_e32 v124, v117
	;; [unrolled: 1-line block ×3, first 2 shown]
	v_cvt_f16_f32_e64 v130, v115
	v_cvt_f16_f32_e64 v131, v116
	v_pack_b32_f16 v115, v126, v127
	v_pack_b32_f16 v116, v128, v118
	;; [unrolled: 1-line block ×5, first 2 shown]
	v_cmp_gt_u32_e64 s0, 16, v220
	s_waitcnt lgkmcnt(0)
	s_barrier
	buffer_gl0_inv
	s_and_saveexec_b32 s1, s0
	s_cbranch_execz .LBB19_499
; %bb.498:
	v_or_b32_e32 v124, v221, v220
	v_add_f32_e32 v122, v122, v123
	s_delay_alu instid0(VALU_DEP_2)
	v_mad_u32_u24 v124, 0xf0, v124, 0
	ds_store_2addr_b32 v124, v121, v122 offset0:56 offset1:57
.LBB19_499:
	s_or_b32 exec_lo, exec_lo, s1
	scratch_load_b32 v121, off, off offset:708 ; 4-byte Folded Reload
	s_waitcnt vmcnt(0) lgkmcnt(0)
	s_barrier
	buffer_gl0_inv
	v_cmp_eq_u32_e32 vcc_lo, 0, v121
	v_cmp_eq_u32_e64 s1, 1, v121
	s_delay_alu instid0(VALU_DEP_1) | instskip(NEXT) | instid1(SALU_CYCLE_1)
	s_and_saveexec_b32 s2, s1
	s_xor_b32 s1, exec_lo, s2
	s_cbranch_execz .LBB19_501
; %bb.500:
	s_barrier
	buffer_gl0_inv
                                        ; implicit-def: $vgpr120
                                        ; implicit-def: $vgpr156
.LBB19_501:
	s_or_saveexec_b32 s2, s1
	v_wmma_f32_16x16x16_f16 v[56:63], v[64:71], v[112:119], v[56:63]
	v_wmma_f32_16x16x16_f16 v[48:55], v[40:47], v[112:119], v[48:55]
	;; [unrolled: 1-line block ×7, first 2 shown]
	s_xor_b32 exec_lo, exec_lo, s2
	s_cbranch_execz .LBB19_505
; %bb.502:
	v_add_nc_u32_e32 v40, v221, v220
	s_delay_alu instid0(VALU_DEP_1)
	v_mad_u32_u24 v44, 0xf0, v40, 0
	ds_load_b64 v[42:43], v44 offset:224
	s_waitcnt lgkmcnt(0)
	s_barrier
	buffer_gl0_inv
	v_max_f32_e32 v41, v42, v42
	ds_bpermute_b32 v40, v120, v42
	s_waitcnt lgkmcnt(0)
	v_max_f32_e32 v40, v40, v40
	s_delay_alu instid0(VALU_DEP_1) | instskip(NEXT) | instid1(VALU_DEP_1)
	v_max_f32_e32 v40, v41, v40
	v_sub_f32_e32 v41, v42, v40
	s_delay_alu instid0(VALU_DEP_1) | instskip(SKIP_1) | instid1(VALU_DEP_2)
	v_mul_f32_e32 v42, 0x3fb8aa3b, v41
	v_cmp_ngt_f32_e64 s1, 0xc2ce8ed0, v41
	v_fma_f32 v45, 0x3fb8aa3b, v41, -v42
	v_rndne_f32_e32 v46, v42
	s_delay_alu instid0(VALU_DEP_1) | instskip(NEXT) | instid1(VALU_DEP_1)
	v_dual_fmamk_f32 v45, v41, 0x32a5705f, v45 :: v_dual_sub_f32 v42, v42, v46
	v_add_f32_e32 v42, v42, v45
	v_cvt_i32_f32_e32 v45, v46
	s_delay_alu instid0(VALU_DEP_2) | instskip(SKIP_2) | instid1(VALU_DEP_1)
	v_exp_f32_e32 v42, v42
	s_waitcnt_depctr 0xfff
	v_ldexp_f32 v42, v42, v45
	v_cndmask_b32_e64 v42, 0, v42, s1
	v_cmp_nlt_f32_e64 s1, 0x42b17218, v41
	s_delay_alu instid0(VALU_DEP_1) | instskip(SKIP_1) | instid1(VALU_DEP_1)
	v_cndmask_b32_e64 v41, 0x7f800000, v42, s1
	s_mov_b32 s1, 0
	v_mul_f32_e32 v42, v43, v41
	ds_bpermute_b32 v42, v120, v42
	s_waitcnt lgkmcnt(0)
	v_fmac_f32_e32 v42, v43, v41
	ds_store_b64 v44, v[41:42] offset:224
	s_and_saveexec_b32 s3, s0
	s_cbranch_execz .LBB19_504
; %bb.503:
	v_or_b32_e32 v41, v156, v220
	s_add_i32 s0, s14, s15
	s_delay_alu instid0(SALU_CYCLE_1) | instskip(NEXT) | instid1(SALU_CYCLE_1)
	s_lshl_b32 s0, s0, 4
	s_lshl_b64 s[0:1], s[0:1], 3
	s_delay_alu instid0(VALU_DEP_1)
	v_lshlrev_b32_e32 v43, 3, v41
	v_mov_b32_e32 v41, v42
	s_add_u32 s0, s30, s0
	s_addc_u32 s1, s31, s1
	global_store_b64 v43, v[40:41], s[0:1]
.LBB19_504:
	s_or_b32 exec_lo, exec_lo, s3
.LBB19_505:
	s_delay_alu instid0(SALU_CYCLE_1)
	s_or_b32 exec_lo, exec_lo, s2
	v_or_b32_e32 v40, v221, v155
	v_cvt_f16_f32_e32 v41, v56
	v_cvt_f16_f32_e32 v42, v57
	;; [unrolled: 1-line block ×4, first 2 shown]
	v_mul_u32_u24_e32 v40, 0xf0, v40
	v_cvt_f16_f32_e32 v45, v60
	v_cvt_f16_f32_e32 v46, v61
	;; [unrolled: 1-line block ×4, first 2 shown]
	v_add3_u32 v40, 0, v40, v159
	v_cvt_f16_f32_e32 v32, v32
	v_cvt_f16_f32_e32 v24, v24
	;; [unrolled: 1-line block ×4, first 2 shown]
	ds_store_b16 v40, v41
	ds_store_b16 v40, v42 offset:4
	ds_store_b16 v40, v43 offset:8
	;; [unrolled: 1-line block ×7, first 2 shown]
	v_cvt_f16_f32_e32 v41, v48
	v_cvt_f16_f32_e32 v0, v0
	;; [unrolled: 1-line block ×14, first 2 shown]
	s_mov_b32 s1, 0
	v_cvt_f16_f32_e32 v44, v51
	v_cvt_f16_f32_e32 v35, v35
	;; [unrolled: 1-line block ×15, first 2 shown]
	ds_store_b16 v40, v41 offset:32
	ds_store_b16 v40, v42 offset:36
	ds_store_b16 v40, v43 offset:40
	ds_store_b16 v40, v44 offset:44
	ds_store_b16 v40, v45 offset:48
	ds_store_b16 v40, v46 offset:52
	ds_store_b16 v40, v47 offset:56
	ds_store_b16 v40, v48 offset:60
	v_cvt_f16_f32_e32 v37, v37
	v_cvt_f16_f32_e32 v38, v38
	v_cvt_f16_f32_e32 v39, v39
	ds_store_b16 v40, v32 offset:64
	ds_store_b16 v40, v33 offset:68
	ds_store_b16 v40, v34 offset:72
	ds_store_b16 v40, v35 offset:76
	ds_store_b16 v40, v36 offset:80
	ds_store_b16 v40, v37 offset:84
	ds_store_b16 v40, v38 offset:88
	ds_store_b16 v40, v39 offset:92
	v_cvt_f16_f32_e32 v29, v29
	v_cvt_f16_f32_e32 v30, v30
	v_cvt_f16_f32_e32 v31, v31
	;; [unrolled: 11-line block ×5, first 2 shown]
	ds_store_b16 v40, v0 offset:192
	ds_store_b16 v40, v1 offset:196
	;; [unrolled: 1-line block ×8, first 2 shown]
	s_waitcnt lgkmcnt(0)
	s_waitcnt_vscnt null, 0x0
	s_barrier
	buffer_gl0_inv
	s_and_saveexec_b32 s2, vcc_lo
	s_cbranch_execz .LBB19_507
; %bb.506:
	scratch_load_b32 v26, off, off offset:156 ; 4-byte Folded Reload
	v_lshlrev_b32_e32 v21, 2, v220
	s_mul_i32 s0, s15, 0x380
	v_lshlrev_b32_e32 v28, 2, v155
	s_lshl_b64 s[4:5], s[0:1], 3
	s_delay_alu instid0(SALU_CYCLE_1) | instskip(SKIP_2) | instid1(SALU_CYCLE_1)
	s_add_u32 s3, s30, s4
	s_addc_u32 s4, s31, s5
	s_lshl_b32 s0, s14, 5
	s_lshl_b64 s[0:1], s[0:1], 3
	s_delay_alu instid0(SALU_CYCLE_1)
	s_add_u32 s0, s3, s0
	s_addc_u32 s1, s4, s1
	s_waitcnt vmcnt(0)
	v_lshrrev_b32_e32 v20, 1, v26
	v_bfe_u32 v0, v26, 1, 4
	v_add_nc_u32_e32 v32, v158, v26
	s_delay_alu instid0(VALU_DEP_3) | instskip(NEXT) | instid1(VALU_DEP_3)
	v_add_nc_u32_e32 v1, 1, v20
	v_and_or_b32 v0, 0x3e0, v26, v0
	v_add_nc_u32_e32 v3, 2, v20
	v_add_nc_u32_e32 v9, 3, v20
	v_mul_u32_u24_e32 v8, 56, v20
	v_lshlrev_b32_e32 v2, 1, v1
	v_and_b32_e32 v1, 15, v1
	v_mad_u32_u24 v0, 0xf0, v0, 0
	v_lshlrev_b32_e32 v11, 1, v9
	v_and_b32_e32 v9, 15, v9
	v_add_nc_u32_e32 v12, 4, v20
	v_and_or_b32 v1, 0x7e0, v2, v1
	v_lshlrev_b32_e32 v2, 1, v3
	v_and_b32_e32 v3, 15, v3
	v_add_nc_u32_e32 v4, 0xe0, v0
	v_add_nc_u32_e32 v5, v0, v21
	v_mad_u32_u24 v6, 0xf0, v1, 0
	v_and_or_b32 v14, 0x7e0, v11, v9
	v_and_or_b32 v7, 0x7e0, v2, v3
	ds_load_2addr_stride64_b32 v[0:1], v4 offset1:15
	ds_load_2addr_stride64_b32 v[2:3], v5 offset1:15
	v_add_lshl_u32 v22, v8, v220, 3
	v_add_nc_u32_e32 v4, 0xe0, v6
	v_add_nc_u32_e32 v6, v6, v21
	v_mad_u32_u24 v10, 0xf0, v7, 0
	v_lshlrev_b32_e32 v15, 1, v12
	ds_load_2addr_stride64_b32 v[4:5], v4 offset1:15
	ds_load_2addr_stride64_b32 v[6:7], v6 offset1:15
	v_and_b32_e32 v12, 15, v12
	v_add_nc_u32_e32 v13, 0xe0, v10
	v_add_nc_u32_e32 v10, v10, v21
	ds_load_2addr_stride64_b32 v[8:9], v13 offset1:15
	ds_load_2addr_stride64_b32 v[10:11], v10 offset1:15
	v_mad_u32_u24 v13, 0xf0, v14, 0
	v_and_or_b32 v15, 0x7e0, v15, v12
	v_add_nc_u32_e32 v17, 5, v20
	v_add_nc_u32_e32 v24, 6, v20
	;; [unrolled: 1-line block ×3, first 2 shown]
	s_waitcnt lgkmcnt(4)
	v_fma_mix_f32 v14, v0, v2, 0 op_sel_hi:[0,1,0]
	v_fma_mix_f32 v2, v0, v2, 0 op_sel:[0,1,0] op_sel_hi:[0,1,0]
	v_add_nc_u32_e32 v16, 0xe0, v13
	v_add_nc_u32_e32 v13, v13, v21
	v_mad_u32_u24 v15, 0xf0, v15, 0
	v_fma_mix_f32 v0, v1, v3, v14 op_sel_hi:[0,1,0]
	v_fma_mix_f32 v1, v1, v3, v2 op_sel:[0,1,0] op_sel_hi:[0,1,0]
	s_waitcnt lgkmcnt(2)
	v_fma_mix_f32 v14, v4, v6, 0 op_sel_hi:[0,1,0]
	ds_load_2addr_stride64_b32 v[2:3], v16 offset1:15
	ds_load_2addr_stride64_b32 v[12:13], v13 offset1:15
	v_lshlrev_b32_e32 v16, 1, v17
	v_and_b32_e32 v17, 15, v17
	v_fma_mix_f32 v6, v4, v6, 0 op_sel:[0,1,0] op_sel_hi:[0,1,0]
	v_fma_mix_f32 v4, v5, v7, v14 op_sel_hi:[0,1,0]
	v_add_nc_u32_e32 v14, 0xe0, v15
	v_add_nc_u32_e32 v19, v15, v21
	v_and_or_b32 v23, 0x7e0, v16, v17
	s_waitcnt lgkmcnt(2)
	v_fma_mix_f32 v18, v8, v10, 0 op_sel_hi:[0,1,0]
	v_fma_mix_f32 v8, v8, v10, 0 op_sel:[0,1,0] op_sel_hi:[0,1,0]
	ds_load_2addr_stride64_b32 v[14:15], v14 offset1:15
	ds_load_2addr_stride64_b32 v[16:17], v19 offset1:15
	v_lshlrev_b32_e32 v19, 1, v24
	v_mad_u32_u24 v10, 0xf0, v23, 0
	v_and_b32_e32 v23, 15, v24
	v_fma_mix_f32 v5, v5, v7, v6 op_sel:[0,1,0] op_sel_hi:[0,1,0]
	v_fma_mix_f32 v6, v9, v11, v18 op_sel_hi:[0,1,0]
	v_fma_mix_f32 v7, v9, v11, v8 op_sel:[0,1,0] op_sel_hi:[0,1,0]
	v_add_nc_u32_e32 v8, 0xe0, v10
	v_and_or_b32 v11, 0x7e0, v19, v23
	v_add_nc_u32_e32 v10, v10, v21
	s_waitcnt lgkmcnt(2)
	v_fma_mix_f32 v18, v2, v12, 0 op_sel_hi:[0,1,0]
	v_fma_mix_f32 v12, v2, v12, 0 op_sel:[0,1,0] op_sel_hi:[0,1,0]
	ds_load_2addr_stride64_b32 v[8:9], v8 offset1:15
	v_mad_u32_u24 v19, 0xf0, v11, 0
	ds_load_2addr_stride64_b32 v[10:11], v10 offset1:15
	v_fma_mix_f32 v2, v3, v13, v18 op_sel_hi:[0,1,0]
	v_fma_mix_f32 v3, v3, v13, v12 op_sel:[0,1,0] op_sel_hi:[0,1,0]
	v_add_nc_u32_e32 v24, 7, v20
	v_add_nc_u32_e32 v12, 0xe0, v19
	;; [unrolled: 1-line block ×3, first 2 shown]
	s_waitcnt lgkmcnt(2)
	v_fma_mix_f32 v25, v14, v16, 0 op_sel_hi:[0,1,0]
	v_fma_mix_f32 v14, v14, v16, 0 op_sel:[0,1,0] op_sel_hi:[0,1,0]
	ds_load_2addr_stride64_b32 v[12:13], v12 offset1:15
	ds_load_2addr_stride64_b32 v[18:19], v18 offset1:15
	v_lshlrev_b32_e32 v16, 1, v24
	v_and_b32_e32 v24, 15, v24
	v_add_nc_u32_e32 v23, 0x540, v22
	s_clause 0x3
	global_store_b64 v22, v[0:1], s[0:1]
	global_store_b64 v22, v[4:5], s[0:1] offset:448
	global_store_b64 v22, v[6:7], s[0:1] offset:896
	global_store_b64 v23, v[2:3], s[0:1]
	v_add_nc_u32_e32 v6, 8, v20
	v_and_or_b32 v2, 0x7e0, v16, v24
	v_fma_mix_f32 v0, v15, v17, v25 op_sel_hi:[0,1,0]
	v_fma_mix_f32 v1, v15, v17, v14 op_sel:[0,1,0] op_sel_hi:[0,1,0]
	v_add_nc_u32_e32 v15, 9, v20
	s_waitcnt lgkmcnt(2)
	v_fma_mix_f32 v3, v8, v10, 0 op_sel_hi:[0,1,0]
	v_fma_mix_f32 v4, v8, v10, 0 op_sel:[0,1,0] op_sel_hi:[0,1,0]
	v_mad_u32_u24 v5, 0xf0, v2, 0
	v_lshlrev_b32_e32 v7, 1, v6
	v_and_b32_e32 v6, 15, v6
	v_fma_mix_f32 v2, v9, v11, v3 op_sel_hi:[0,1,0]
	v_fma_mix_f32 v3, v9, v11, v4 op_sel:[0,1,0] op_sel_hi:[0,1,0]
	v_add_nc_u32_e32 v4, 0xe0, v5
	v_add_nc_u32_e32 v9, v5, v21
	s_waitcnt lgkmcnt(0)
	v_fma_mix_f32 v8, v12, v18, 0 op_sel_hi:[0,1,0]
	v_fma_mix_f32 v12, v12, v18, 0 op_sel:[0,1,0] op_sel_hi:[0,1,0]
	v_and_or_b32 v14, 0x7e0, v7, v6
	ds_load_2addr_stride64_b32 v[4:5], v4 offset1:15
	ds_load_2addr_stride64_b32 v[6:7], v9 offset1:15
	v_fma_mix_f32 v8, v13, v19, v8 op_sel_hi:[0,1,0]
	v_fma_mix_f32 v9, v13, v19, v12 op_sel:[0,1,0] op_sel_hi:[0,1,0]
	v_mad_u32_u24 v12, 0xf0, v14, 0
	v_lshlrev_b32_e32 v13, 1, v15
	v_and_b32_e32 v14, 15, v15
	v_add_nc_u32_e32 v15, 10, v20
	v_add_nc_u32_e32 v10, 0x700, v22
	;; [unrolled: 1-line block ×5, first 2 shown]
	v_and_or_b32 v13, 0x7e0, v13, v14
	v_lshlrev_b32_e32 v14, 1, v15
	v_and_b32_e32 v15, 15, v15
	v_add_nc_u32_e32 v16, 0xa80, v22
	s_clause 0x2
	global_store_b64 v10, v[0:1], s[0:1]
	global_store_b64 v11, v[2:3], s[0:1]
	global_store_b64 v16, v[8:9], s[0:1]
	ds_load_2addr_stride64_b32 v[0:1], v17 offset1:15
	v_mad_u32_u24 v8, 0xf0, v13, 0
	ds_load_2addr_stride64_b32 v[2:3], v12 offset1:15
	v_and_or_b32 v9, 0x7e0, v14, v15
	s_waitcnt lgkmcnt(2)
	v_fma_mix_f32 v10, v4, v6, 0 op_sel_hi:[0,1,0]
	v_fma_mix_f32 v6, v4, v6, 0 op_sel:[0,1,0] op_sel_hi:[0,1,0]
	v_add_nc_u32_e32 v11, 0xe0, v8
	v_add_nc_u32_e32 v12, v8, v21
	v_mad_u32_u24 v13, 0xf0, v9, 0
	v_add_nc_u32_e32 v14, 11, v20
	v_fma_mix_f32 v4, v5, v7, v10 op_sel_hi:[0,1,0]
	ds_load_2addr_stride64_b32 v[8:9], v11 offset1:15
	ds_load_2addr_stride64_b32 v[10:11], v12 offset1:15
	v_fma_mix_f32 v5, v5, v7, v6 op_sel:[0,1,0] op_sel_hi:[0,1,0]
	v_add_nc_u32_e32 v12, 0xe0, v13
	v_add_nc_u32_e32 v13, v13, v21
	v_lshlrev_b32_e32 v15, 1, v14
	v_and_b32_e32 v14, 15, v14
	v_add_nc_u32_e32 v16, 0xc40, v22
	ds_load_2addr_stride64_b32 v[6:7], v12 offset1:15
	ds_load_2addr_stride64_b32 v[12:13], v13 offset1:15
	v_add_nc_u32_e32 v19, 0x1180, v22
	v_and_or_b32 v14, 0x7e0, v15, v14
	s_waitcnt lgkmcnt(4)
	v_fma_mix_f32 v15, v0, v2, 0 op_sel_hi:[0,1,0]
	global_store_b64 v16, v[4:5], s[0:1]
	v_add_nc_u32_e32 v5, 12, v20
	v_fma_mix_f32 v2, v0, v2, 0 op_sel:[0,1,0] op_sel_hi:[0,1,0]
	v_mad_u32_u24 v4, 0xf0, v14, 0
	v_fma_mix_f32 v0, v1, v3, v15 op_sel_hi:[0,1,0]
	v_add_nc_u32_e32 v14, 0xe00, v22
	v_lshlrev_b32_e32 v15, 1, v5
	v_and_b32_e32 v5, 15, v5
	v_fma_mix_f32 v1, v1, v3, v2 op_sel:[0,1,0] op_sel_hi:[0,1,0]
	v_add_nc_u32_e32 v2, 0xe0, v4
	v_add_nc_u32_e32 v4, v4, v21
	s_waitcnt lgkmcnt(2)
	v_fma_mix_f32 v16, v8, v10, 0 op_sel_hi:[0,1,0]
	v_fma_mix_f32 v10, v8, v10, 0 op_sel:[0,1,0] op_sel_hi:[0,1,0]
	v_and_or_b32 v15, 0x7e0, v15, v5
	ds_load_2addr_stride64_b32 v[2:3], v2 offset1:15
	ds_load_2addr_stride64_b32 v[4:5], v4 offset1:15
	v_fma_mix_f32 v8, v9, v11, v16 op_sel_hi:[0,1,0]
	v_fma_mix_f32 v9, v9, v11, v10 op_sel:[0,1,0] op_sel_hi:[0,1,0]
	s_waitcnt lgkmcnt(2)
	v_fma_mix_f32 v10, v6, v12, 0 op_sel_hi:[0,1,0]
	v_mad_u32_u24 v11, 0xf0, v15, 0
	v_add_nc_u32_e32 v15, 13, v20
	v_fma_mix_f32 v12, v6, v12, 0 op_sel:[0,1,0] op_sel_hi:[0,1,0]
	v_add_nc_u32_e32 v16, 0xfc0, v22
	v_fma_mix_f32 v6, v7, v13, v10 op_sel_hi:[0,1,0]
	v_add_nc_u32_e32 v10, 0xe0, v11
	v_lshlrev_b32_e32 v17, 1, v15
	v_and_b32_e32 v15, 15, v15
	v_add_nc_u32_e32 v18, v11, v21
	v_fma_mix_f32 v7, v7, v13, v12 op_sel:[0,1,0] op_sel_hi:[0,1,0]
	ds_load_2addr_stride64_b32 v[10:11], v10 offset1:15
	v_lshlrev_b32_e32 v29, 1, v26
	v_and_or_b32 v15, 0x7e0, v17, v15
	ds_load_2addr_stride64_b32 v[12:13], v18 offset1:15
	s_clause 0x2
	global_store_b64 v14, v[0:1], s[0:1]
	global_store_b64 v16, v[8:9], s[0:1]
	;; [unrolled: 1-line block ×3, first 2 shown]
	v_add_nc_u32_e32 v6, 14, v20
	v_mad_u32_u24 v1, 0xf0, v15, 0
	s_waitcnt lgkmcnt(2)
	v_fma_mix_f32 v0, v2, v4, 0 op_sel_hi:[0,1,0]
	v_fma_mix_f32 v2, v2, v4, 0 op_sel:[0,1,0] op_sel_hi:[0,1,0]
	v_add_nc_u32_e32 v9, 0x1340, v22
	v_lshlrev_b32_e32 v8, 1, v6
	v_and_b32_e32 v6, 15, v6
	v_add_nc_u32_e32 v4, 0xe0, v1
	v_add_nc_u32_e32 v7, v1, v21
	v_fma_mix_f32 v0, v3, v5, v0 op_sel_hi:[0,1,0]
	v_fma_mix_f32 v1, v3, v5, v2 op_sel:[0,1,0] op_sel_hi:[0,1,0]
	v_and_or_b32 v6, 0x7e0, v8, v6
	ds_load_2addr_stride64_b32 v[2:3], v4 offset1:15
	ds_load_2addr_stride64_b32 v[4:5], v7 offset1:15
	v_add_nc_u32_e32 v7, 15, v20
	v_add_nc_u32_e32 v16, 0x16c0, v22
	global_store_b64 v9, v[0:1], s[0:1]
	v_mad_u32_u24 v6, 0xf0, v6, 0
	s_waitcnt lgkmcnt(2)
	v_fma_mix_f32 v0, v10, v12, 0 op_sel_hi:[0,1,0]
	v_fma_mix_f32 v1, v10, v12, 0 op_sel:[0,1,0] op_sel_hi:[0,1,0]
	v_lshlrev_b32_e32 v8, 1, v7
	v_and_b32_e32 v7, 15, v7
	v_add_nc_u32_e32 v9, 0xe0, v6
	v_fma_mix_f32 v0, v11, v13, v0 op_sel_hi:[0,1,0]
	v_fma_mix_f32 v1, v11, v13, v1 op_sel:[0,1,0] op_sel_hi:[0,1,0]
	v_add_nc_u32_e32 v10, v6, v21
	v_and_or_b32 v11, 0x7e0, v8, v7
	ds_load_2addr_stride64_b32 v[6:7], v9 offset1:15
	ds_load_2addr_stride64_b32 v[8:9], v10 offset1:15
	v_add_nc_u32_e32 v12, 0x1500, v22
	v_mad_u32_u24 v10, 0xf0, v11, 0
	v_lshlrev_b32_e32 v11, 1, v32
	v_and_b32_e32 v13, 15, v32
	v_add_nc_u32_e32 v17, 0x1880, v22
	global_store_b64 v12, v[0:1], s[0:1]
	s_waitcnt lgkmcnt(2)
	v_fma_mix_f32 v12, v2, v4, 0 op_sel_hi:[0,1,0]
	v_fma_mix_f32 v4, v2, v4, 0 op_sel:[0,1,0] op_sel_hi:[0,1,0]
	v_and_or_b32 v13, 0xfe0, v11, v13
	v_add_nc_u32_e32 v2, 2, v32
	v_add_nc_u32_e32 v0, 0xe0, v10
	;; [unrolled: 1-line block ×3, first 2 shown]
	ds_load_2addr_stride64_b32 v[0:1], v0 offset1:15
	ds_load_2addr_stride64_b32 v[10:11], v10 offset1:15
	v_mad_u32_u24 v13, 0xf0, v13, 0
	v_lshlrev_b32_e32 v14, 1, v2
	v_and_b32_e32 v15, 15, v2
	v_fma_mix_f32 v2, v3, v5, v12 op_sel_hi:[0,1,0]
	v_fma_mix_f32 v3, v3, v5, v4 op_sel:[0,1,0] op_sel_hi:[0,1,0]
	v_add_nc_u32_e32 v4, v13, v28
	s_waitcnt lgkmcnt(2)
	v_fma_mix_f32 v12, v6, v8, 0 op_sel_hi:[0,1,0]
	v_and_or_b32 v5, 0x1fe0, v14, v15
	v_add_nc_u32_e32 v13, 0xe0, v13
	v_fma_mix_f32 v6, v6, v8, 0 op_sel:[0,1,0] op_sel_hi:[0,1,0]
	v_add_nc_u32_e32 v14, 0x80, v4
	v_fma_mix_f32 v4, v7, v9, v12 op_sel_hi:[0,1,0]
	v_mad_u32_u24 v8, 0xf0, v5, 0
	ds_load_2addr_stride64_b32 v[12:13], v13 offset1:15
	ds_load_2addr_stride64_b32 v[14:15], v14 offset1:15
	v_fma_mix_f32 v5, v7, v9, v6 op_sel:[0,1,0] op_sel_hi:[0,1,0]
	v_add_nc_u32_e32 v7, 4, v32
	v_add_nc_u32_e32 v6, v8, v28
	;; [unrolled: 1-line block ×3, first 2 shown]
	s_waitcnt lgkmcnt(2)
	v_fma_mix_f32 v18, v0, v10, 0 op_sel_hi:[0,1,0]
	v_fma_mix_f32 v10, v0, v10, 0 op_sel:[0,1,0] op_sel_hi:[0,1,0]
	v_lshlrev_b32_e32 v19, 1, v7
	v_and_b32_e32 v20, 15, v7
	v_add_nc_u32_e32 v9, 0x80, v6
	ds_load_2addr_stride64_b32 v[6:7], v8 offset1:15
	ds_load_2addr_stride64_b32 v[8:9], v9 offset1:15
	global_store_b64 v16, v[2:3], s[0:1]
	v_and_or_b32 v2, 0x1fe0, v19, v20
	v_fma_mix_f32 v0, v1, v11, v18 op_sel_hi:[0,1,0]
	v_fma_mix_f32 v1, v1, v11, v10 op_sel:[0,1,0] op_sel_hi:[0,1,0]
	v_add_nc_u32_e32 v3, 0x1a40, v22
	global_store_b64 v17, v[4:5], s[0:1]
	v_mad_u32_u24 v2, 0xf0, v2, 0
	s_waitcnt lgkmcnt(2)
	v_fma_mix_f32 v4, v12, v14, 0 op_sel_hi:[0,1,0]
	v_mul_u32_u24_e32 v10, 56, v32
	global_store_b64 v3, v[0:1], s[0:1]
	v_fma_mix_f32 v5, v12, v14, 0 op_sel:[0,1,0] op_sel_hi:[0,1,0]
	v_add_nc_u32_e32 v3, v2, v28
	v_add_nc_u32_e32 v2, 0xe0, v2
	v_fma_mix_f32 v0, v13, v15, v4 op_sel_hi:[0,1,0]
	v_add_lshl_u32 v33, v10, v155, 3
	v_add_nc_u32_e32 v10, 6, v32
	v_add_nc_u32_e32 v4, 0x80, v3
	v_mad_u32_u24 v11, v32, 56, 0x70
	v_fma_mix_f32 v1, v13, v15, v5 op_sel:[0,1,0] op_sel_hi:[0,1,0]
	ds_load_2addr_stride64_b32 v[2:3], v2 offset1:15
	ds_load_2addr_stride64_b32 v[4:5], v4 offset1:15
	v_lshlrev_b32_e32 v13, 1, v10
	v_and_b32_e32 v14, 15, v10
	v_add_co_u32 v10, s3, v11, v155
	s_delay_alu instid0(VALU_DEP_1)
	v_add_co_ci_u32_e64 v11, null, 0, 0, s3
	s_waitcnt lgkmcnt(2)
	v_fma_mix_f32 v12, v6, v8, 0 op_sel_hi:[0,1,0]
	v_and_or_b32 v13, 0x1fe0, v13, v14
	v_add_nc_u32_e32 v14, 8, v32
	v_lshlrev_b64 v[10:11], 3, v[10:11]
	v_fma_mix_f32 v8, v6, v8, 0 op_sel:[0,1,0] op_sel_hi:[0,1,0]
	v_fma_mix_f32 v6, v7, v9, v12 op_sel_hi:[0,1,0]
	v_mad_u32_u24 v12, 0xf0, v13, 0
	v_lshlrev_b32_e32 v13, 1, v14
	v_and_b32_e32 v14, 15, v14
	v_fma_mix_f32 v7, v7, v9, v8 op_sel:[0,1,0] op_sel_hi:[0,1,0]
	v_add_co_u32 v8, vcc_lo, s0, v10
	v_add_nc_u32_e32 v10, v12, v28
	v_add_co_ci_u32_e32 v9, vcc_lo, s1, v11, vcc_lo
	v_and_or_b32 v11, 0x1fe0, v13, v14
	s_waitcnt lgkmcnt(0)
	v_fma_mix_f32 v13, v2, v4, 0 op_sel_hi:[0,1,0]
	v_add_nc_u32_e32 v12, 0xe0, v12
	v_add_nc_u32_e32 v15, 0x80, v10
	v_mad_u32_u24 v14, v32, 56, 0xe0
	v_mad_u32_u24 v16, 0xf0, v11, 0
	v_fma_mix_f32 v4, v2, v4, 0 op_sel:[0,1,0] op_sel_hi:[0,1,0]
	v_fma_mix_f32 v2, v3, v5, v13 op_sel_hi:[0,1,0]
	ds_load_2addr_stride64_b32 v[10:11], v12 offset1:15
	ds_load_2addr_stride64_b32 v[12:13], v15 offset1:15
	v_add_co_u32 v14, s3, v14, v155
	v_add_nc_u32_e32 v17, v16, v28
	v_add_co_ci_u32_e64 v15, null, 0, 0, s3
	v_add_nc_u32_e32 v16, 0xe0, v16
	v_add_nc_u32_e32 v18, 10, v32
	s_delay_alu instid0(VALU_DEP_4)
	v_add_nc_u32_e32 v17, 0x80, v17
	v_fma_mix_f32 v3, v3, v5, v4 op_sel:[0,1,0] op_sel_hi:[0,1,0]
	v_lshlrev_b64 v[4:5], 3, v[14:15]
	ds_load_2addr_stride64_b32 v[14:15], v16 offset1:15
	ds_load_2addr_stride64_b32 v[16:17], v17 offset1:15
	v_lshlrev_b32_e32 v19, 1, v18
	v_and_b32_e32 v18, 15, v18
	v_mad_u32_u24 v20, v32, 56, 0x150
	v_add_co_u32 v4, vcc_lo, s0, v4
	v_add_co_ci_u32_e32 v5, vcc_lo, s1, v5, vcc_lo
	s_delay_alu instid0(VALU_DEP_4)
	v_and_or_b32 v22, 0x1fe0, v19, v18
	s_waitcnt lgkmcnt(2)
	v_fma_mix_f32 v21, v10, v12, 0 op_sel_hi:[0,1,0]
	v_add_co_u32 v18, s3, v20, v155
	v_fma_mix_f32 v12, v10, v12, 0 op_sel:[0,1,0] op_sel_hi:[0,1,0]
	v_add_co_ci_u32_e64 v19, null, 0, 0, s3
	v_mad_u32_u24 v20, 0xf0, v22, 0
	v_fma_mix_f32 v10, v11, v13, v21 op_sel_hi:[0,1,0]
	v_add_nc_u32_e32 v21, 12, v32
	v_fma_mix_f32 v11, v11, v13, v12 op_sel:[0,1,0] op_sel_hi:[0,1,0]
	v_lshlrev_b64 v[12:13], 3, v[18:19]
	v_add_nc_u32_e32 v19, v20, v28
	v_mad_u32_u24 v18, v32, 56, 0x1c0
	v_lshlrev_b32_e32 v22, 1, v21
	v_and_b32_e32 v21, 15, v21
	s_waitcnt lgkmcnt(0)
	v_fma_mix_f32 v24, v14, v16, 0 op_sel_hi:[0,1,0]
	v_fma_mix_f32 v16, v14, v16, 0 op_sel:[0,1,0] op_sel_hi:[0,1,0]
	v_add_nc_u32_e32 v14, 0xe0, v20
	v_add_nc_u32_e32 v23, 0x80, v19
	v_and_or_b32 v25, 0x1fe0, v22, v21
	v_add_co_u32 v18, s3, v18, v155
	ds_load_2addr_stride64_b32 v[20:21], v14 offset1:15
	ds_load_2addr_stride64_b32 v[22:23], v23 offset1:15
	v_add_co_ci_u32_e64 v19, null, 0, 0, s3
	v_mad_u32_u24 v25, 0xf0, v25, 0
	v_fma_mix_f32 v14, v15, v17, v24 op_sel_hi:[0,1,0]
	v_add_co_u32 v12, vcc_lo, s0, v12
	s_delay_alu instid0(VALU_DEP_4) | instskip(NEXT) | instid1(VALU_DEP_4)
	v_lshlrev_b64 v[18:19], 3, v[18:19]
	v_add_nc_u32_e32 v24, v25, v28
	v_add_co_ci_u32_e32 v13, vcc_lo, s1, v13, vcc_lo
	v_fma_mix_f32 v15, v15, v17, v16 op_sel:[0,1,0] op_sel_hi:[0,1,0]
	v_and_b32_e32 v26, 15, v26
	v_add_co_u32 v16, vcc_lo, s0, v18
	v_add_nc_u32_e32 v18, 0xe0, v25
	v_add_nc_u32_e32 v24, 0x80, v24
	v_add_co_ci_u32_e32 v17, vcc_lo, s1, v19, vcc_lo
	v_mad_u32_u24 v27, v32, 56, 0x230
	ds_load_2addr_stride64_b32 v[18:19], v18 offset1:15
	ds_load_2addr_stride64_b32 v[24:25], v24 offset1:15
	s_waitcnt lgkmcnt(2)
	v_fma_mix_f32 v30, v20, v22, 0 op_sel_hi:[0,1,0]
	v_fma_mix_f32 v22, v20, v22, 0 op_sel:[0,1,0] op_sel_hi:[0,1,0]
	v_and_or_b32 v20, 0x1fe0, v29, v26
	v_add_co_u32 v26, s3, v27, v155
	s_delay_alu instid0(VALU_DEP_1) | instskip(NEXT) | instid1(VALU_DEP_3)
	v_add_co_ci_u32_e64 v27, null, 0, 0, s3
	v_mad_u32_u24 v29, 0xf0, v20, 0
	v_fma_mix_f32 v20, v21, v23, v30 op_sel_hi:[0,1,0]
	v_mad_u32_u24 v30, v32, 56, 0x2a0
	v_fma_mix_f32 v21, v21, v23, v22 op_sel:[0,1,0] op_sel_hi:[0,1,0]
	v_lshlrev_b64 v[22:23], 3, v[26:27]
	v_add_nc_u32_e32 v28, v29, v28
	v_add_nc_u32_e32 v29, 0xe0, v29
	v_add_co_u32 v26, s3, v30, v155
	s_delay_alu instid0(VALU_DEP_1) | instskip(SKIP_3) | instid1(VALU_DEP_3)
	v_add_co_ci_u32_e64 v27, null, 0, 0, s3
	v_add_co_u32 v22, vcc_lo, s0, v22
	s_waitcnt lgkmcnt(0)
	v_fma_mix_f32 v34, v18, v24, 0 op_sel_hi:[0,1,0]
	v_lshlrev_b64 v[26:27], 3, v[26:27]
	v_fma_mix_f32 v24, v18, v24, 0 op_sel:[0,1,0] op_sel_hi:[0,1,0]
	v_add_nc_u32_e32 v30, 0x80, v28
	v_add_co_ci_u32_e32 v23, vcc_lo, s1, v23, vcc_lo
	v_fma_mix_f32 v18, v19, v25, v34 op_sel_hi:[0,1,0]
	s_delay_alu instid0(VALU_DEP_4)
	v_fma_mix_f32 v19, v19, v25, v24 op_sel:[0,1,0] op_sel_hi:[0,1,0]
	v_add_co_u32 v24, vcc_lo, s0, v26
	ds_load_2addr_stride64_b32 v[28:29], v29 offset1:15
	ds_load_2addr_stride64_b32 v[30:31], v30 offset1:15
	v_add_co_ci_u32_e32 v25, vcc_lo, s1, v27, vcc_lo
	s_clause 0x1
	scratch_load_b32 v26, off, off offset:720
	scratch_load_b32 v27, off, off offset:16
	s_clause 0x6
	global_store_b64 v33, v[0:1], s[0:1] offset:256
	global_store_b64 v[8:9], v[6:7], off offset:256
	global_store_b64 v[4:5], v[2:3], off offset:256
	;; [unrolled: 1-line block ×6, first 2 shown]
	scratch_load_b32 v22, off, off offset:8 ; 4-byte Folded Reload
	v_mad_u32_u24 v10, v32, 56, 0x310
	s_delay_alu instid0(VALU_DEP_1)
	v_add_co_u32 v10, s3, v10, v155
	s_waitcnt lgkmcnt(0)
	v_fma_mix_f32 v3, v28, v30, 0 op_sel_hi:[0,1,0]
	v_fma_mix_f32 v20, v28, v30, 0 op_sel:[0,1,0] op_sel_hi:[0,1,0]
	s_waitcnt vmcnt(1)
	v_add_nc_u32_e32 v26, v27, v26
	s_waitcnt vmcnt(0)
	v_lshlrev_b32_e32 v11, 2, v22
	s_delay_alu instid0(VALU_DEP_2) | instskip(SKIP_3) | instid1(VALU_DEP_4)
	v_add_nc_u32_e32 v2, 4, v26
	v_lshlrev_b32_e32 v0, 1, v26
	v_and_b32_e32 v1, 15, v26
	v_add_nc_u32_e32 v5, 8, v26
	v_lshlrev_b32_e32 v4, 1, v2
	v_and_b32_e32 v2, 15, v2
	s_delay_alu instid0(VALU_DEP_4) | instskip(SKIP_2) | instid1(VALU_DEP_4)
	v_and_or_b32 v1, 0x1fe0, v0, v1
	v_fma_mix_f32 v0, v29, v31, v3 op_sel_hi:[0,1,0]
	v_lshlrev_b32_e32 v3, 1, v5
	v_and_or_b32 v2, 0x3fe0, v4, v2
	v_and_b32_e32 v4, 15, v5
	v_add_nc_u32_e32 v5, 12, v26
	v_mad_u32_u24 v1, 0xf0, v1, 0
	s_delay_alu instid0(VALU_DEP_4) | instskip(NEXT) | instid1(VALU_DEP_4)
	v_mad_u32_u24 v7, 0xf0, v2, 0
	v_and_or_b32 v4, 0x3fe0, v3, v4
	s_delay_alu instid0(VALU_DEP_4) | instskip(SKIP_4) | instid1(VALU_DEP_4)
	v_lshlrev_b32_e32 v8, 1, v5
	v_and_b32_e32 v5, 15, v5
	v_add_nc_u32_e32 v6, 0xe0, v1
	v_add_nc_u32_e32 v1, v1, v11
	v_mad_u32_u24 v12, 0xf0, v4, 0
	v_and_or_b32 v8, 0x3fe0, v8, v5
	ds_load_2addr_stride64_b32 v[2:3], v6 offset1:15
	v_add_nc_u32_e32 v6, v7, v11
	v_add_nc_u32_e32 v1, 0xc0, v1
	;; [unrolled: 1-line block ×3, first 2 shown]
	v_mad_u32_u24 v13, 0xf0, v8, 0
	s_delay_alu instid0(VALU_DEP_4)
	v_add_nc_u32_e32 v9, 0xc0, v6
	ds_load_2addr_stride64_b32 v[4:5], v1 offset1:15
	v_add_nc_u32_e32 v1, v12, v11
	v_add_nc_u32_e32 v14, v13, v11
	ds_load_2addr_stride64_b32 v[6:7], v7 offset1:15
	ds_load_2addr_stride64_b32 v[8:9], v9 offset1:15
	v_add_nc_u32_e32 v12, 0xe0, v12
	v_add_nc_u32_e32 v16, 0xe0, v13
	;; [unrolled: 1-line block ×4, first 2 shown]
	ds_load_2addr_stride64_b32 v[12:13], v12 offset1:15
	ds_load_2addr_stride64_b32 v[14:15], v1 offset1:15
	;; [unrolled: 1-line block ×4, first 2 shown]
	v_add_co_ci_u32_e64 v11, null, 0, 0, s3
	v_fma_mix_f32 v1, v29, v31, v20 op_sel:[0,1,0] op_sel_hi:[0,1,0]
	v_mul_u32_u24_e32 v20, 56, v26
	s_delay_alu instid0(VALU_DEP_3) | instskip(NEXT) | instid1(VALU_DEP_2)
	v_lshlrev_b64 v[10:11], 3, v[10:11]
	v_or_b32_e32 v20, v20, v22
	s_waitcnt lgkmcnt(6)
	v_fma_mix_f32 v21, v2, v4, 0 op_sel_hi:[0,1,0]
	v_fma_mix_f32 v4, v2, v4, 0 op_sel:[0,1,0] op_sel_hi:[0,1,0]
	s_waitcnt lgkmcnt(4)
	v_fma_mix_f32 v22, v6, v8, 0 op_sel_hi:[0,1,0]
	v_fma_mix_f32 v6, v6, v8, 0 op_sel:[0,1,0] op_sel_hi:[0,1,0]
	v_lshlrev_b32_e32 v20, 3, v20
	v_add_co_u32 v10, vcc_lo, s0, v10
	v_fma_mix_f32 v2, v3, v5, v21 op_sel_hi:[0,1,0]
	v_fma_mix_f32 v3, v3, v5, v4 op_sel:[0,1,0] op_sel_hi:[0,1,0]
	v_fma_mix_f32 v4, v7, v9, v22 op_sel_hi:[0,1,0]
	v_fma_mix_f32 v5, v7, v9, v6 op_sel:[0,1,0] op_sel_hi:[0,1,0]
	s_waitcnt lgkmcnt(2)
	v_fma_mix_f32 v6, v12, v14, 0 op_sel_hi:[0,1,0]
	v_fma_mix_f32 v7, v12, v14, 0 op_sel:[0,1,0] op_sel_hi:[0,1,0]
	s_waitcnt lgkmcnt(0)
	v_fma_mix_f32 v8, v16, v18, 0 op_sel_hi:[0,1,0]
	v_fma_mix_f32 v9, v16, v18, 0 op_sel:[0,1,0] op_sel_hi:[0,1,0]
	v_add_co_ci_u32_e32 v11, vcc_lo, s1, v11, vcc_lo
	v_add_nc_u32_e32 v12, 0x700, v20
	v_fma_mix_f32 v6, v13, v15, v6 op_sel_hi:[0,1,0]
	v_fma_mix_f32 v7, v13, v15, v7 op_sel:[0,1,0] op_sel_hi:[0,1,0]
	v_add_nc_u32_e32 v13, 0xe00, v20
	v_fma_mix_f32 v8, v17, v19, v8 op_sel_hi:[0,1,0]
	v_fma_mix_f32 v9, v17, v19, v9 op_sel:[0,1,0] op_sel_hi:[0,1,0]
	v_add_nc_u32_e32 v14, 0x1500, v20
	s_clause 0x4
	global_store_b64 v[10:11], v[0:1], off offset:256
	global_store_b64 v20, v[2:3], s[0:1] offset:384
	global_store_b64 v12, v[4:5], s[0:1] offset:384
	;; [unrolled: 1-line block ×4, first 2 shown]
.LBB19_507:
	s_or_b32 exec_lo, exec_lo, s2
	s_waitcnt_vscnt null, 0x0
	s_barrier
	buffer_gl0_inv
	s_endpgm
	.section	.rodata,"a",@progbits
	.p2align	6, 0x0
	.amdhsa_kernel _ZL18flash_attn_ext_f16ILi112ELi112ELi2ELi8ELb0ELb0EEvPKcS1_S1_S1_S1_PKiPfP15HIP_vector_typeIfLj2EEffffjfiS5_IjLj3EEiiiiiiiiiiiliiliiiiil
		.amdhsa_group_segment_fixed_size 0
		.amdhsa_private_segment_fixed_size 1084
		.amdhsa_kernarg_size 464
		.amdhsa_user_sgpr_count 15
		.amdhsa_user_sgpr_dispatch_ptr 0
		.amdhsa_user_sgpr_queue_ptr 0
		.amdhsa_user_sgpr_kernarg_segment_ptr 1
		.amdhsa_user_sgpr_dispatch_id 0
		.amdhsa_user_sgpr_private_segment_size 0
		.amdhsa_wavefront_size32 1
		.amdhsa_uses_dynamic_stack 0
		.amdhsa_enable_private_segment 1
		.amdhsa_system_sgpr_workgroup_id_x 1
		.amdhsa_system_sgpr_workgroup_id_y 0
		.amdhsa_system_sgpr_workgroup_id_z 0
		.amdhsa_system_sgpr_workgroup_info 0
		.amdhsa_system_vgpr_workitem_id 1
		.amdhsa_next_free_vgpr 256
		.amdhsa_next_free_sgpr 105
		.amdhsa_reserve_vcc 1
		.amdhsa_float_round_mode_32 0
		.amdhsa_float_round_mode_16_64 0
		.amdhsa_float_denorm_mode_32 3
		.amdhsa_float_denorm_mode_16_64 3
		.amdhsa_dx10_clamp 1
		.amdhsa_ieee_mode 1
		.amdhsa_fp16_overflow 0
		.amdhsa_workgroup_processor_mode 1
		.amdhsa_memory_ordered 1
		.amdhsa_forward_progress 0
		.amdhsa_shared_vgpr_count 0
		.amdhsa_exception_fp_ieee_invalid_op 0
		.amdhsa_exception_fp_denorm_src 0
		.amdhsa_exception_fp_ieee_div_zero 0
		.amdhsa_exception_fp_ieee_overflow 0
		.amdhsa_exception_fp_ieee_underflow 0
		.amdhsa_exception_fp_ieee_inexact 0
		.amdhsa_exception_int_div_zero 0
	.end_amdhsa_kernel
	.section	.text._ZL18flash_attn_ext_f16ILi112ELi112ELi2ELi8ELb0ELb0EEvPKcS1_S1_S1_S1_PKiPfP15HIP_vector_typeIfLj2EEffffjfiS5_IjLj3EEiiiiiiiiiiiliiliiiiil,"axG",@progbits,_ZL18flash_attn_ext_f16ILi112ELi112ELi2ELi8ELb0ELb0EEvPKcS1_S1_S1_S1_PKiPfP15HIP_vector_typeIfLj2EEffffjfiS5_IjLj3EEiiiiiiiiiiiliiliiiiil,comdat
.Lfunc_end19:
	.size	_ZL18flash_attn_ext_f16ILi112ELi112ELi2ELi8ELb0ELb0EEvPKcS1_S1_S1_S1_PKiPfP15HIP_vector_typeIfLj2EEffffjfiS5_IjLj3EEiiiiiiiiiiiliiliiiiil, .Lfunc_end19-_ZL18flash_attn_ext_f16ILi112ELi112ELi2ELi8ELb0ELb0EEvPKcS1_S1_S1_S1_PKiPfP15HIP_vector_typeIfLj2EEffffjfiS5_IjLj3EEiiiiiiiiiiiliiliiiiil
                                        ; -- End function
	.section	.AMDGPU.csdata,"",@progbits
; Kernel info:
; codeLenInByte = 78184
; NumSgprs: 107
; NumVgprs: 256
; ScratchSize: 1084
; MemoryBound: 0
; FloatMode: 240
; IeeeMode: 1
; LDSByteSize: 0 bytes/workgroup (compile time only)
; SGPRBlocks: 13
; VGPRBlocks: 31
; NumSGPRsForWavesPerEU: 107
; NumVGPRsForWavesPerEU: 256
; Occupancy: 5
; WaveLimiterHint : 1
; COMPUTE_PGM_RSRC2:SCRATCH_EN: 1
; COMPUTE_PGM_RSRC2:USER_SGPR: 15
; COMPUTE_PGM_RSRC2:TRAP_HANDLER: 0
; COMPUTE_PGM_RSRC2:TGID_X_EN: 1
; COMPUTE_PGM_RSRC2:TGID_Y_EN: 0
; COMPUTE_PGM_RSRC2:TGID_Z_EN: 0
; COMPUTE_PGM_RSRC2:TIDIG_COMP_CNT: 1
	.section	.text._ZL18flash_attn_ext_f16ILi112ELi112ELi2ELi8ELb1ELb0EEvPKcS1_S1_S1_S1_PKiPfP15HIP_vector_typeIfLj2EEffffjfiS5_IjLj3EEiiiiiiiiiiiliiliiiiil,"axG",@progbits,_ZL18flash_attn_ext_f16ILi112ELi112ELi2ELi8ELb1ELb0EEvPKcS1_S1_S1_S1_PKiPfP15HIP_vector_typeIfLj2EEffffjfiS5_IjLj3EEiiiiiiiiiiiliiliiiiil,comdat
	.globl	_ZL18flash_attn_ext_f16ILi112ELi112ELi2ELi8ELb1ELb0EEvPKcS1_S1_S1_S1_PKiPfP15HIP_vector_typeIfLj2EEffffjfiS5_IjLj3EEiiiiiiiiiiiliiliiiiil ; -- Begin function _ZL18flash_attn_ext_f16ILi112ELi112ELi2ELi8ELb1ELb0EEvPKcS1_S1_S1_S1_PKiPfP15HIP_vector_typeIfLj2EEffffjfiS5_IjLj3EEiiiiiiiiiiiliiliiiiil
	.p2align	8
	.type	_ZL18flash_attn_ext_f16ILi112ELi112ELi2ELi8ELb1ELb0EEvPKcS1_S1_S1_S1_PKiPfP15HIP_vector_typeIfLj2EEffffjfiS5_IjLj3EEiiiiiiiiiiiliiliiiiil,@function
_ZL18flash_attn_ext_f16ILi112ELi112ELi2ELi8ELb1ELb0EEvPKcS1_S1_S1_S1_PKiPfP15HIP_vector_typeIfLj2EEffffjfiS5_IjLj3EEiiiiiiiiiiiliiliiiiil: ; @_ZL18flash_attn_ext_f16ILi112ELi112ELi2ELi8ELb1ELb0EEvPKcS1_S1_S1_S1_PKiPfP15HIP_vector_typeIfLj2EEffffjfiS5_IjLj3EEiiiiiiiiiiiliiliiiiil
; %bb.0:
	v_mov_b32_e32 v0, 0x6cc
	s_add_u32 s8, s0, 0xd0
	s_addc_u32 s9, s1, 0
	s_mov_b32 s32, 0
	s_getpc_b64 s[0:1]
	s_add_u32 s0, s0, _ZL14no_device_codePKciS0_iS0_@rel32@lo+4
	s_addc_u32 s1, s1, _ZL14no_device_codePKciS0_iS0_@rel32@hi+12
	s_delay_alu instid0(SALU_CYCLE_1)
	s_swappc_b64 s[30:31], s[0:1]
	.section	.rodata,"a",@progbits
	.p2align	6, 0x0
	.amdhsa_kernel _ZL18flash_attn_ext_f16ILi112ELi112ELi2ELi8ELb1ELb0EEvPKcS1_S1_S1_S1_PKiPfP15HIP_vector_typeIfLj2EEffffjfiS5_IjLj3EEiiiiiiiiiiiliiliiiiil
		.amdhsa_group_segment_fixed_size 0
		.amdhsa_private_segment_fixed_size 16
		.amdhsa_kernarg_size 464
		.amdhsa_user_sgpr_count 15
		.amdhsa_user_sgpr_dispatch_ptr 0
		.amdhsa_user_sgpr_queue_ptr 0
		.amdhsa_user_sgpr_kernarg_segment_ptr 1
		.amdhsa_user_sgpr_dispatch_id 0
		.amdhsa_user_sgpr_private_segment_size 0
		.amdhsa_wavefront_size32 1
		.amdhsa_uses_dynamic_stack 0
		.amdhsa_enable_private_segment 1
		.amdhsa_system_sgpr_workgroup_id_x 1
		.amdhsa_system_sgpr_workgroup_id_y 0
		.amdhsa_system_sgpr_workgroup_id_z 0
		.amdhsa_system_sgpr_workgroup_info 0
		.amdhsa_system_vgpr_workitem_id 0
		.amdhsa_next_free_vgpr 37
		.amdhsa_next_free_sgpr 34
		.amdhsa_reserve_vcc 1
		.amdhsa_float_round_mode_32 0
		.amdhsa_float_round_mode_16_64 0
		.amdhsa_float_denorm_mode_32 3
		.amdhsa_float_denorm_mode_16_64 3
		.amdhsa_dx10_clamp 1
		.amdhsa_ieee_mode 1
		.amdhsa_fp16_overflow 0
		.amdhsa_workgroup_processor_mode 1
		.amdhsa_memory_ordered 1
		.amdhsa_forward_progress 0
		.amdhsa_shared_vgpr_count 0
		.amdhsa_exception_fp_ieee_invalid_op 0
		.amdhsa_exception_fp_denorm_src 0
		.amdhsa_exception_fp_ieee_div_zero 0
		.amdhsa_exception_fp_ieee_overflow 0
		.amdhsa_exception_fp_ieee_underflow 0
		.amdhsa_exception_fp_ieee_inexact 0
		.amdhsa_exception_int_div_zero 0
	.end_amdhsa_kernel
	.section	.text._ZL18flash_attn_ext_f16ILi112ELi112ELi2ELi8ELb1ELb0EEvPKcS1_S1_S1_S1_PKiPfP15HIP_vector_typeIfLj2EEffffjfiS5_IjLj3EEiiiiiiiiiiiliiliiiiil,"axG",@progbits,_ZL18flash_attn_ext_f16ILi112ELi112ELi2ELi8ELb1ELb0EEvPKcS1_S1_S1_S1_PKiPfP15HIP_vector_typeIfLj2EEffffjfiS5_IjLj3EEiiiiiiiiiiiliiliiiiil,comdat
.Lfunc_end20:
	.size	_ZL18flash_attn_ext_f16ILi112ELi112ELi2ELi8ELb1ELb0EEvPKcS1_S1_S1_S1_PKiPfP15HIP_vector_typeIfLj2EEffffjfiS5_IjLj3EEiiiiiiiiiiiliiliiiiil, .Lfunc_end20-_ZL18flash_attn_ext_f16ILi112ELi112ELi2ELi8ELb1ELb0EEvPKcS1_S1_S1_S1_PKiPfP15HIP_vector_typeIfLj2EEffffjfiS5_IjLj3EEiiiiiiiiiiiliiliiiiil
                                        ; -- End function
	.section	.AMDGPU.csdata,"",@progbits
; Kernel info:
; codeLenInByte = 52
; NumSgprs: 36
; NumVgprs: 37
; ScratchSize: 16
; MemoryBound: 0
; FloatMode: 240
; IeeeMode: 1
; LDSByteSize: 0 bytes/workgroup (compile time only)
; SGPRBlocks: 4
; VGPRBlocks: 4
; NumSGPRsForWavesPerEU: 36
; NumVGPRsForWavesPerEU: 37
; Occupancy: 16
; WaveLimiterHint : 1
; COMPUTE_PGM_RSRC2:SCRATCH_EN: 1
; COMPUTE_PGM_RSRC2:USER_SGPR: 15
; COMPUTE_PGM_RSRC2:TRAP_HANDLER: 0
; COMPUTE_PGM_RSRC2:TGID_X_EN: 1
; COMPUTE_PGM_RSRC2:TGID_Y_EN: 0
; COMPUTE_PGM_RSRC2:TGID_Z_EN: 0
; COMPUTE_PGM_RSRC2:TIDIG_COMP_CNT: 0
	.section	.text._ZL33flash_attn_stream_k_fixup_uniformILi112ELi2ELi8EEvPfPK15HIP_vector_typeIfLj2EEiiiiiiS1_IjLj3EES5_S5_,"axG",@progbits,_ZL33flash_attn_stream_k_fixup_uniformILi112ELi2ELi8EEvPfPK15HIP_vector_typeIfLj2EEiiiiiiS1_IjLj3EES5_S5_,comdat
	.globl	_ZL33flash_attn_stream_k_fixup_uniformILi112ELi2ELi8EEvPfPK15HIP_vector_typeIfLj2EEiiiiiiS1_IjLj3EES5_S5_ ; -- Begin function _ZL33flash_attn_stream_k_fixup_uniformILi112ELi2ELi8EEvPfPK15HIP_vector_typeIfLj2EEiiiiiiS1_IjLj3EES5_S5_
	.p2align	8
	.type	_ZL33flash_attn_stream_k_fixup_uniformILi112ELi2ELi8EEvPfPK15HIP_vector_typeIfLj2EEiiiiiiS1_IjLj3EES5_S5_,@function
_ZL33flash_attn_stream_k_fixup_uniformILi112ELi2ELi8EEvPfPK15HIP_vector_typeIfLj2EEiiiiiiS1_IjLj3EES5_S5_: ; @_ZL33flash_attn_stream_k_fixup_uniformILi112ELi2ELi8EEvPfPK15HIP_vector_typeIfLj2EEiiiiiiS1_IjLj3EES5_S5_
; %bb.0:
	s_clause 0x1
	s_load_b256 s[4:11], s[0:1], 0x1c
	s_load_b128 s[16:19], s[0:1], 0x3c
	s_waitcnt lgkmcnt(0)
	s_mul_hi_u32 s2, s7, s13
	s_delay_alu instid0(SALU_CYCLE_1) | instskip(NEXT) | instid1(SALU_CYCLE_1)
	s_add_i32 s2, s13, s2
	s_lshr_b32 s2, s2, s8
	s_delay_alu instid0(SALU_CYCLE_1) | instskip(SKIP_2) | instid1(SALU_CYCLE_1)
	s_mul_i32 s3, s2, s9
	s_load_b64 s[8:9], s[0:1], 0x10
	s_sub_i32 s3, s13, s3
	s_mul_hi_u32 s7, s3, s10
	s_delay_alu instid0(SALU_CYCLE_1) | instskip(NEXT) | instid1(SALU_CYCLE_1)
	s_add_i32 s7, s3, s7
	s_lshr_b32 s7, s7, s11
	s_delay_alu instid0(SALU_CYCLE_1) | instskip(NEXT) | instid1(SALU_CYCLE_1)
	s_mul_i32 s10, s7, s16
	s_sub_i32 s3, s3, s10
	s_delay_alu instid0(SALU_CYCLE_1) | instskip(NEXT) | instid1(SALU_CYCLE_1)
	s_mul_hi_u32 s10, s3, s17
	s_add_i32 s10, s3, s10
	s_delay_alu instid0(SALU_CYCLE_1) | instskip(NEXT) | instid1(SALU_CYCLE_1)
	s_lshr_b32 s11, s10, s18
	s_mul_i32 s10, s11, s19
	s_lshl_b32 s11, s11, 3
	s_sub_i32 s10, s3, s10
	s_delay_alu instid0(SALU_CYCLE_1) | instskip(NEXT) | instid1(SALU_CYCLE_1)
	s_lshl_b32 s3, s10, 1
	s_add_i32 s3, s3, s14
	s_waitcnt lgkmcnt(0)
	s_cmp_lt_i32 s3, s8
	s_cselect_b32 s3, -1, 0
	s_add_i32 s11, s11, s15
	s_delay_alu instid0(SALU_CYCLE_1) | instskip(SKIP_1) | instid1(SALU_CYCLE_1)
	s_cmp_lt_i32 s11, s5
	s_cselect_b32 s12, -1, 0
	s_and_b32 s3, s3, s12
	s_delay_alu instid0(SALU_CYCLE_1)
	s_and_not1_b32 vcc_lo, exec_lo, s3
	s_cbranch_vccnz .LBB21_6
; %bb.1:
	s_mul_i32 s8, s2, s8
	s_mul_i32 s7, s7, s5
	s_add_i32 s8, s8, s14
	s_add_i32 s5, s11, s7
	s_mul_i32 s8, s8, s9
	s_load_b128 s[0:3], s[0:1], 0x0
	s_mul_i32 s7, s9, s10
	s_add_i32 s5, s5, s8
	s_mulk_i32 s7, 0xe0
	s_mulk_i32 s5, 0x70
	s_lshl_b32 s9, s14, 3
	v_add3_u32 v1, s5, s7, v0
	s_mul_i32 s5, s13, s6
	s_delay_alu instid0(SALU_CYCLE_1) | instskip(NEXT) | instid1(VALU_DEP_1)
	s_add_i32 s10, s5, s6
	v_ashrrev_i32_e32 v2, 31, v1
	s_delay_alu instid0(VALU_DEP_1) | instskip(SKIP_1) | instid1(VALU_DEP_1)
	v_lshlrev_b64 v[1:2], 2, v[1:2]
	s_waitcnt lgkmcnt(0)
	v_add_co_u32 v1, vcc_lo, s0, v1
	s_delay_alu instid0(VALU_DEP_2) | instskip(SKIP_4) | instid1(SALU_CYCLE_1)
	v_add_co_ci_u32_e32 v2, vcc_lo, s1, v2, vcc_lo
	s_add_i32 s0, s9, s15
	s_lshl_b32 s1, s10, 4
	global_load_b32 v5, v[1:2], off
	s_add_i32 s0, s0, s1
	s_add_i32 s0, s0, -16
	s_delay_alu instid0(SALU_CYCLE_1) | instskip(NEXT) | instid1(SALU_CYCLE_1)
	s_ashr_i32 s1, s0, 31
	s_lshl_b64 s[0:1], s[0:1], 3
	s_delay_alu instid0(SALU_CYCLE_1)
	s_add_u32 s0, s2, s0
	s_addc_u32 s1, s3, s1
	s_add_i32 s7, s10, -2
	s_load_b32 s11, s[0:1], 0x4
	s_cmp_lt_i32 s7, s5
	s_cbranch_scc1 .LBB21_4
; %bb.2:
	s_load_b32 s12, s[0:1], 0x0
	s_lshl_b32 s16, s4, 6
	s_mulk_i32 s14, 0x380
	s_ashr_i32 s17, s16, 31
	s_waitcnt lgkmcnt(0)
	v_mov_b32_e32 v6, s11
	s_lshl_b64 s[0:1], s[16:17], 2
	s_delay_alu instid0(SALU_CYCLE_1)
	s_add_u32 s7, s2, s0
	s_addc_u32 s8, s3, s1
	s_add_i32 s13, s13, 1
	s_lshl_b32 s4, s4, 4
	s_mul_i32 s0, s6, s13
	s_mul_i32 s6, s15, 0x70
	s_lshl_b32 s1, s0, 4
	s_mulk_i32 s0, 0x700
	s_add_i32 s6, s6, s14
	s_add_i32 s1, s15, s1
	;; [unrolled: 1-line block ×4, first 2 shown]
	v_add3_u32 v3, s6, v0, 0xfffff200
	v_mov_b32_e32 v0, s12
	s_add_i32 s0, s0, s9
	s_add_i32 s4, s10, -1
	s_sub_i32 s0, s0, 32
.LBB21_3:                               ; =>This Inner Loop Header: Depth=1
	s_delay_alu instid0(VALU_DEP_2) | instskip(SKIP_1) | instid1(SALU_CYCLE_1)
	v_ashrrev_i32_e32 v4, 31, v3
	s_ashr_i32 s1, s0, 31
	s_lshl_b64 s[10:11], s[0:1], 3
	s_delay_alu instid0(SALU_CYCLE_1) | instskip(NEXT) | instid1(VALU_DEP_1)
	s_add_u32 s10, s2, s10
	v_lshlrev_b64 v[7:8], 2, v[3:4]
	s_addc_u32 s11, s3, s11
	s_add_i32 s4, s4, -1
	s_add_i32 s0, s0, -16
	s_cmp_le_i32 s4, s5
	s_load_b64 s[10:11], s[10:11], 0x0
	v_add_co_u32 v7, vcc_lo, s7, v7
	v_add_co_ci_u32_e32 v8, vcc_lo, s8, v8, vcc_lo
	global_load_b32 v4, v[7:8], off
	v_max_f32_e32 v7, v0, v0
	s_waitcnt lgkmcnt(0)
	v_max_f32_e64 v8, s10, s10
	s_delay_alu instid0(VALU_DEP_1) | instskip(NEXT) | instid1(VALU_DEP_1)
	v_max_f32_e32 v7, v7, v8
	v_sub_f32_e32 v8, s10, v7
	s_delay_alu instid0(VALU_DEP_1) | instskip(NEXT) | instid1(VALU_DEP_1)
	v_dual_sub_f32 v0, v0, v7 :: v_dual_mul_f32 v9, 0x3fb8aa3b, v8
	v_fma_f32 v10, 0x3fb8aa3b, v8, -v9
	v_rndne_f32_e32 v11, v9
	s_delay_alu instid0(VALU_DEP_3) | instskip(NEXT) | instid1(VALU_DEP_2)
	v_mul_f32_e32 v12, 0x3fb8aa3b, v0
	v_dual_fmac_f32 v10, 0x32a5705f, v8 :: v_dual_sub_f32 v9, v9, v11
	v_cvt_i32_f32_e32 v11, v11
	s_delay_alu instid0(VALU_DEP_3) | instskip(SKIP_1) | instid1(VALU_DEP_4)
	v_fma_f32 v13, 0x3fb8aa3b, v0, -v12
	v_rndne_f32_e32 v14, v12
	v_add_f32_e32 v9, v9, v10
	v_cmp_ngt_f32_e32 vcc_lo, 0xc2ce8ed0, v8
	s_delay_alu instid0(VALU_DEP_3) | instskip(NEXT) | instid1(VALU_DEP_3)
	v_sub_f32_e32 v10, v12, v14
	v_exp_f32_e32 v9, v9
	s_waitcnt_depctr 0xfff
	v_ldexp_f32 v9, v9, v11
	v_cvt_i32_f32_e32 v11, v14
	s_delay_alu instid0(VALU_DEP_2) | instskip(SKIP_1) | instid1(VALU_DEP_2)
	v_cndmask_b32_e32 v9, 0, v9, vcc_lo
	v_cmp_nlt_f32_e32 vcc_lo, 0x42b17218, v8
	v_cndmask_b32_e32 v9, 0x7f800000, v9, vcc_lo
	v_cmp_ngt_f32_e32 vcc_lo, 0xc2ce8ed0, v0
	v_fmac_f32_e32 v13, 0x32a5705f, v0
	s_delay_alu instid0(VALU_DEP_1) | instskip(NEXT) | instid1(VALU_DEP_1)
	v_add_f32_e32 v10, v10, v13
	v_exp_f32_e32 v10, v10
	s_waitcnt_depctr 0xfff
	v_ldexp_f32 v10, v10, v11
	s_delay_alu instid0(VALU_DEP_1)
	v_dual_mov_b32 v11, v6 :: v_dual_cndmask_b32 v10, 0, v10
	v_cmp_le_f32_e32 vcc_lo, 0xc1a00000, v8
	s_waitcnt vmcnt(1)
	v_dual_cndmask_b32 v8, 0, v9 :: v_dual_mov_b32 v9, v5
	v_cmp_nlt_f32_e32 vcc_lo, 0x42b17218, v0
	v_cndmask_b32_e32 v5, 0x7f800000, v10, vcc_lo
	s_delay_alu instid0(VALU_DEP_3) | instskip(SKIP_2) | instid1(VALU_DEP_3)
	v_mul_f32_e32 v10, s11, v8
	v_cmp_le_f32_e32 vcc_lo, 0xc1a00000, v0
	v_mov_b32_e32 v0, v7
	v_mov_b32_e32 v6, v10
	s_waitcnt vmcnt(0)
	v_dual_cndmask_b32 v12, 0, v5 :: v_dual_mul_f32 v5, v4, v8
	s_delay_alu instid0(VALU_DEP_1) | instskip(NEXT) | instid1(VALU_DEP_2)
	v_dual_fmac_f32 v6, v11, v12 :: v_dual_add_nc_u32 v3, 0xfffff900, v3
	v_fmac_f32_e32 v5, v9, v12
	s_cbranch_scc0 .LBB21_3
	s_branch .LBB21_5
.LBB21_4:
	s_waitcnt lgkmcnt(0)
	v_mov_b32_e32 v6, s11
.LBB21_5:
	s_waitcnt vmcnt(0)
	s_delay_alu instid0(VALU_DEP_1) | instskip(NEXT) | instid1(VALU_DEP_1)
	v_div_scale_f32 v0, null, v6, v6, v5
	v_rcp_f32_e32 v3, v0
	s_waitcnt_depctr 0xfff
	v_fma_f32 v4, -v0, v3, 1.0
	s_delay_alu instid0(VALU_DEP_1) | instskip(SKIP_1) | instid1(VALU_DEP_1)
	v_fmac_f32_e32 v3, v4, v3
	v_div_scale_f32 v4, vcc_lo, v5, v6, v5
	v_mul_f32_e32 v7, v4, v3
	s_delay_alu instid0(VALU_DEP_1) | instskip(NEXT) | instid1(VALU_DEP_1)
	v_fma_f32 v8, -v0, v7, v4
	v_fmac_f32_e32 v7, v8, v3
	s_delay_alu instid0(VALU_DEP_1) | instskip(NEXT) | instid1(VALU_DEP_1)
	v_fma_f32 v0, -v0, v7, v4
	v_div_fmas_f32 v0, v0, v3, v7
	s_delay_alu instid0(VALU_DEP_1)
	v_div_fixup_f32 v0, v0, v6, v5
	global_store_b32 v[1:2], v0, off
.LBB21_6:
	s_nop 0
	s_sendmsg sendmsg(MSG_DEALLOC_VGPRS)
	s_endpgm
	.section	.rodata,"a",@progbits
	.p2align	6, 0x0
	.amdhsa_kernel _ZL33flash_attn_stream_k_fixup_uniformILi112ELi2ELi8EEvPfPK15HIP_vector_typeIfLj2EEiiiiiiS1_IjLj3EES5_S5_
		.amdhsa_group_segment_fixed_size 0
		.amdhsa_private_segment_fixed_size 0
		.amdhsa_kernarg_size 76
		.amdhsa_user_sgpr_count 13
		.amdhsa_user_sgpr_dispatch_ptr 0
		.amdhsa_user_sgpr_queue_ptr 0
		.amdhsa_user_sgpr_kernarg_segment_ptr 1
		.amdhsa_user_sgpr_dispatch_id 0
		.amdhsa_user_sgpr_private_segment_size 0
		.amdhsa_wavefront_size32 1
		.amdhsa_uses_dynamic_stack 0
		.amdhsa_enable_private_segment 0
		.amdhsa_system_sgpr_workgroup_id_x 1
		.amdhsa_system_sgpr_workgroup_id_y 1
		.amdhsa_system_sgpr_workgroup_id_z 1
		.amdhsa_system_sgpr_workgroup_info 0
		.amdhsa_system_vgpr_workitem_id 0
		.amdhsa_next_free_vgpr 15
		.amdhsa_next_free_sgpr 20
		.amdhsa_reserve_vcc 1
		.amdhsa_float_round_mode_32 0
		.amdhsa_float_round_mode_16_64 0
		.amdhsa_float_denorm_mode_32 3
		.amdhsa_float_denorm_mode_16_64 3
		.amdhsa_dx10_clamp 1
		.amdhsa_ieee_mode 1
		.amdhsa_fp16_overflow 0
		.amdhsa_workgroup_processor_mode 1
		.amdhsa_memory_ordered 1
		.amdhsa_forward_progress 0
		.amdhsa_shared_vgpr_count 0
		.amdhsa_exception_fp_ieee_invalid_op 0
		.amdhsa_exception_fp_denorm_src 0
		.amdhsa_exception_fp_ieee_div_zero 0
		.amdhsa_exception_fp_ieee_overflow 0
		.amdhsa_exception_fp_ieee_underflow 0
		.amdhsa_exception_fp_ieee_inexact 0
		.amdhsa_exception_int_div_zero 0
	.end_amdhsa_kernel
	.section	.text._ZL33flash_attn_stream_k_fixup_uniformILi112ELi2ELi8EEvPfPK15HIP_vector_typeIfLj2EEiiiiiiS1_IjLj3EES5_S5_,"axG",@progbits,_ZL33flash_attn_stream_k_fixup_uniformILi112ELi2ELi8EEvPfPK15HIP_vector_typeIfLj2EEiiiiiiS1_IjLj3EES5_S5_,comdat
.Lfunc_end21:
	.size	_ZL33flash_attn_stream_k_fixup_uniformILi112ELi2ELi8EEvPfPK15HIP_vector_typeIfLj2EEiiiiiiS1_IjLj3EES5_S5_, .Lfunc_end21-_ZL33flash_attn_stream_k_fixup_uniformILi112ELi2ELi8EEvPfPK15HIP_vector_typeIfLj2EEiiiiiiS1_IjLj3EES5_S5_
                                        ; -- End function
	.section	.AMDGPU.csdata,"",@progbits
; Kernel info:
; codeLenInByte = 992
; NumSgprs: 22
; NumVgprs: 15
; ScratchSize: 0
; MemoryBound: 0
; FloatMode: 240
; IeeeMode: 1
; LDSByteSize: 0 bytes/workgroup (compile time only)
; SGPRBlocks: 2
; VGPRBlocks: 1
; NumSGPRsForWavesPerEU: 22
; NumVGPRsForWavesPerEU: 15
; Occupancy: 16
; WaveLimiterHint : 0
; COMPUTE_PGM_RSRC2:SCRATCH_EN: 0
; COMPUTE_PGM_RSRC2:USER_SGPR: 13
; COMPUTE_PGM_RSRC2:TRAP_HANDLER: 0
; COMPUTE_PGM_RSRC2:TGID_X_EN: 1
; COMPUTE_PGM_RSRC2:TGID_Y_EN: 1
; COMPUTE_PGM_RSRC2:TGID_Z_EN: 1
; COMPUTE_PGM_RSRC2:TIDIG_COMP_CNT: 0
	.section	.text._ZL33flash_attn_stream_k_fixup_generalILi112ELi2ELi8EEvPfPK15HIP_vector_typeIfLj2EEiiiiS1_IjLj3EES5_S5_S5_,"axG",@progbits,_ZL33flash_attn_stream_k_fixup_generalILi112ELi2ELi8EEvPfPK15HIP_vector_typeIfLj2EEiiiiS1_IjLj3EES5_S5_S5_,comdat
	.globl	_ZL33flash_attn_stream_k_fixup_generalILi112ELi2ELi8EEvPfPK15HIP_vector_typeIfLj2EEiiiiS1_IjLj3EES5_S5_S5_ ; -- Begin function _ZL33flash_attn_stream_k_fixup_generalILi112ELi2ELi8EEvPfPK15HIP_vector_typeIfLj2EEiiiiS1_IjLj3EES5_S5_S5_
	.p2align	8
	.type	_ZL33flash_attn_stream_k_fixup_generalILi112ELi2ELi8EEvPfPK15HIP_vector_typeIfLj2EEiiiiS1_IjLj3EES5_S5_S5_,@function
_ZL33flash_attn_stream_k_fixup_generalILi112ELi2ELi8EEvPfPK15HIP_vector_typeIfLj2EEiiiiS1_IjLj3EES5_S5_S5_: ; @_ZL33flash_attn_stream_k_fixup_generalILi112ELi2ELi8EEvPfPK15HIP_vector_typeIfLj2EEiiiiS1_IjLj3EES5_S5_S5_
; %bb.0:
	s_clause 0x1
	s_load_b128 s[4:7], s[0:1], 0x10
	s_load_b32 s20, s[0:1], 0x50
	s_mov_b32 s2, 0
	s_waitcnt lgkmcnt(0)
	s_mul_hi_i32 s3, s7, s13
	s_mul_i32 s12, s7, s13
	s_cmp_lg_u64 s[2:3], 0
	s_cbranch_scc0 .LBB22_21
; %bb.1:
	v_cvt_f32_ubyte0_e32 v1, 0
	v_cvt_f32_u32_e32 v2, s20
	s_sub_u32 s10, 0, s20
	s_subb_u32 s11, 0, 0
	s_delay_alu instid0(VALU_DEP_1) | instskip(NEXT) | instid1(VALU_DEP_1)
	v_fmamk_f32 v1, v1, 0x4f800000, v2
	v_rcp_f32_e32 v1, v1
	s_waitcnt_depctr 0xfff
	v_mul_f32_e32 v1, 0x5f7ffffc, v1
	s_delay_alu instid0(VALU_DEP_1) | instskip(NEXT) | instid1(VALU_DEP_1)
	v_mul_f32_e32 v2, 0x2f800000, v1
	v_trunc_f32_e32 v2, v2
	s_delay_alu instid0(VALU_DEP_1) | instskip(SKIP_1) | instid1(VALU_DEP_2)
	v_fmamk_f32 v1, v2, 0xcf800000, v1
	v_cvt_u32_f32_e32 v2, v2
	v_cvt_u32_f32_e32 v1, v1
	s_delay_alu instid0(VALU_DEP_2) | instskip(NEXT) | instid1(VALU_DEP_2)
	v_readfirstlane_b32 s8, v2
	v_readfirstlane_b32 s9, v1
	s_delay_alu instid0(VALU_DEP_2) | instskip(NEXT) | instid1(VALU_DEP_1)
	s_mul_i32 s16, s10, s8
	s_mul_hi_u32 s18, s10, s9
	s_mul_i32 s17, s11, s9
	s_add_i32 s16, s18, s16
	s_mul_i32 s19, s10, s9
	s_add_i32 s16, s16, s17
	s_mul_hi_u32 s18, s9, s19
	s_mul_hi_u32 s21, s8, s19
	s_mul_i32 s17, s8, s19
	s_mul_hi_u32 s19, s9, s16
	s_mul_i32 s9, s9, s16
	s_mul_hi_u32 s22, s8, s16
	s_add_u32 s9, s18, s9
	s_addc_u32 s18, 0, s19
	s_add_u32 s9, s9, s17
	s_mul_i32 s16, s8, s16
	s_addc_u32 s9, s18, s21
	s_addc_u32 s17, s22, 0
	s_add_u32 s9, s9, s16
	s_addc_u32 s16, 0, s17
	v_add_co_u32 v1, s9, v1, s9
	s_delay_alu instid0(VALU_DEP_1) | instskip(SKIP_1) | instid1(VALU_DEP_1)
	s_cmp_lg_u32 s9, 0
	s_addc_u32 s8, s8, s16
	v_readfirstlane_b32 s9, v1
	s_mul_i32 s16, s10, s8
	s_delay_alu instid0(VALU_DEP_1)
	s_mul_hi_u32 s17, s10, s9
	s_mul_i32 s11, s11, s9
	s_add_i32 s16, s17, s16
	s_mul_i32 s10, s10, s9
	s_add_i32 s16, s16, s11
	s_mul_hi_u32 s17, s8, s10
	s_mul_i32 s18, s8, s10
	s_mul_hi_u32 s10, s9, s10
	s_mul_hi_u32 s19, s9, s16
	s_mul_i32 s9, s9, s16
	s_mul_hi_u32 s11, s8, s16
	s_add_u32 s9, s10, s9
	s_addc_u32 s10, 0, s19
	s_add_u32 s9, s9, s18
	s_mul_i32 s16, s8, s16
	s_addc_u32 s9, s10, s17
	s_addc_u32 s10, s11, 0
	s_add_u32 s9, s9, s16
	s_addc_u32 s10, 0, s10
	v_add_co_u32 v1, s9, v1, s9
	s_delay_alu instid0(VALU_DEP_1) | instskip(SKIP_2) | instid1(SALU_CYCLE_1)
	s_cmp_lg_u32 s9, 0
	s_addc_u32 s16, s8, s10
	s_ashr_i32 s8, s3, 31
	s_add_u32 s10, s12, s8
	s_addc_u32 s11, s3, s8
	v_readfirstlane_b32 s3, v1
	s_mov_b32 s9, s8
	s_delay_alu instid0(SALU_CYCLE_1) | instskip(NEXT) | instid1(SALU_CYCLE_1)
	s_xor_b64 s[10:11], s[10:11], s[8:9]
	s_mul_i32 s18, s10, s16
	s_delay_alu instid0(VALU_DEP_1)
	s_mul_hi_u32 s19, s10, s3
	s_mul_hi_u32 s17, s10, s16
	;; [unrolled: 1-line block ×3, first 2 shown]
	s_mul_i32 s3, s11, s3
	s_add_u32 s18, s19, s18
	s_addc_u32 s17, 0, s17
	s_mul_hi_u32 s21, s11, s16
	s_add_u32 s3, s18, s3
	s_mul_i32 s16, s11, s16
	s_addc_u32 s3, s17, s22
	s_addc_u32 s17, s21, 0
	s_add_u32 s3, s3, s16
	s_addc_u32 s16, 0, s17
	s_mul_i32 s18, s20, s3
	s_add_u32 s17, s3, 1
	v_sub_co_u32 v1, s10, s10, s18
	s_mul_hi_u32 s18, s20, s3
	s_addc_u32 s19, s16, 0
	s_mul_i32 s21, s20, s16
	s_delay_alu instid0(VALU_DEP_1)
	v_sub_co_u32 v2, s22, v1, s20
	s_add_u32 s23, s3, 2
	s_addc_u32 s24, s16, 0
	s_add_i32 s18, s18, s21
	s_cmp_lg_u32 s10, 0
	v_readfirstlane_b32 s10, v2
	s_subb_u32 s11, s11, s18
	s_cmp_lg_u32 s22, 0
	s_subb_u32 s18, s11, 0
	s_delay_alu instid0(VALU_DEP_1) | instskip(SKIP_4) | instid1(SALU_CYCLE_1)
	s_cmp_ge_u32 s10, s20
	s_cselect_b32 s10, -1, 0
	s_cmp_eq_u32 s18, 0
	v_readfirstlane_b32 s18, v1
	s_cselect_b32 s10, s10, -1
	s_cmp_lg_u32 s10, 0
	s_cselect_b32 s10, s23, s17
	s_cselect_b32 s17, s24, s19
	s_cmp_ge_u32 s18, s20
	s_cselect_b32 s18, -1, 0
	s_cmp_eq_u32 s11, 0
	s_cselect_b32 s11, s18, -1
	s_delay_alu instid0(SALU_CYCLE_1) | instskip(SKIP_2) | instid1(SALU_CYCLE_1)
	s_cmp_lg_u32 s11, 0
	s_cselect_b32 s11, s17, s16
	s_cselect_b32 s10, s10, s3
	s_xor_b64 s[10:11], s[10:11], s[8:9]
	s_delay_alu instid0(SALU_CYCLE_1)
	s_sub_u32 s16, s10, s8
	s_load_b128 s[8:11], s[0:1], 0x44
	s_and_not1_b32 vcc_lo, exec_lo, s2
	s_cbranch_vccnz .LBB22_3
.LBB22_2:
	v_cvt_f32_u32_e32 v1, s20
	s_sub_i32 s3, 0, s20
	s_delay_alu instid0(VALU_DEP_1) | instskip(SKIP_2) | instid1(VALU_DEP_1)
	v_rcp_iflag_f32_e32 v1, v1
	s_waitcnt_depctr 0xfff
	v_mul_f32_e32 v1, 0x4f7ffffe, v1
	v_cvt_u32_f32_e32 v1, v1
	s_delay_alu instid0(VALU_DEP_1) | instskip(NEXT) | instid1(VALU_DEP_1)
	v_readfirstlane_b32 s2, v1
	s_mul_i32 s3, s3, s2
	s_delay_alu instid0(SALU_CYCLE_1) | instskip(NEXT) | instid1(SALU_CYCLE_1)
	s_mul_hi_u32 s3, s2, s3
	s_add_i32 s2, s2, s3
	s_delay_alu instid0(SALU_CYCLE_1) | instskip(NEXT) | instid1(SALU_CYCLE_1)
	s_mul_hi_u32 s2, s12, s2
	s_mul_i32 s3, s2, s20
	s_waitcnt lgkmcnt(0)
	s_add_i32 s11, s2, 1
	s_sub_i32 s3, s12, s3
	s_delay_alu instid0(SALU_CYCLE_1)
	s_sub_i32 s12, s3, s20
	s_cmp_ge_u32 s3, s20
	s_cselect_b32 s2, s11, s2
	s_cselect_b32 s3, s12, s3
	s_add_i32 s11, s2, 1
	s_cmp_ge_u32 s3, s20
	s_cselect_b32 s16, s11, s2
.LBB22_3:
	s_waitcnt lgkmcnt(0)
	s_add_i32 s11, s13, 1
	s_mov_b32 s2, 0
	s_mul_hi_i32 s3, s7, s11
	s_mul_i32 s11, s7, s11
	s_cmp_lg_u64 s[2:3], 0
	s_cbranch_scc0 .LBB22_22
; %bb.4:
	v_cvt_f32_ubyte0_e32 v1, 0
	v_cvt_f32_u32_e32 v2, s20
	s_sub_u32 s18, 0, s20
	s_subb_u32 s19, 0, 0
	s_delay_alu instid0(VALU_DEP_1) | instskip(NEXT) | instid1(VALU_DEP_1)
	v_fmamk_f32 v1, v1, 0x4f800000, v2
	v_rcp_f32_e32 v1, v1
	s_waitcnt_depctr 0xfff
	v_mul_f32_e32 v1, 0x5f7ffffc, v1
	s_delay_alu instid0(VALU_DEP_1) | instskip(NEXT) | instid1(VALU_DEP_1)
	v_mul_f32_e32 v2, 0x2f800000, v1
	v_trunc_f32_e32 v2, v2
	s_delay_alu instid0(VALU_DEP_1) | instskip(SKIP_1) | instid1(VALU_DEP_2)
	v_fmamk_f32 v1, v2, 0xcf800000, v1
	v_cvt_u32_f32_e32 v2, v2
	v_cvt_u32_f32_e32 v1, v1
	s_delay_alu instid0(VALU_DEP_2) | instskip(NEXT) | instid1(VALU_DEP_2)
	v_readfirstlane_b32 s12, v2
	v_readfirstlane_b32 s17, v1
	s_delay_alu instid0(VALU_DEP_2) | instskip(NEXT) | instid1(VALU_DEP_1)
	s_mul_i32 s21, s18, s12
	s_mul_hi_u32 s23, s18, s17
	s_mul_i32 s22, s19, s17
	s_add_i32 s21, s23, s21
	s_mul_i32 s24, s18, s17
	s_add_i32 s21, s21, s22
	s_mul_hi_u32 s23, s17, s24
	s_mul_hi_u32 s25, s12, s24
	s_mul_i32 s22, s12, s24
	s_mul_hi_u32 s24, s17, s21
	s_mul_i32 s17, s17, s21
	s_mul_hi_u32 s26, s12, s21
	s_add_u32 s17, s23, s17
	s_addc_u32 s23, 0, s24
	s_add_u32 s17, s17, s22
	s_mul_i32 s21, s12, s21
	s_addc_u32 s17, s23, s25
	s_addc_u32 s22, s26, 0
	s_add_u32 s17, s17, s21
	s_addc_u32 s21, 0, s22
	v_add_co_u32 v1, s17, v1, s17
	s_delay_alu instid0(VALU_DEP_1) | instskip(SKIP_1) | instid1(VALU_DEP_1)
	s_cmp_lg_u32 s17, 0
	s_addc_u32 s12, s12, s21
	v_readfirstlane_b32 s17, v1
	s_mul_i32 s21, s18, s12
	s_delay_alu instid0(VALU_DEP_1)
	s_mul_hi_u32 s22, s18, s17
	s_mul_i32 s19, s19, s17
	s_add_i32 s21, s22, s21
	s_mul_i32 s18, s18, s17
	s_add_i32 s21, s21, s19
	s_mul_hi_u32 s22, s12, s18
	s_mul_i32 s23, s12, s18
	s_mul_hi_u32 s18, s17, s18
	s_mul_hi_u32 s24, s17, s21
	s_mul_i32 s17, s17, s21
	s_mul_hi_u32 s19, s12, s21
	s_add_u32 s17, s18, s17
	s_addc_u32 s18, 0, s24
	s_add_u32 s17, s17, s23
	s_mul_i32 s21, s12, s21
	s_addc_u32 s17, s18, s22
	s_addc_u32 s18, s19, 0
	s_add_u32 s17, s17, s21
	s_addc_u32 s18, 0, s18
	v_add_co_u32 v1, s17, v1, s17
	s_delay_alu instid0(VALU_DEP_1) | instskip(SKIP_2) | instid1(SALU_CYCLE_1)
	s_cmp_lg_u32 s17, 0
	s_addc_u32 s12, s12, s18
	s_ashr_i32 s18, s3, 31
	s_add_u32 s22, s11, s18
	s_addc_u32 s23, s3, s18
	v_readfirstlane_b32 s3, v1
	s_mov_b32 s19, s18
	s_delay_alu instid0(SALU_CYCLE_1) | instskip(NEXT) | instid1(SALU_CYCLE_1)
	s_xor_b64 s[22:23], s[22:23], s[18:19]
	s_mul_i32 s21, s22, s12
	s_delay_alu instid0(VALU_DEP_1)
	s_mul_hi_u32 s24, s22, s3
	s_mul_hi_u32 s17, s22, s12
	;; [unrolled: 1-line block ×3, first 2 shown]
	s_mul_i32 s3, s23, s3
	s_add_u32 s21, s24, s21
	s_addc_u32 s17, 0, s17
	s_mul_hi_u32 s25, s23, s12
	s_add_u32 s3, s21, s3
	s_mul_i32 s12, s23, s12
	s_addc_u32 s3, s17, s26
	s_addc_u32 s17, s25, 0
	s_add_u32 s3, s3, s12
	s_addc_u32 s12, 0, s17
	s_mul_i32 s21, s20, s3
	s_add_u32 s17, s3, 1
	v_sub_co_u32 v1, s21, s22, s21
	s_mul_hi_u32 s22, s20, s3
	s_addc_u32 s24, s12, 0
	s_mul_i32 s25, s20, s12
	s_delay_alu instid0(VALU_DEP_1)
	v_sub_co_u32 v2, s26, v1, s20
	s_add_u32 s27, s3, 2
	s_addc_u32 s28, s12, 0
	s_add_i32 s22, s22, s25
	s_cmp_lg_u32 s21, 0
	v_readfirstlane_b32 s21, v2
	s_subb_u32 s22, s23, s22
	s_cmp_lg_u32 s26, 0
	s_subb_u32 s23, s22, 0
	s_delay_alu instid0(VALU_DEP_1) | instskip(SKIP_4) | instid1(SALU_CYCLE_1)
	s_cmp_ge_u32 s21, s20
	s_cselect_b32 s21, -1, 0
	s_cmp_eq_u32 s23, 0
	v_readfirstlane_b32 s23, v1
	s_cselect_b32 s21, s21, -1
	s_cmp_lg_u32 s21, 0
	s_cselect_b32 s17, s27, s17
	s_cselect_b32 s21, s28, s24
	s_cmp_ge_u32 s23, s20
	s_cselect_b32 s23, -1, 0
	s_cmp_eq_u32 s22, 0
	s_cselect_b32 s22, s23, -1
	s_delay_alu instid0(SALU_CYCLE_1) | instskip(SKIP_2) | instid1(SALU_CYCLE_1)
	s_cmp_lg_u32 s22, 0
	s_cselect_b32 s23, s21, s12
	s_cselect_b32 s22, s17, s3
	s_xor_b64 s[22:23], s[22:23], s[18:19]
	s_delay_alu instid0(SALU_CYCLE_1)
	s_sub_u32 s18, s22, s18
	s_and_not1_b32 vcc_lo, exec_lo, s2
	s_cbranch_vccnz .LBB22_6
.LBB22_5:
	v_cvt_f32_u32_e32 v1, s20
	s_sub_i32 s3, 0, s20
	s_delay_alu instid0(VALU_DEP_1) | instskip(SKIP_2) | instid1(VALU_DEP_1)
	v_rcp_iflag_f32_e32 v1, v1
	s_waitcnt_depctr 0xfff
	v_mul_f32_e32 v1, 0x4f7ffffe, v1
	v_cvt_u32_f32_e32 v1, v1
	s_delay_alu instid0(VALU_DEP_1) | instskip(NEXT) | instid1(VALU_DEP_1)
	v_readfirstlane_b32 s2, v1
	s_mul_i32 s3, s3, s2
	s_delay_alu instid0(SALU_CYCLE_1) | instskip(NEXT) | instid1(SALU_CYCLE_1)
	s_mul_hi_u32 s3, s2, s3
	s_add_i32 s2, s2, s3
	s_delay_alu instid0(SALU_CYCLE_1) | instskip(NEXT) | instid1(SALU_CYCLE_1)
	s_mul_hi_u32 s2, s11, s2
	s_mul_i32 s3, s2, s20
	s_delay_alu instid0(SALU_CYCLE_1)
	s_sub_i32 s3, s11, s3
	s_add_i32 s11, s2, 1
	s_sub_i32 s12, s3, s20
	s_cmp_ge_u32 s3, s20
	s_cselect_b32 s2, s11, s2
	s_cselect_b32 s3, s12, s3
	s_add_i32 s11, s2, 1
	s_cmp_ge_u32 s3, s20
	s_cselect_b32 s18, s11, s2
.LBB22_6:
	s_delay_alu instid0(SALU_CYCLE_1) | instskip(SKIP_3) | instid1(SALU_CYCLE_1)
	s_cmp_eq_u32 s16, s18
	s_mul_hi_u32 s2, s16, s8
	s_cselect_b32 s3, -1, 0
	s_add_i32 s2, s2, s16
	s_lshr_b32 s11, s2, s9
	s_delay_alu instid0(SALU_CYCLE_1) | instskip(NEXT) | instid1(SALU_CYCLE_1)
	s_mul_i32 s2, s11, s10
	s_cmp_eq_u32 s2, s16
	s_mul_hi_u32 s2, s18, s8
	s_cselect_b32 s12, -1, 0
	s_add_i32 s2, s2, s18
	s_delay_alu instid0(SALU_CYCLE_1) | instskip(NEXT) | instid1(SALU_CYCLE_1)
	s_lshr_b32 s2, s2, s9
	s_cmp_eq_u32 s11, s2
	s_mul_i32 s2, s2, s10
	s_cselect_b32 s17, -1, 0
	s_cmp_lg_u32 s2, s18
	s_cselect_b32 s2, -1, 0
	s_or_b32 s3, s3, s12
	s_and_b32 s2, s17, s2
	s_delay_alu instid0(SALU_CYCLE_1) | instskip(NEXT) | instid1(SALU_CYCLE_1)
	s_or_b32 s2, s3, s2
	s_and_b32 vcc_lo, exec_lo, s2
	s_cbranch_vccnz .LBB22_24
; %bb.7:
	s_load_b256 s[24:31], s[0:1], 0x20
	s_waitcnt lgkmcnt(0)
	s_mul_hi_u32 s2, s16, s24
	s_delay_alu instid0(SALU_CYCLE_1) | instskip(NEXT) | instid1(SALU_CYCLE_1)
	s_add_i32 s2, s2, s16
	s_lshr_b32 s17, s2, s25
	s_load_b32 s2, s[0:1], 0x40
	s_mul_i32 s3, s17, s26
	s_delay_alu instid0(SALU_CYCLE_1) | instskip(NEXT) | instid1(SALU_CYCLE_1)
	s_sub_i32 s3, s16, s3
	s_mul_hi_u32 s12, s3, s27
	s_delay_alu instid0(SALU_CYCLE_1) | instskip(NEXT) | instid1(SALU_CYCLE_1)
	s_add_i32 s12, s3, s12
	s_lshr_b32 s19, s12, s28
	s_delay_alu instid0(SALU_CYCLE_1) | instskip(NEXT) | instid1(SALU_CYCLE_1)
	s_mul_i32 s12, s19, s29
	s_sub_i32 s3, s3, s12
	s_delay_alu instid0(SALU_CYCLE_1) | instskip(NEXT) | instid1(SALU_CYCLE_1)
	s_mul_hi_u32 s12, s3, s30
	s_add_i32 s12, s3, s12
	s_delay_alu instid0(SALU_CYCLE_1)
	s_lshr_b32 s12, s12, s31
	s_waitcnt lgkmcnt(0)
	s_mul_i32 s2, s12, s2
	s_lshl_b32 s21, s12, 3
	s_sub_i32 s2, s3, s2
	s_mov_b32 s12, 0
	s_mul_hi_u32 s3, s2, s8
	s_delay_alu instid0(SALU_CYCLE_1) | instskip(NEXT) | instid1(SALU_CYCLE_1)
	s_add_i32 s2, s2, s3
	s_lshr_b32 s18, s2, s9
	s_delay_alu instid0(SALU_CYCLE_1) | instskip(NEXT) | instid1(SALU_CYCLE_1)
	s_lshl_b32 s2, s18, 1
	s_add_i32 s2, s2, s14
	s_delay_alu instid0(SALU_CYCLE_1) | instskip(SKIP_2) | instid1(SALU_CYCLE_1)
	s_cmp_lt_i32 s2, s4
	s_cselect_b32 s2, -1, 0
	s_add_i32 s21, s21, s15
	s_cmp_lt_i32 s21, s6
	s_cselect_b32 s3, -1, 0
	s_delay_alu instid0(SALU_CYCLE_1) | instskip(NEXT) | instid1(SALU_CYCLE_1)
	s_and_b32 s2, s2, s3
	s_and_not1_b32 vcc_lo, exec_lo, s2
	s_cbranch_vccnz .LBB22_24
; %bb.8:
	s_load_b128 s[0:3], s[0:1], 0x0
	s_lshl_b32 s22, s20, 6
	s_mov_b32 s23, s12
	s_lshl_b32 s24, s14, 3
	s_lshl_b64 s[22:23], s[22:23], 2
	s_mul_i32 s19, s19, s6
	s_mul_i32 s4, s17, s4
	s_add_i32 s6, s24, s15
	v_cvt_f32_ubyte0_e32 v3, 0
	v_cvt_f32_u32_e32 v4, s20
	s_waitcnt lgkmcnt(0)
	s_add_u32 s15, s2, s22
	s_addc_u32 s17, s3, s23
	s_add_i32 s4, s4, s14
	s_add_i32 s14, s21, s19
	s_mul_i32 s4, s4, s5
	s_mul_i32 s5, s5, s18
	s_add_i32 s4, s14, s4
	s_mulk_i32 s5, 0xe0
	s_mulk_i32 s4, 0x70
	s_delay_alu instid0(SALU_CYCLE_1) | instskip(NEXT) | instid1(VALU_DEP_1)
	v_add3_u32 v1, s5, s4, v0
	v_ashrrev_i32_e32 v2, 31, v1
	s_delay_alu instid0(VALU_DEP_1) | instskip(NEXT) | instid1(VALU_DEP_1)
	v_lshlrev_b64 v[1:2], 2, v[1:2]
	v_add_co_u32 v1, vcc_lo, s0, v1
	s_delay_alu instid0(VALU_DEP_2) | instskip(SKIP_1) | instid1(SALU_CYCLE_1)
	v_add_co_ci_u32_e32 v2, vcc_lo, s1, v2, vcc_lo
	s_lshl_b32 s0, s13, 4
	s_add_i32 s0, s6, s0
	global_load_b32 v5, v[1:2], off
	s_ashr_i32 s1, s0, 31
	s_delay_alu instid0(SALU_CYCLE_1) | instskip(NEXT) | instid1(SALU_CYCLE_1)
	s_lshl_b64 s[0:1], s[0:1], 3
	s_add_u32 s0, s2, s0
	s_addc_u32 s1, s3, s1
	s_add_i32 s18, s13, -1
	s_load_b64 s[0:1], s[0:1], 0x0
	v_fmac_f32_e32 v4, 0x4f800000, v3
	s_sub_i32 s14, 0, s20
	s_delay_alu instid0(VALU_DEP_1)
	v_rcp_f32_e32 v3, v4
	s_waitcnt_depctr 0xfff
	v_mul_f32_e32 v6, 0x5f7ffffc, v3
	v_cvt_f32_u32_e32 v3, s20
	s_waitcnt lgkmcnt(0)
	v_mov_b32_e32 v8, s0
	s_delay_alu instid0(VALU_DEP_3) | instskip(NEXT) | instid1(VALU_DEP_3)
	v_mul_f32_e32 v4, 0x2f800000, v6
	v_rcp_iflag_f32_e32 v7, v3
	s_delay_alu instid0(VALU_DEP_1) | instskip(SKIP_1) | instid1(VALU_DEP_2)
	v_trunc_f32_e32 v9, v4
	v_mad_u64_u32 v[3:4], null, 0x70, s6, v[0:1]
	v_fmac_f32_e32 v6, 0xcf800000, v9
	s_waitcnt_depctr 0xfff
	v_dual_mul_f32 v10, 0x4f7ffffe, v7 :: v_dual_mov_b32 v7, s1
	v_cvt_u32_f32_e32 v4, v9
	v_cvt_u32_f32_e32 v0, v6
	s_delay_alu instid0(VALU_DEP_3)
	v_cvt_u32_f32_e32 v6, v10
.LBB22_9:                               ; =>This Inner Loop Header: Depth=1
	s_mul_hi_i32 s13, s18, s7
	s_mul_i32 s4, s18, s7
	s_cmp_lg_u64 s[12:13], 0
	s_mov_b32 s5, -1
                                        ; implicit-def: $sgpr0_sgpr1
	s_cbranch_scc0 .LBB22_11
; %bb.10:                               ;   in Loop: Header=BB22_9 Depth=1
	v_readfirstlane_b32 s0, v0
	v_readfirstlane_b32 s1, v4
	s_sub_u32 s5, 0, s20
	s_subb_u32 s19, 0, 0
	s_delay_alu instid0(VALU_DEP_2) | instskip(NEXT) | instid1(VALU_DEP_1)
	s_mul_hi_u32 s21, s5, s0
	s_mul_i32 s22, s5, s1
	s_mul_i32 s23, s19, s0
	s_add_i32 s21, s21, s22
	s_mul_i32 s22, s5, s0
	s_add_i32 s21, s21, s23
	s_mul_hi_u32 s23, s0, s22
	s_mul_i32 s24, s0, s21
	s_mul_hi_u32 s0, s0, s21
	s_add_u32 s23, s23, s24
	s_mul_i32 s25, s1, s22
	s_addc_u32 s0, 0, s0
	s_mul_hi_u32 s22, s1, s22
	s_mul_hi_u32 s24, s1, s21
	s_add_u32 s23, s23, s25
	s_addc_u32 s0, s0, s22
	s_mul_i32 s21, s1, s21
	s_addc_u32 s22, s24, 0
	s_add_u32 s0, s0, s21
	s_addc_u32 s21, 0, s22
	v_add_co_u32 v9, s0, v0, s0
	s_delay_alu instid0(VALU_DEP_1) | instskip(SKIP_1) | instid1(VALU_DEP_1)
	s_cmp_lg_u32 s0, 0
	s_addc_u32 s1, s1, s21
	v_readfirstlane_b32 s0, v9
	s_mul_i32 s21, s5, s1
	s_delay_alu instid0(VALU_DEP_1)
	s_mul_hi_u32 s22, s5, s0
	s_mul_i32 s19, s19, s0
	s_add_i32 s21, s22, s21
	s_mul_i32 s5, s5, s0
	s_add_i32 s21, s21, s19
	s_mul_hi_u32 s19, s1, s5
	s_mul_i32 s23, s1, s5
	s_mul_i32 s24, s0, s21
	s_mul_hi_u32 s5, s0, s5
	s_mul_hi_u32 s0, s0, s21
	s_add_u32 s5, s5, s24
	s_addc_u32 s0, 0, s0
	s_mul_hi_u32 s22, s1, s21
	s_add_u32 s5, s5, s23
	s_addc_u32 s0, s0, s19
	s_mul_i32 s5, s1, s21
	s_addc_u32 s19, s22, 0
	s_add_u32 s0, s0, s5
	s_addc_u32 s5, 0, s19
	v_add_co_u32 v9, s0, v9, s0
	s_delay_alu instid0(VALU_DEP_1) | instskip(SKIP_2) | instid1(SALU_CYCLE_1)
	s_cmp_lg_u32 s0, 0
	s_addc_u32 s5, s1, s5
	s_ashr_i32 s0, s13, 31
	s_add_u32 s22, s4, s0
	s_addc_u32 s23, s13, s0
	v_readfirstlane_b32 s13, v9
	s_mov_b32 s1, s0
	s_delay_alu instid0(SALU_CYCLE_1) | instskip(NEXT) | instid1(SALU_CYCLE_1)
	s_xor_b64 s[22:23], s[22:23], s[0:1]
	s_mul_i32 s19, s22, s5
	s_delay_alu instid0(VALU_DEP_1)
	s_mul_hi_u32 s21, s22, s13
	s_mul_hi_u32 s24, s22, s5
	s_add_u32 s19, s21, s19
	s_mul_i32 s25, s23, s13
	s_addc_u32 s21, 0, s24
	s_mul_hi_u32 s13, s23, s13
	s_mul_hi_u32 s24, s23, s5
	s_add_u32 s19, s19, s25
	s_addc_u32 s13, s21, s13
	s_mul_i32 s5, s23, s5
	s_addc_u32 s19, s24, 0
	s_add_u32 s5, s13, s5
	s_addc_u32 s13, 0, s19
	s_mul_i32 s21, s20, s5
	s_add_u32 s19, s5, 1
	v_sub_co_u32 v9, s21, s22, s21
	s_addc_u32 s22, s13, 0
	s_mul_i32 s25, s20, s13
	s_mul_hi_u32 s27, s20, s5
	s_delay_alu instid0(VALU_DEP_1)
	v_sub_co_u32 v10, s26, v9, s20
	s_add_u32 s24, s5, 2
	s_addc_u32 s28, s13, 0
	s_add_i32 s27, s27, s25
	s_cmp_lg_u32 s21, 0
	v_readfirstlane_b32 s21, v10
	s_subb_u32 s23, s23, s27
	s_cmp_lg_u32 s26, 0
	s_subb_u32 s25, s23, 0
	s_delay_alu instid0(VALU_DEP_1) | instskip(SKIP_4) | instid1(SALU_CYCLE_1)
	s_cmp_ge_u32 s21, s20
	s_cselect_b32 s21, -1, 0
	s_cmp_eq_u32 s25, 0
	v_readfirstlane_b32 s25, v9
	s_cselect_b32 s21, s21, -1
	s_cmp_lg_u32 s21, 0
	s_cselect_b32 s19, s24, s19
	s_cselect_b32 s21, s28, s22
	s_cmp_ge_u32 s25, s20
	s_cselect_b32 s22, -1, 0
	s_cmp_eq_u32 s23, 0
	s_cselect_b32 s22, s22, -1
	s_delay_alu instid0(SALU_CYCLE_1) | instskip(SKIP_4) | instid1(SALU_CYCLE_1)
	s_cmp_lg_u32 s22, 0
	s_cselect_b32 s23, s21, s13
	s_cselect_b32 s22, s19, s5
	s_mov_b32 s5, 0
	s_xor_b64 s[22:23], s[22:23], s[0:1]
	s_sub_u32 s0, s22, s0
.LBB22_11:                              ;   in Loop: Header=BB22_9 Depth=1
	s_and_not1_b32 vcc_lo, exec_lo, s5
	s_cbranch_vccnz .LBB22_13
; %bb.12:                               ;   in Loop: Header=BB22_9 Depth=1
	v_readfirstlane_b32 s0, v6
	s_delay_alu instid0(VALU_DEP_1) | instskip(NEXT) | instid1(SALU_CYCLE_1)
	s_mul_i32 s1, s14, s0
	s_mul_hi_u32 s1, s0, s1
	s_delay_alu instid0(SALU_CYCLE_1) | instskip(NEXT) | instid1(SALU_CYCLE_1)
	s_add_i32 s0, s0, s1
	s_mul_hi_u32 s0, s4, s0
	s_delay_alu instid0(SALU_CYCLE_1) | instskip(NEXT) | instid1(SALU_CYCLE_1)
	s_mul_i32 s1, s0, s20
	s_sub_i32 s1, s4, s1
	s_add_i32 s4, s0, 1
	s_sub_i32 s5, s1, s20
	s_cmp_ge_u32 s1, s20
	s_cselect_b32 s0, s4, s0
	s_cselect_b32 s1, s5, s1
	s_add_i32 s4, s0, 1
	s_cmp_ge_u32 s1, s20
	s_cselect_b32 s0, s4, s0
.LBB22_13:                              ;   in Loop: Header=BB22_9 Depth=1
	s_delay_alu instid0(SALU_CYCLE_1)
	s_cmp_lg_u32 s16, s0
	s_cbranch_scc0 .LBB22_17
; %bb.14:                               ;   in Loop: Header=BB22_9 Depth=1
	s_add_i32 s1, s18, s20
	s_mov_b32 s5, s12
	s_lshl_b32 s1, s1, 4
	s_mov_b32 s19, s16
	s_add_i32 s4, s1, s6
	s_mul_hi_u32 s1, s0, s8
	s_lshl_b64 s[4:5], s[4:5], 3
	s_delay_alu instid0(SALU_CYCLE_1) | instskip(SKIP_2) | instid1(SALU_CYCLE_1)
	s_add_u32 s4, s2, s4
	s_addc_u32 s5, s3, s5
	s_add_i32 s1, s1, s0
	s_lshr_b32 s1, s1, s9
	s_delay_alu instid0(SALU_CYCLE_1) | instskip(NEXT) | instid1(SALU_CYCLE_1)
	s_mul_i32 s13, s1, s10
	s_cmp_eq_u32 s13, s0
	s_cselect_b32 s13, -1, 0
	s_cmp_lt_u32 s1, s11
	s_cselect_b32 s1, -1, 0
	s_delay_alu instid0(SALU_CYCLE_1)
	s_or_b32 s1, s1, s13
	s_mov_b32 s13, -1
	s_and_b32 vcc_lo, exec_lo, s1
	s_mov_b32 s1, s18
	s_cbranch_vccnz .LBB22_16
; %bb.15:                               ;   in Loop: Header=BB22_9 Depth=1
	s_add_i32 s1, s18, -1
	s_mov_b32 s13, 0
	s_mov_b32 s19, s0
.LBB22_16:                              ;   in Loop: Header=BB22_9 Depth=1
	v_mad_u64_u32 v[9:10], null, 0x700, s18, v[3:4]
	s_load_b64 s[4:5], s[4:5], 0x0
	s_delay_alu instid0(VALU_DEP_1) | instskip(NEXT) | instid1(VALU_DEP_1)
	v_ashrrev_i32_e32 v10, 31, v9
	v_lshlrev_b64 v[9:10], 2, v[9:10]
	s_delay_alu instid0(VALU_DEP_1) | instskip(NEXT) | instid1(VALU_DEP_2)
	v_add_co_u32 v9, vcc_lo, s15, v9
	v_add_co_ci_u32_e32 v10, vcc_lo, s17, v10, vcc_lo
	s_waitcnt lgkmcnt(0)
	v_max_f32_e64 v11, s4, s4
	global_load_b32 v10, v[9:10], off
	v_max_f32_e32 v9, v8, v8
	s_delay_alu instid0(VALU_DEP_1) | instskip(NEXT) | instid1(VALU_DEP_1)
	v_max_f32_e32 v9, v9, v11
	v_sub_f32_e32 v12, v8, v9
	s_delay_alu instid0(VALU_DEP_1) | instskip(NEXT) | instid1(VALU_DEP_1)
	v_dual_mul_f32 v14, 0x3fb8aa3b, v12 :: v_dual_sub_f32 v11, s4, v9
	v_rndne_f32_e32 v18, v14
	s_delay_alu instid0(VALU_DEP_2) | instskip(SKIP_2) | instid1(VALU_DEP_4)
	v_mul_f32_e32 v13, 0x3fb8aa3b, v11
	v_fma_f32 v17, 0x3fb8aa3b, v12, -v14
	v_cmp_ngt_f32_e32 vcc_lo, 0xc2ce8ed0, v11
	v_sub_f32_e32 v14, v14, v18
	s_delay_alu instid0(VALU_DEP_4) | instskip(SKIP_2) | instid1(VALU_DEP_3)
	v_fma_f32 v15, 0x3fb8aa3b, v11, -v13
	v_rndne_f32_e32 v16, v13
	v_fmac_f32_e32 v17, 0x32a5705f, v12
	v_fmac_f32_e32 v15, 0x32a5705f, v11
	s_delay_alu instid0(VALU_DEP_2) | instskip(NEXT) | instid1(VALU_DEP_1)
	v_dual_sub_f32 v13, v13, v16 :: v_dual_add_f32 v14, v14, v17
	v_add_f32_e32 v13, v13, v15
	s_delay_alu instid0(VALU_DEP_2) | instskip(SKIP_2) | instid1(VALU_DEP_3)
	v_exp_f32_e32 v14, v14
	v_cvt_i32_f32_e32 v15, v16
	v_cvt_i32_f32_e32 v16, v18
	v_exp_f32_e32 v13, v13
	s_waitcnt_depctr 0xfff
	v_ldexp_f32 v14, v14, v16
	v_ldexp_f32 v13, v13, v15
	s_delay_alu instid0(VALU_DEP_1) | instskip(SKIP_1) | instid1(VALU_DEP_4)
	v_cndmask_b32_e32 v13, 0, v13, vcc_lo
	v_cmp_ngt_f32_e32 vcc_lo, 0xc2ce8ed0, v12
	v_cndmask_b32_e32 v14, 0, v14, vcc_lo
	v_cmp_nlt_f32_e32 vcc_lo, 0x42b17218, v11
	s_delay_alu instid0(VALU_DEP_4) | instskip(SKIP_1) | instid1(VALU_DEP_4)
	v_cndmask_b32_e32 v13, 0x7f800000, v13, vcc_lo
	v_cmp_nlt_f32_e32 vcc_lo, 0x42b17218, v12
	v_cndmask_b32_e32 v14, 0x7f800000, v14, vcc_lo
	v_cmp_le_f32_e32 vcc_lo, 0xc1a00000, v11
	s_delay_alu instid0(VALU_DEP_4) | instskip(SKIP_1) | instid1(VALU_DEP_4)
	v_cndmask_b32_e32 v11, 0, v13, vcc_lo
	v_cmp_le_f32_e32 vcc_lo, 0xc1a00000, v12
	v_cndmask_b32_e32 v12, 0, v14, vcc_lo
	s_waitcnt vmcnt(0)
	s_delay_alu instid0(VALU_DEP_3) | instskip(NEXT) | instid1(VALU_DEP_1)
	v_mul_f32_e32 v10, v10, v11
	v_dual_mul_f32 v11, s5, v11 :: v_dual_fmac_f32 v10, v5, v12
	s_delay_alu instid0(VALU_DEP_1)
	v_fmac_f32_e32 v11, v7, v12
	s_cbranch_execz .LBB22_18
	s_branch .LBB22_19
.LBB22_17:                              ;   in Loop: Header=BB22_9 Depth=1
                                        ; implicit-def: $sgpr13
                                        ; implicit-def: $vgpr10
                                        ; implicit-def: $vgpr9
                                        ; implicit-def: $vgpr11
                                        ; implicit-def: $sgpr1
                                        ; implicit-def: $sgpr19
.LBB22_18:                              ;   in Loop: Header=BB22_9 Depth=1
	s_waitcnt vmcnt(0)
	v_dual_mov_b32 v11, v7 :: v_dual_mov_b32 v10, v5
	v_mov_b32_e32 v9, v8
	s_add_i32 s1, s18, -1
	s_mov_b32 s13, 0
	s_mov_b32 s19, s16
.LBB22_19:                              ;   in Loop: Header=BB22_9 Depth=1
	s_and_not1_b32 vcc_lo, exec_lo, s13
	s_cbranch_vccz .LBB22_23
; %bb.20:                               ;   in Loop: Header=BB22_9 Depth=1
	v_dual_mov_b32 v7, v11 :: v_dual_mov_b32 v8, v9
	s_waitcnt vmcnt(0)
	v_mov_b32_e32 v5, v10
	s_mov_b32 s16, s19
	s_mov_b32 s18, s1
	s_branch .LBB22_9
.LBB22_21:
                                        ; implicit-def: $sgpr16_sgpr17
	s_load_b128 s[8:11], s[0:1], 0x44
	s_branch .LBB22_2
.LBB22_22:
                                        ; implicit-def: $sgpr18_sgpr19
	s_branch .LBB22_5
.LBB22_23:
	v_div_scale_f32 v0, null, v11, v11, v10
	s_delay_alu instid0(VALU_DEP_1) | instskip(SKIP_2) | instid1(VALU_DEP_1)
	v_rcp_f32_e32 v3, v0
	s_waitcnt_depctr 0xfff
	v_fma_f32 v4, -v0, v3, 1.0
	v_fmac_f32_e32 v3, v4, v3
	v_div_scale_f32 v4, vcc_lo, v10, v11, v10
	s_waitcnt vmcnt(0)
	s_delay_alu instid0(VALU_DEP_1) | instskip(NEXT) | instid1(VALU_DEP_1)
	v_mul_f32_e32 v5, v4, v3
	v_fma_f32 v6, -v0, v5, v4
	s_delay_alu instid0(VALU_DEP_1) | instskip(NEXT) | instid1(VALU_DEP_1)
	v_fmac_f32_e32 v5, v6, v3
	v_fma_f32 v0, -v0, v5, v4
	s_delay_alu instid0(VALU_DEP_1) | instskip(NEXT) | instid1(VALU_DEP_1)
	v_div_fmas_f32 v0, v0, v3, v5
	v_div_fixup_f32 v0, v0, v11, v10
	global_store_b32 v[1:2], v0, off
.LBB22_24:
	s_nop 0
	s_sendmsg sendmsg(MSG_DEALLOC_VGPRS)
	s_endpgm
	.section	.rodata,"a",@progbits
	.p2align	6, 0x0
	.amdhsa_kernel _ZL33flash_attn_stream_k_fixup_generalILi112ELi2ELi8EEvPfPK15HIP_vector_typeIfLj2EEiiiiS1_IjLj3EES5_S5_S5_
		.amdhsa_group_segment_fixed_size 0
		.amdhsa_private_segment_fixed_size 0
		.amdhsa_kernarg_size 336
		.amdhsa_user_sgpr_count 13
		.amdhsa_user_sgpr_dispatch_ptr 0
		.amdhsa_user_sgpr_queue_ptr 0
		.amdhsa_user_sgpr_kernarg_segment_ptr 1
		.amdhsa_user_sgpr_dispatch_id 0
		.amdhsa_user_sgpr_private_segment_size 0
		.amdhsa_wavefront_size32 1
		.amdhsa_uses_dynamic_stack 0
		.amdhsa_enable_private_segment 0
		.amdhsa_system_sgpr_workgroup_id_x 1
		.amdhsa_system_sgpr_workgroup_id_y 1
		.amdhsa_system_sgpr_workgroup_id_z 1
		.amdhsa_system_sgpr_workgroup_info 0
		.amdhsa_system_vgpr_workitem_id 0
		.amdhsa_next_free_vgpr 19
		.amdhsa_next_free_sgpr 32
		.amdhsa_reserve_vcc 1
		.amdhsa_float_round_mode_32 0
		.amdhsa_float_round_mode_16_64 0
		.amdhsa_float_denorm_mode_32 3
		.amdhsa_float_denorm_mode_16_64 3
		.amdhsa_dx10_clamp 1
		.amdhsa_ieee_mode 1
		.amdhsa_fp16_overflow 0
		.amdhsa_workgroup_processor_mode 1
		.amdhsa_memory_ordered 1
		.amdhsa_forward_progress 0
		.amdhsa_shared_vgpr_count 0
		.amdhsa_exception_fp_ieee_invalid_op 0
		.amdhsa_exception_fp_denorm_src 0
		.amdhsa_exception_fp_ieee_div_zero 0
		.amdhsa_exception_fp_ieee_overflow 0
		.amdhsa_exception_fp_ieee_underflow 0
		.amdhsa_exception_fp_ieee_inexact 0
		.amdhsa_exception_int_div_zero 0
	.end_amdhsa_kernel
	.section	.text._ZL33flash_attn_stream_k_fixup_generalILi112ELi2ELi8EEvPfPK15HIP_vector_typeIfLj2EEiiiiS1_IjLj3EES5_S5_S5_,"axG",@progbits,_ZL33flash_attn_stream_k_fixup_generalILi112ELi2ELi8EEvPfPK15HIP_vector_typeIfLj2EEiiiiS1_IjLj3EES5_S5_S5_,comdat
.Lfunc_end22:
	.size	_ZL33flash_attn_stream_k_fixup_generalILi112ELi2ELi8EEvPfPK15HIP_vector_typeIfLj2EEiiiiS1_IjLj3EES5_S5_S5_, .Lfunc_end22-_ZL33flash_attn_stream_k_fixup_generalILi112ELi2ELi8EEvPfPK15HIP_vector_typeIfLj2EEiiiiS1_IjLj3EES5_S5_S5_
                                        ; -- End function
	.section	.AMDGPU.csdata,"",@progbits
; Kernel info:
; codeLenInByte = 3224
; NumSgprs: 34
; NumVgprs: 19
; ScratchSize: 0
; MemoryBound: 0
; FloatMode: 240
; IeeeMode: 1
; LDSByteSize: 0 bytes/workgroup (compile time only)
; SGPRBlocks: 4
; VGPRBlocks: 2
; NumSGPRsForWavesPerEU: 34
; NumVGPRsForWavesPerEU: 19
; Occupancy: 16
; WaveLimiterHint : 0
; COMPUTE_PGM_RSRC2:SCRATCH_EN: 0
; COMPUTE_PGM_RSRC2:USER_SGPR: 13
; COMPUTE_PGM_RSRC2:TRAP_HANDLER: 0
; COMPUTE_PGM_RSRC2:TGID_X_EN: 1
; COMPUTE_PGM_RSRC2:TGID_Y_EN: 1
; COMPUTE_PGM_RSRC2:TGID_Z_EN: 1
; COMPUTE_PGM_RSRC2:TIDIG_COMP_CNT: 0
	.section	.text._ZL26flash_attn_combine_resultsILi112EEvPKfPK15HIP_vector_typeIfLj2EEPfi,"axG",@progbits,_ZL26flash_attn_combine_resultsILi112EEvPKfPK15HIP_vector_typeIfLj2EEPfi,comdat
	.globl	_ZL26flash_attn_combine_resultsILi112EEvPKfPK15HIP_vector_typeIfLj2EEPfi ; -- Begin function _ZL26flash_attn_combine_resultsILi112EEvPKfPK15HIP_vector_typeIfLj2EEPfi
	.p2align	8
	.type	_ZL26flash_attn_combine_resultsILi112EEvPKfPK15HIP_vector_typeIfLj2EEPfi,@function
_ZL26flash_attn_combine_resultsILi112EEvPKfPK15HIP_vector_typeIfLj2EEPfi: ; @_ZL26flash_attn_combine_resultsILi112EEvPKfPK15HIP_vector_typeIfLj2EEPfi
; %bb.0:
	s_clause 0x3
	s_load_b64 s[2:3], s[0:1], 0x20
	s_load_b32 s12, s[0:1], 0x18
	s_load_b128 s[8:11], s[0:1], 0x0
	s_load_b64 s[16:17], s[0:1], 0x10
	v_lshlrev_b32_e32 v7, 2, v0
	s_mov_b32 s4, exec_lo
	s_waitcnt lgkmcnt(0)
	s_mul_i32 s0, s2, s15
	s_lshl_b32 s1, s12, 1
	s_add_i32 s0, s0, s13
	s_delay_alu instid0(SALU_CYCLE_1) | instskip(NEXT) | instid1(SALU_CYCLE_1)
	s_mul_i32 s7, s0, s3
	s_add_i32 s7, s7, s14
	s_delay_alu instid0(SALU_CYCLE_1)
	s_mul_i32 s2, s7, s12
	v_cmpx_gt_i32_e64 s1, v0
	s_cbranch_execz .LBB23_3
; %bb.1:
	s_ashr_i32 s3, s2, 31
	v_dual_mov_b32 v4, v0 :: v_dual_add_nc_u32 v3, 0, v7
	s_lshl_b64 s[14:15], s[2:3], 3
	s_delay_alu instid0(SALU_CYCLE_1) | instskip(SKIP_2) | instid1(VALU_DEP_1)
	s_add_u32 s0, s10, s14
	s_addc_u32 s3, s11, s15
	v_add_co_u32 v1, s0, s0, v7
	v_add_co_ci_u32_e64 v2, null, s3, 0, s0
	s_mov_b32 s3, 0
	.p2align	6
.LBB23_2:                               ; =>This Inner Loop Header: Depth=1
	global_load_b32 v5, v[1:2], off
	v_add_nc_u32_e32 v4, 0x70, v4
	v_add_co_u32 v1, vcc_lo, 0x1c0, v1
	v_add_co_ci_u32_e32 v2, vcc_lo, 0, v2, vcc_lo
	s_delay_alu instid0(VALU_DEP_3) | instskip(NEXT) | instid1(VALU_DEP_1)
	v_cmp_le_i32_e64 s0, s1, v4
	s_or_b32 s3, s0, s3
	s_waitcnt vmcnt(0)
	ds_store_b32 v3, v5
	v_add_nc_u32_e32 v3, 0x1c0, v3
	s_and_not1_b32 exec_lo, exec_lo, s3
	s_cbranch_execnz .LBB23_2
.LBB23_3:
	s_or_b32 exec_lo, exec_lo, s4
	v_mov_b32_e32 v1, 0
	s_waitcnt lgkmcnt(0)
	s_barrier
	buffer_gl0_inv
	s_cmp_lt_i32 s12, 2
	ds_load_b32 v8, v1
	s_cbranch_scc1 .LBB23_11
; %bb.4:
	s_add_i32 s1, s12, -2
	s_add_i32 s0, s12, -1
	s_cmp_lt_u32 s1, 7
	s_cbranch_scc1 .LBB23_8
; %bb.5:
	s_mov_b32 s3, 0
	s_add_i32 s1, 0, 8
	s_and_b32 s4, s0, -8
	.p2align	6
.LBB23_6:                               ; =>This Inner Loop Header: Depth=1
	v_mov_b32_e32 v9, s1
	s_mov_b32 s5, s3
	s_add_i32 s3, s3, 8
	s_add_i32 s1, s1, 64
	s_cmp_eq_u32 s4, s3
	ds_load_2addr_b32 v[1:2], v9 offset1:2
	ds_load_2addr_b32 v[3:4], v9 offset0:4 offset1:6
	ds_load_2addr_b32 v[5:6], v9 offset0:8 offset1:10
	;; [unrolled: 1-line block ×3, first 2 shown]
	s_waitcnt lgkmcnt(3)
	v_max3_f32 v1, v8, v1, v2
	s_waitcnt lgkmcnt(2)
	s_delay_alu instid0(VALU_DEP_1) | instskip(SKIP_1) | instid1(VALU_DEP_1)
	v_max3_f32 v1, v1, v3, v4
	s_waitcnt lgkmcnt(1)
	v_max3_f32 v1, v1, v5, v6
	s_waitcnt lgkmcnt(0)
	s_delay_alu instid0(VALU_DEP_1)
	v_max3_f32 v8, v1, v9, v10
	s_cbranch_scc0 .LBB23_6
; %bb.7:
	s_add_i32 s1, s5, 9
	s_and_b32 s0, s0, 7
	s_delay_alu instid0(SALU_CYCLE_1)
	s_cmp_eq_u32 s0, 0
	s_cbranch_scc0 .LBB23_9
	s_branch .LBB23_11
.LBB23_8:
	s_mov_b32 s1, 1
	s_and_b32 s0, s0, 7
	s_delay_alu instid0(SALU_CYCLE_1)
	s_cmp_eq_u32 s0, 0
	s_cbranch_scc1 .LBB23_11
.LBB23_9:
	s_lshl_b32 s1, s1, 3
	s_delay_alu instid0(SALU_CYCLE_1)
	s_add_i32 s1, s1, 0
.LBB23_10:                              ; =>This Inner Loop Header: Depth=1
	s_waitcnt lgkmcnt(0)
	s_delay_alu instid0(VALU_DEP_1)
	v_dual_mov_b32 v1, s1 :: v_dual_max_f32 v2, v8, v8
	s_add_i32 s0, s0, -1
	s_add_i32 s1, s1, 8
	s_cmp_lg_u32 s0, 0
	ds_load_b32 v1, v1
	s_waitcnt lgkmcnt(0)
	v_max_f32_e32 v1, v1, v1
	s_delay_alu instid0(VALU_DEP_1)
	v_max_f32_e32 v8, v2, v1
	s_cbranch_scc1 .LBB23_10
.LBB23_11:
	s_cmp_lt_i32 s12, 1
	s_cbranch_scc1 .LBB23_16
; %bb.12:
	s_mul_i32 s10, s2, 0x70
	v_mov_b32_e32 v9, 0
	s_ashr_i32 s11, s10, 31
	s_cmp_lt_u32 s12, 8
	s_mov_b32 s14, 0
	s_cbranch_scc1 .LBB23_17
; %bb.13:
	s_lshl_b64 s[0:1], s[10:11], 2
	v_dual_mov_b32 v6, 0 :: v_dual_add_nc_u32 v3, 0x1c0, v0
	s_add_u32 s15, s8, s0
	s_addc_u32 s18, s9, s1
	v_add_co_u32 v1, s0, s15, v7
	s_delay_alu instid0(VALU_DEP_1) | instskip(SKIP_1) | instid1(VALU_DEP_3)
	v_add_co_ci_u32_e64 v2, null, s18, 0, s0
	v_dual_mov_b32 v10, 0 :: v_dual_mov_b32 v9, 0
	v_add_co_u32 v1, vcc_lo, 0x1c0, v1
	s_delay_alu instid0(VALU_DEP_3)
	v_add_co_ci_u32_e32 v2, vcc_lo, 0, v2, vcc_lo
	s_and_b32 s13, s12, 0x7ffffff8
	s_mov_b32 s19, 0
.LBB23_14:                              ; =>This Inner Loop Header: Depth=1
	v_dual_mov_b32 v4, v6 :: v_dual_add_nc_u32 v5, 0xfffffe40, v3
	s_clause 0x1
	global_load_b32 v27, v[1:2], off
	global_load_b32 v28, v[1:2], off offset:448
	s_add_i32 s19, s19, 8
	v_lshlrev_b64 v[11:12], 2, v[5:6]
	v_lshlrev_b64 v[13:14], 2, v[3:4]
	v_add_nc_u32_e32 v5, 0xffffff90, v3
	s_delay_alu instid0(VALU_DEP_3) | instskip(NEXT) | instid1(VALU_DEP_4)
	v_add_co_u32 v11, vcc_lo, s15, v11
	v_add_co_ci_u32_e32 v12, vcc_lo, s18, v12, vcc_lo
	s_delay_alu instid0(VALU_DEP_3)
	v_lshlrev_b64 v[15:16], 2, v[5:6]
	v_add_co_u32 v13, vcc_lo, s15, v13
	global_load_b32 v29, v[11:12], off
	v_add_nc_u32_e32 v5, 0x70, v3
	v_add_co_ci_u32_e32 v14, vcc_lo, s18, v14, vcc_lo
	v_add_co_u32 v15, vcc_lo, s15, v15
	v_add_co_ci_u32_e32 v16, vcc_lo, s18, v16, vcc_lo
	global_load_b32 v31, v[13:14], off
	v_lshlrev_b64 v[11:12], 2, v[5:6]
	v_add_nc_u32_e32 v5, 0xe0, v3
	global_load_b32 v30, v[15:16], off
	v_lshlrev_b64 v[17:18], 2, v[5:6]
	v_add_nc_u32_e32 v5, 0x150, v3
	v_add_co_u32 v11, vcc_lo, s15, v11
	v_add_co_ci_u32_e32 v12, vcc_lo, s18, v12, vcc_lo
	s_delay_alu instid0(VALU_DEP_3)
	v_lshlrev_b64 v[4:5], 2, v[5:6]
	v_add_nc_u32_e32 v3, 0x380, v3
	global_load_b32 v32, v[11:12], off
	v_add_co_u32 v11, vcc_lo, s15, v17
	v_add_co_ci_u32_e32 v12, vcc_lo, s18, v18, vcc_lo
	v_add_co_u32 v4, vcc_lo, s15, v4
	v_add_co_ci_u32_e32 v5, vcc_lo, s18, v5, vcc_lo
	s_clause 0x1
	global_load_b32 v33, v[11:12], off
	global_load_b32 v4, v[4:5], off
	v_mov_b32_e32 v5, s14
	ds_load_2addr_b64 v[11:14], v5 offset1:1
	ds_load_2addr_b64 v[15:18], v5 offset0:2 offset1:3
	ds_load_2addr_b64 v[19:22], v5 offset0:4 offset1:5
	;; [unrolled: 1-line block ×3, first 2 shown]
	s_add_i32 s14, s14, 64
	s_cmp_eq_u32 s13, s19
	s_waitcnt lgkmcnt(3)
	v_sub_f32_e32 v5, v11, v8
	v_sub_f32_e32 v11, v13, v8
	s_waitcnt lgkmcnt(2)
	v_sub_f32_e32 v13, v15, v8
	v_sub_f32_e32 v15, v17, v8
	;; [unrolled: 3-line block ×3, first 2 shown]
	s_waitcnt lgkmcnt(0)
	s_delay_alu instid0(VALU_DEP_1) | instskip(SKIP_2) | instid1(VALU_DEP_3)
	v_dual_sub_f32 v21, v23, v8 :: v_dual_mul_f32 v38, 0x3fb8aa3b, v19
	v_mul_f32_e32 v34, 0x3fb8aa3b, v11
	v_cmp_ngt_f32_e32 vcc_lo, 0xc2ce8ed0, v11
	v_fma_f32 v51, 0x3fb8aa3b, v19, -v38
	s_delay_alu instid0(VALU_DEP_3) | instskip(SKIP_2) | instid1(VALU_DEP_4)
	v_fma_f32 v43, 0x3fb8aa3b, v11, -v34
	v_rndne_f32_e32 v44, v34
	v_rndne_f32_e32 v52, v38
	v_fmac_f32_e32 v51, 0x32a5705f, v19
	s_delay_alu instid0(VALU_DEP_3) | instskip(SKIP_1) | instid1(VALU_DEP_4)
	v_dual_fmac_f32 v43, 0x32a5705f, v11 :: v_dual_sub_f32 v34, v34, v44
	v_cvt_i32_f32_e32 v44, v44
	v_sub_f32_e32 v38, v38, v52
	v_cvt_i32_f32_e32 v52, v52
	s_delay_alu instid0(VALU_DEP_4)
	v_add_f32_e32 v34, v34, v43
	v_mul_f32_e32 v36, 0x3fb8aa3b, v15
	v_cmp_ngt_f32_e64 s6, 0xc2ce8ed0, v5
	v_cmp_ngt_f32_e64 s1, 0xc2ce8ed0, v15
	v_add_f32_e32 v38, v38, v51
	v_exp_f32_e32 v34, v34
	v_fma_f32 v47, 0x3fb8aa3b, v15, -v36
	v_rndne_f32_e32 v48, v36
	v_cmp_ngt_f32_e64 s3, 0xc2ce8ed0, v19
	v_exp_f32_e32 v38, v38
	s_delay_alu instid0(VALU_DEP_2) | instskip(SKIP_1) | instid1(TRANS32_DEP_2)
	v_dual_fmac_f32 v47, 0x32a5705f, v15 :: v_dual_sub_f32 v36, v36, v48
	v_cvt_i32_f32_e32 v48, v48
	v_ldexp_f32 v34, v34, v44
	v_sub_f32_e32 v23, v25, v8
	s_delay_alu instid0(VALU_DEP_4) | instskip(SKIP_1) | instid1(VALU_DEP_4)
	v_dual_mul_f32 v25, 0x3fb8aa3b, v5 :: v_dual_add_f32 v36, v36, v47
	v_cmp_ngt_f32_e64 s2, 0xc2ce8ed0, v17
	v_cndmask_b32_e32 v34, 0, v34, vcc_lo
	v_cmp_nlt_f32_e32 vcc_lo, 0x42b17218, v5
	s_delay_alu instid0(VALU_DEP_4)
	v_fma_f32 v41, 0x3fb8aa3b, v5, -v25
	v_rndne_f32_e32 v42, v25
	v_mul_f32_e32 v40, 0x3fb8aa3b, v23
	v_exp_f32_e32 v36, v36
	v_cmp_ngt_f32_e64 s0, 0xc2ce8ed0, v13
	v_fmac_f32_e32 v41, 0x32a5705f, v5
	v_sub_f32_e32 v25, v25, v42
	v_cvt_i32_f32_e32 v42, v42
	v_fma_f32 v55, 0x3fb8aa3b, v23, -v40
	v_rndne_f32_e32 v56, v40
	v_ldexp_f32 v38, v38, v52
	v_add_f32_e32 v25, v25, v41
	v_cmp_ngt_f32_e64 s5, 0xc2ce8ed0, v23
	v_ldexp_f32 v36, v36, v48
	v_dual_fmac_f32 v55, 0x32a5705f, v23 :: v_dual_sub_f32 v40, v40, v56
	s_delay_alu instid0(VALU_DEP_4) | instskip(SKIP_1) | instid1(VALU_DEP_3)
	v_exp_f32_e32 v25, v25
	v_cvt_i32_f32_e32 v56, v56
	v_cndmask_b32_e64 v36, 0, v36, s1
	v_cndmask_b32_e64 v38, 0, v38, s3
	v_add_f32_e32 v40, v40, v55
	v_cmp_ngt_f32_e64 s4, 0xc2ce8ed0, v21
	s_delay_alu instid0(VALU_DEP_2) | instskip(NEXT) | instid1(TRANS32_DEP_2)
	v_exp_f32_e32 v40, v40
	v_ldexp_f32 v25, v25, v42
	s_delay_alu instid0(VALU_DEP_1) | instskip(SKIP_4) | instid1(VALU_DEP_3)
	v_cndmask_b32_e64 v25, 0, v25, s6
	s_waitcnt_depctr 0xfff
	v_ldexp_f32 v40, v40, v56
	v_cndmask_b32_e32 v5, 0x7f800000, v25, vcc_lo
	v_cmp_nlt_f32_e32 vcc_lo, 0x42b17218, v11
	v_cndmask_b32_e64 v40, 0, v40, s5
	s_delay_alu instid0(VALU_DEP_3) | instskip(SKIP_2) | instid1(VALU_DEP_3)
	v_dual_fmac_f32 v10, v5, v12 :: v_dual_cndmask_b32 v11, 0x7f800000, v34
	v_mul_f32_e32 v35, 0x3fb8aa3b, v13
	v_cmp_nlt_f32_e32 vcc_lo, 0x42b17218, v13
	v_fmac_f32_e32 v10, v11, v14
	s_delay_alu instid0(VALU_DEP_3) | instskip(SKIP_1) | instid1(VALU_DEP_2)
	v_fma_f32 v45, 0x3fb8aa3b, v13, -v35
	v_rndne_f32_e32 v46, v35
	v_fmac_f32_e32 v45, 0x32a5705f, v13
	s_delay_alu instid0(VALU_DEP_2) | instskip(SKIP_1) | instid1(VALU_DEP_2)
	v_sub_f32_e32 v35, v35, v46
	v_cvt_i32_f32_e32 v46, v46
	v_add_f32_e32 v35, v35, v45
	s_delay_alu instid0(VALU_DEP_1) | instskip(SKIP_2) | instid1(VALU_DEP_1)
	v_exp_f32_e32 v35, v35
	s_waitcnt_depctr 0xfff
	v_ldexp_f32 v35, v35, v46
	v_cndmask_b32_e64 v35, 0, v35, s0
	v_cmp_nlt_f32_e64 s0, 0x42b17218, v23
	s_waitcnt vmcnt(5)
	v_fmac_f32_e32 v9, v29, v5
	s_delay_alu instid0(VALU_DEP_3) | instskip(SKIP_2) | instid1(VALU_DEP_3)
	v_cndmask_b32_e32 v5, 0x7f800000, v35, vcc_lo
	v_mul_f32_e32 v37, 0x3fb8aa3b, v17
	v_cmp_nlt_f32_e32 vcc_lo, 0x42b17218, v15
	v_dual_fmac_f32 v9, v27, v11 :: v_dual_fmac_f32 v10, v5, v16
	s_delay_alu instid0(VALU_DEP_3)
	v_fma_f32 v49, 0x3fb8aa3b, v17, -v37
	v_rndne_f32_e32 v50, v37
	v_cndmask_b32_e32 v11, 0x7f800000, v36, vcc_lo
	v_mul_f32_e32 v39, 0x3fb8aa3b, v21
	v_fmac_f32_e32 v9, v28, v5
	v_fmac_f32_e32 v49, 0x32a5705f, v17
	v_sub_f32_e32 v37, v37, v50
	v_fmac_f32_e32 v10, v11, v18
	v_fma_f32 v53, 0x3fb8aa3b, v21, -v39
	v_rndne_f32_e32 v54, v39
	v_cvt_i32_f32_e32 v50, v50
	v_add_f32_e32 v37, v37, v49
	v_cmp_nlt_f32_e32 vcc_lo, 0x42b17218, v17
	v_fmac_f32_e32 v53, 0x32a5705f, v21
	v_sub_f32_e32 v39, v39, v54
	v_cvt_i32_f32_e32 v54, v54
	v_exp_f32_e32 v37, v37
	s_waitcnt vmcnt(3)
	v_fmac_f32_e32 v9, v30, v11
	v_add_f32_e32 v39, v39, v53
	s_delay_alu instid0(VALU_DEP_1) | instskip(SKIP_2) | instid1(VALU_DEP_1)
	v_exp_f32_e32 v39, v39
	s_waitcnt_depctr 0xfff
	v_ldexp_f32 v37, v37, v50
	v_cndmask_b32_e64 v37, 0, v37, s2
	v_ldexp_f32 v39, v39, v54
	s_delay_alu instid0(VALU_DEP_2) | instskip(SKIP_1) | instid1(VALU_DEP_3)
	v_cndmask_b32_e32 v5, 0x7f800000, v37, vcc_lo
	v_cmp_nlt_f32_e32 vcc_lo, 0x42b17218, v19
	v_cndmask_b32_e64 v39, 0, v39, s4
	s_delay_alu instid0(VALU_DEP_3) | instskip(SKIP_3) | instid1(VALU_DEP_2)
	v_dual_fmac_f32 v10, v5, v20 :: v_dual_cndmask_b32 v11, 0x7f800000, v38
	v_fmac_f32_e32 v9, v31, v5
	v_cmp_nlt_f32_e32 vcc_lo, 0x42b17218, v21
	s_waitcnt vmcnt(2)
	v_dual_fmac_f32 v10, v11, v22 :: v_dual_fmac_f32 v9, v32, v11
	v_cndmask_b32_e32 v5, 0x7f800000, v39, vcc_lo
	v_cndmask_b32_e64 v11, 0x7f800000, v40, s0
	v_add_co_u32 v1, vcc_lo, 0xe00, v1
	v_add_co_ci_u32_e32 v2, vcc_lo, 0, v2, vcc_lo
	s_delay_alu instid0(VALU_DEP_4) | instskip(SKIP_1) | instid1(VALU_DEP_1)
	v_fmac_f32_e32 v10, v5, v24
	s_waitcnt vmcnt(1)
	v_dual_fmac_f32 v9, v33, v5 :: v_dual_fmac_f32 v10, v11, v26
	s_waitcnt vmcnt(0)
	s_delay_alu instid0(VALU_DEP_1)
	v_fmac_f32_e32 v9, v4, v11
	s_cbranch_scc0 .LBB23_14
; %bb.15:
	s_and_b32 s1, s12, 7
	s_delay_alu instid0(SALU_CYCLE_1)
	s_cmp_eq_u32 s1, 0
	s_cbranch_scc0 .LBB23_18
	s_branch .LBB23_20
.LBB23_16:
	v_mov_b32_e32 v0, 0x7fc00000
	s_branch .LBB23_21
.LBB23_17:
	v_mov_b32_e32 v10, 0
	s_mov_b32 s13, 0
	s_and_b32 s1, s12, 7
	s_delay_alu instid0(SALU_CYCLE_1)
	s_cmp_eq_u32 s1, 0
	s_cbranch_scc1 .LBB23_20
.LBB23_18:
	v_mad_u64_u32 v[1:2], null, 0x70, s13, v[0:1]
	v_mov_b32_e32 v2, 0
	s_lshl_b64 s[2:3], s[10:11], 2
	s_delay_alu instid0(SALU_CYCLE_1) | instskip(SKIP_1) | instid1(VALU_DEP_1)
	s_add_u32 s0, s8, s2
	s_addc_u32 s2, s9, s3
	v_lshlrev_b64 v[0:1], 2, v[1:2]
	s_delay_alu instid0(VALU_DEP_1) | instskip(NEXT) | instid1(VALU_DEP_2)
	v_add_co_u32 v0, vcc_lo, s0, v0
	v_add_co_ci_u32_e32 v1, vcc_lo, s2, v1, vcc_lo
	s_lshl_b32 s0, s13, 3
	s_delay_alu instid0(SALU_CYCLE_1)
	s_add_i32 s2, s0, 0
	s_set_inst_prefetch_distance 0x1
	.p2align	6
.LBB23_19:                              ; =>This Inner Loop Header: Depth=1
	global_load_b32 v4, v[0:1], off
	v_mov_b32_e32 v2, s2
	s_add_i32 s1, s1, -1
	s_add_i32 s2, s2, 8
	s_cmp_lg_u32 s1, 0
	ds_load_b64 v[2:3], v2
	s_waitcnt lgkmcnt(0)
	v_sub_f32_e32 v2, v2, v8
	s_delay_alu instid0(VALU_DEP_1) | instskip(NEXT) | instid1(VALU_DEP_1)
	v_mul_f32_e32 v5, 0x3fb8aa3b, v2
	v_fma_f32 v6, 0x3fb8aa3b, v2, -v5
	v_rndne_f32_e32 v11, v5
	s_delay_alu instid0(VALU_DEP_1) | instskip(NEXT) | instid1(VALU_DEP_1)
	v_dual_fmac_f32 v6, 0x32a5705f, v2 :: v_dual_sub_f32 v5, v5, v11
	v_add_f32_e32 v5, v5, v6
	v_cvt_i32_f32_e32 v6, v11
	v_cmp_ngt_f32_e32 vcc_lo, 0xc2ce8ed0, v2
	v_cmp_nlt_f32_e64 s0, 0x42b17218, v2
	s_delay_alu instid0(VALU_DEP_4) | instskip(SKIP_2) | instid1(VALU_DEP_1)
	v_exp_f32_e32 v5, v5
	s_waitcnt_depctr 0xfff
	v_ldexp_f32 v5, v5, v6
	v_cndmask_b32_e32 v5, 0, v5, vcc_lo
	v_add_co_u32 v0, vcc_lo, 0x1c0, v0
	v_add_co_ci_u32_e32 v1, vcc_lo, 0, v1, vcc_lo
	s_delay_alu instid0(VALU_DEP_3) | instskip(SKIP_1) | instid1(VALU_DEP_1)
	v_cndmask_b32_e64 v2, 0x7f800000, v5, s0
	s_waitcnt vmcnt(0)
	v_dual_fmac_f32 v10, v2, v3 :: v_dual_fmac_f32 v9, v4, v2
	s_cbranch_scc1 .LBB23_19
.LBB23_20:
	s_set_inst_prefetch_distance 0x2
	s_delay_alu instid0(VALU_DEP_1) | instskip(NEXT) | instid1(VALU_DEP_1)
	v_div_scale_f32 v0, null, v10, v10, v9
	v_rcp_f32_e32 v1, v0
	s_waitcnt_depctr 0xfff
	v_fma_f32 v2, -v0, v1, 1.0
	s_delay_alu instid0(VALU_DEP_1) | instskip(SKIP_1) | instid1(VALU_DEP_1)
	v_fmac_f32_e32 v1, v2, v1
	v_div_scale_f32 v2, vcc_lo, v9, v10, v9
	v_mul_f32_e32 v3, v2, v1
	s_delay_alu instid0(VALU_DEP_1) | instskip(NEXT) | instid1(VALU_DEP_1)
	v_fma_f32 v4, -v0, v3, v2
	v_fmac_f32_e32 v3, v4, v1
	s_delay_alu instid0(VALU_DEP_1) | instskip(NEXT) | instid1(VALU_DEP_1)
	v_fma_f32 v0, -v0, v3, v2
	v_div_fmas_f32 v0, v0, v1, v3
	s_delay_alu instid0(VALU_DEP_1)
	v_div_fixup_f32 v0, v0, v10, v9
.LBB23_21:
	s_mul_i32 s0, s7, 0x70
	s_delay_alu instid0(SALU_CYCLE_1) | instskip(NEXT) | instid1(SALU_CYCLE_1)
	s_ashr_i32 s1, s0, 31
	s_lshl_b64 s[0:1], s[0:1], 2
	s_delay_alu instid0(SALU_CYCLE_1)
	s_add_u32 s0, s16, s0
	s_addc_u32 s1, s17, s1
	global_store_b32 v7, v0, s[0:1]
	s_nop 0
	s_sendmsg sendmsg(MSG_DEALLOC_VGPRS)
	s_endpgm
	.section	.rodata,"a",@progbits
	.p2align	6, 0x0
	.amdhsa_kernel _ZL26flash_attn_combine_resultsILi112EEvPKfPK15HIP_vector_typeIfLj2EEPfi
		.amdhsa_group_segment_fixed_size 0
		.amdhsa_private_segment_fixed_size 0
		.amdhsa_kernarg_size 288
		.amdhsa_user_sgpr_count 13
		.amdhsa_user_sgpr_dispatch_ptr 0
		.amdhsa_user_sgpr_queue_ptr 0
		.amdhsa_user_sgpr_kernarg_segment_ptr 1
		.amdhsa_user_sgpr_dispatch_id 0
		.amdhsa_user_sgpr_private_segment_size 0
		.amdhsa_wavefront_size32 1
		.amdhsa_uses_dynamic_stack 0
		.amdhsa_enable_private_segment 0
		.amdhsa_system_sgpr_workgroup_id_x 1
		.amdhsa_system_sgpr_workgroup_id_y 1
		.amdhsa_system_sgpr_workgroup_id_z 1
		.amdhsa_system_sgpr_workgroup_info 0
		.amdhsa_system_vgpr_workitem_id 0
		.amdhsa_next_free_vgpr 57
		.amdhsa_next_free_sgpr 20
		.amdhsa_reserve_vcc 1
		.amdhsa_float_round_mode_32 0
		.amdhsa_float_round_mode_16_64 0
		.amdhsa_float_denorm_mode_32 3
		.amdhsa_float_denorm_mode_16_64 3
		.amdhsa_dx10_clamp 1
		.amdhsa_ieee_mode 1
		.amdhsa_fp16_overflow 0
		.amdhsa_workgroup_processor_mode 1
		.amdhsa_memory_ordered 1
		.amdhsa_forward_progress 0
		.amdhsa_shared_vgpr_count 0
		.amdhsa_exception_fp_ieee_invalid_op 0
		.amdhsa_exception_fp_denorm_src 0
		.amdhsa_exception_fp_ieee_div_zero 0
		.amdhsa_exception_fp_ieee_overflow 0
		.amdhsa_exception_fp_ieee_underflow 0
		.amdhsa_exception_fp_ieee_inexact 0
		.amdhsa_exception_int_div_zero 0
	.end_amdhsa_kernel
	.section	.text._ZL26flash_attn_combine_resultsILi112EEvPKfPK15HIP_vector_typeIfLj2EEPfi,"axG",@progbits,_ZL26flash_attn_combine_resultsILi112EEvPKfPK15HIP_vector_typeIfLj2EEPfi,comdat
.Lfunc_end23:
	.size	_ZL26flash_attn_combine_resultsILi112EEvPKfPK15HIP_vector_typeIfLj2EEPfi, .Lfunc_end23-_ZL26flash_attn_combine_resultsILi112EEvPKfPK15HIP_vector_typeIfLj2EEPfi
                                        ; -- End function
	.section	.AMDGPU.csdata,"",@progbits
; Kernel info:
; codeLenInByte = 2380
; NumSgprs: 22
; NumVgprs: 57
; ScratchSize: 0
; MemoryBound: 0
; FloatMode: 240
; IeeeMode: 1
; LDSByteSize: 0 bytes/workgroup (compile time only)
; SGPRBlocks: 2
; VGPRBlocks: 7
; NumSGPRsForWavesPerEU: 22
; NumVGPRsForWavesPerEU: 57
; Occupancy: 16
; WaveLimiterHint : 1
; COMPUTE_PGM_RSRC2:SCRATCH_EN: 0
; COMPUTE_PGM_RSRC2:USER_SGPR: 13
; COMPUTE_PGM_RSRC2:TRAP_HANDLER: 0
; COMPUTE_PGM_RSRC2:TGID_X_EN: 1
; COMPUTE_PGM_RSRC2:TGID_Y_EN: 1
; COMPUTE_PGM_RSRC2:TGID_Z_EN: 1
; COMPUTE_PGM_RSRC2:TIDIG_COMP_CNT: 0
	.section	.text._ZL18flash_attn_ext_f16ILi128ELi128ELi2ELi8ELb0ELb0EEvPKcS1_S1_S1_S1_PKiPfP15HIP_vector_typeIfLj2EEffffjfiS5_IjLj3EEiiiiiiiiiiiliiliiiiil,"axG",@progbits,_ZL18flash_attn_ext_f16ILi128ELi128ELi2ELi8ELb0ELb0EEvPKcS1_S1_S1_S1_PKiPfP15HIP_vector_typeIfLj2EEffffjfiS5_IjLj3EEiiiiiiiiiiiliiliiiiil,comdat
	.globl	_ZL18flash_attn_ext_f16ILi128ELi128ELi2ELi8ELb0ELb0EEvPKcS1_S1_S1_S1_PKiPfP15HIP_vector_typeIfLj2EEffffjfiS5_IjLj3EEiiiiiiiiiiiliiliiiiil ; -- Begin function _ZL18flash_attn_ext_f16ILi128ELi128ELi2ELi8ELb0ELb0EEvPKcS1_S1_S1_S1_PKiPfP15HIP_vector_typeIfLj2EEffffjfiS5_IjLj3EEiiiiiiiiiiiliiliiiiil
	.p2align	8
	.type	_ZL18flash_attn_ext_f16ILi128ELi128ELi2ELi8ELb0ELb0EEvPKcS1_S1_S1_S1_PKiPfP15HIP_vector_typeIfLj2EEffffjfiS5_IjLj3EEiiiiiiiiiiiliiliiiiil,@function
_ZL18flash_attn_ext_f16ILi128ELi128ELi2ELi8ELb0ELb0EEvPKcS1_S1_S1_S1_PKiPfP15HIP_vector_typeIfLj2EEffffjfiS5_IjLj3EEiiiiiiiiiiiliiliiiiil: ; @_ZL18flash_attn_ext_f16ILi128ELi128ELi2ELi8ELb0ELb0EEvPKcS1_S1_S1_S1_PKiPfP15HIP_vector_typeIfLj2EEffffjfiS5_IjLj3EEiiiiiiiiiiiliiliiiiil
; %bb.0:
	s_clause 0x2
	s_load_b64 s[2:3], s[0:1], 0x80
	s_load_b128 s[8:11], s[0:1], 0x64
	s_load_b32 s14, s[0:1], 0xd0
	s_waitcnt lgkmcnt(0)
	s_abs_i32 s4, s3
	s_abs_i32 s7, s9
	v_cvt_f32_u32_e32 v1, s4
	s_sub_i32 s6, 0, s4
	v_cvt_f32_u32_e32 v3, s14
	s_delay_alu instid0(VALU_DEP_2) | instskip(SKIP_2) | instid1(VALU_DEP_1)
	v_rcp_iflag_f32_e32 v1, v1
	s_waitcnt_depctr 0xfff
	v_mul_f32_e32 v1, 0x4f7ffffe, v1
	v_cvt_u32_f32_e32 v1, v1
	s_delay_alu instid0(VALU_DEP_1) | instskip(SKIP_1) | instid1(VALU_DEP_2)
	v_readfirstlane_b32 s5, v1
	v_cvt_f32_ubyte0_e32 v1, 0
	s_mul_i32 s6, s6, s5
	s_delay_alu instid0(SALU_CYCLE_1) | instskip(NEXT) | instid1(SALU_CYCLE_1)
	s_mul_hi_u32 s6, s5, s6
	s_add_i32 s5, s5, s6
	s_xor_b32 s6, s9, s3
	s_mul_hi_u32 s5, s7, s5
	s_ashr_i32 s6, s6, 31
	s_mul_i32 s12, s5, s4
	s_delay_alu instid0(SALU_CYCLE_1)
	s_sub_i32 s7, s7, s12
	s_add_i32 s12, s5, 1
	s_sub_i32 s13, s7, s4
	s_cmp_ge_u32 s7, s4
	s_cselect_b32 s5, s12, s5
	s_cselect_b32 s7, s13, s7
	s_add_i32 s12, s5, 1
	s_cmp_ge_u32 s7, s4
	s_cselect_b32 s4, s12, s5
	s_add_i32 s2, s2, 31
	s_xor_b32 s4, s4, s6
	s_add_i32 s5, s8, 1
	s_sub_i32 s33, s4, s6
	s_ashr_i32 s7, s2, 31
	s_add_i32 s4, s33, 7
	s_lshr_b32 s68, s5, 1
	s_lshr_b32 s5, s7, 27
	s_ashr_i32 s6, s4, 31
	s_add_i32 s2, s2, s5
	s_lshr_b32 s5, s6, 29
	s_ashr_i32 s72, s2, 5
	s_add_i32 s4, s4, s5
	s_mul_i32 s69, s68, s72
	s_ashr_i32 s2, s4, 3
	s_delay_alu instid0(SALU_CYCLE_1) | instskip(SKIP_2) | instid1(SALU_CYCLE_1)
	s_mul_i32 s70, s69, s2
	s_mov_b32 s2, 0
	s_mul_i32 s71, s70, s3
	s_mul_i32 s4, s71, s10
	s_delay_alu instid0(SALU_CYCLE_1) | instskip(SKIP_2) | instid1(SALU_CYCLE_1)
	s_ashr_i32 s5, s4, 31
	s_mul_hi_u32 s3, s4, s15
	s_mul_i32 s6, s5, s15
	s_add_i32 s3, s3, s6
	s_mul_i32 s6, s4, s15
	s_cmp_lg_u64 s[2:3], 0
	s_cbranch_scc0 .LBB24_312
; %bb.1:
	v_fmamk_f32 v2, v1, 0x4f800000, v3
	s_sub_u32 s12, 0, s14
	s_subb_u32 s13, 0, 0
	s_delay_alu instid0(VALU_DEP_1) | instskip(SKIP_2) | instid1(VALU_DEP_1)
	v_rcp_f32_e32 v2, v2
	s_waitcnt_depctr 0xfff
	v_mul_f32_e32 v2, 0x5f7ffffc, v2
	v_mul_f32_e32 v4, 0x2f800000, v2
	s_delay_alu instid0(VALU_DEP_1) | instskip(NEXT) | instid1(VALU_DEP_1)
	v_trunc_f32_e32 v4, v4
	v_fmamk_f32 v2, v4, 0xcf800000, v2
	v_cvt_u32_f32_e32 v4, v4
	s_delay_alu instid0(VALU_DEP_2) | instskip(NEXT) | instid1(VALU_DEP_2)
	v_cvt_u32_f32_e32 v2, v2
	v_readfirstlane_b32 s7, v4
	s_delay_alu instid0(VALU_DEP_2) | instskip(NEXT) | instid1(VALU_DEP_2)
	v_readfirstlane_b32 s10, v2
	s_mul_i32 s16, s12, s7
	s_delay_alu instid0(VALU_DEP_1)
	s_mul_hi_u32 s18, s12, s10
	s_mul_i32 s17, s13, s10
	s_add_i32 s16, s18, s16
	s_mul_i32 s19, s12, s10
	s_add_i32 s16, s16, s17
	s_mul_hi_u32 s18, s10, s19
	s_mul_hi_u32 s20, s7, s19
	s_mul_i32 s17, s7, s19
	s_mul_hi_u32 s19, s10, s16
	s_mul_i32 s10, s10, s16
	s_mul_hi_u32 s21, s7, s16
	s_add_u32 s10, s18, s10
	s_addc_u32 s18, 0, s19
	s_add_u32 s10, s10, s17
	s_mul_i32 s16, s7, s16
	s_addc_u32 s10, s18, s20
	s_addc_u32 s17, s21, 0
	s_add_u32 s10, s10, s16
	s_addc_u32 s16, 0, s17
	v_add_co_u32 v2, s10, v2, s10
	s_delay_alu instid0(VALU_DEP_1) | instskip(SKIP_1) | instid1(VALU_DEP_1)
	s_cmp_lg_u32 s10, 0
	s_addc_u32 s7, s7, s16
	v_readfirstlane_b32 s10, v2
	s_mul_i32 s16, s12, s7
	s_delay_alu instid0(VALU_DEP_1)
	s_mul_hi_u32 s17, s12, s10
	s_mul_i32 s13, s13, s10
	s_add_i32 s16, s17, s16
	s_mul_i32 s12, s12, s10
	s_add_i32 s16, s16, s13
	s_mul_hi_u32 s17, s7, s12
	s_mul_i32 s18, s7, s12
	s_mul_hi_u32 s12, s10, s12
	s_mul_hi_u32 s19, s10, s16
	s_mul_i32 s10, s10, s16
	s_mul_hi_u32 s13, s7, s16
	s_add_u32 s10, s12, s10
	s_addc_u32 s12, 0, s19
	s_add_u32 s10, s10, s18
	s_mul_i32 s16, s7, s16
	s_addc_u32 s10, s12, s17
	s_addc_u32 s12, s13, 0
	s_add_u32 s10, s10, s16
	s_addc_u32 s12, 0, s12
	v_add_co_u32 v2, s10, v2, s10
	s_delay_alu instid0(VALU_DEP_1) | instskip(SKIP_2) | instid1(SALU_CYCLE_1)
	s_cmp_lg_u32 s10, 0
	s_addc_u32 s7, s7, s12
	s_ashr_i32 s12, s3, 31
	s_add_u32 s16, s6, s12
	s_addc_u32 s17, s3, s12
	v_readfirstlane_b32 s3, v2
	s_mov_b32 s13, s12
	s_delay_alu instid0(SALU_CYCLE_1) | instskip(NEXT) | instid1(SALU_CYCLE_1)
	s_xor_b64 s[16:17], s[16:17], s[12:13]
	s_mul_i32 s18, s16, s7
	s_delay_alu instid0(VALU_DEP_1)
	s_mul_hi_u32 s19, s16, s3
	s_mul_hi_u32 s10, s16, s7
	;; [unrolled: 1-line block ×3, first 2 shown]
	s_mul_i32 s3, s17, s3
	s_add_u32 s18, s19, s18
	s_addc_u32 s10, 0, s10
	s_mul_hi_u32 s20, s17, s7
	s_add_u32 s3, s18, s3
	s_mul_i32 s7, s17, s7
	s_addc_u32 s3, s10, s21
	s_addc_u32 s10, s20, 0
	s_add_u32 s3, s3, s7
	s_addc_u32 s7, 0, s10
	s_mul_i32 s18, s14, s3
	s_add_u32 s10, s3, 1
	v_sub_co_u32 v2, s16, s16, s18
	s_mul_hi_u32 s18, s14, s3
	s_addc_u32 s19, s7, 0
	s_mul_i32 s20, s14, s7
	s_delay_alu instid0(VALU_DEP_1)
	v_sub_co_u32 v4, s21, v2, s14
	s_add_u32 s22, s3, 2
	s_addc_u32 s23, s7, 0
	s_add_i32 s18, s18, s20
	s_cmp_lg_u32 s16, 0
	v_readfirstlane_b32 s16, v4
	s_subb_u32 s17, s17, s18
	s_cmp_lg_u32 s21, 0
	s_subb_u32 s18, s17, 0
	s_delay_alu instid0(VALU_DEP_1) | instskip(SKIP_4) | instid1(SALU_CYCLE_1)
	s_cmp_ge_u32 s16, s14
	s_cselect_b32 s16, -1, 0
	s_cmp_eq_u32 s18, 0
	v_readfirstlane_b32 s18, v2
	s_cselect_b32 s16, s16, -1
	s_cmp_lg_u32 s16, 0
	s_cselect_b32 s10, s22, s10
	s_cselect_b32 s16, s23, s19
	s_cmp_ge_u32 s18, s14
	s_cselect_b32 s18, -1, 0
	s_cmp_eq_u32 s17, 0
	s_cselect_b32 s17, s18, -1
	s_delay_alu instid0(SALU_CYCLE_1) | instskip(SKIP_2) | instid1(SALU_CYCLE_1)
	s_cmp_lg_u32 s17, 0
	s_cselect_b32 s17, s16, s7
	s_cselect_b32 s16, s10, s3
	s_xor_b64 s[16:17], s[16:17], s[12:13]
	s_delay_alu instid0(SALU_CYCLE_1)
	s_sub_u32 s50, s16, s12
	s_load_b64 s[48:49], s[0:1], 0x74
	v_cvt_f32_u32_e32 v2, s14
	s_and_not1_b32 vcc_lo, exec_lo, s2
	s_cbranch_vccnz .LBB24_3
.LBB24_2:
	s_delay_alu instid0(VALU_DEP_1) | instskip(SKIP_3) | instid1(VALU_DEP_1)
	v_rcp_iflag_f32_e32 v4, v2
	s_sub_i32 s3, 0, s14
	s_waitcnt_depctr 0xfff
	v_mul_f32_e32 v4, 0x4f7ffffe, v4
	v_cvt_u32_f32_e32 v4, v4
	s_delay_alu instid0(VALU_DEP_1) | instskip(NEXT) | instid1(VALU_DEP_1)
	v_readfirstlane_b32 s2, v4
	s_mul_i32 s3, s3, s2
	s_delay_alu instid0(SALU_CYCLE_1) | instskip(NEXT) | instid1(SALU_CYCLE_1)
	s_mul_hi_u32 s3, s2, s3
	s_add_i32 s2, s2, s3
	s_delay_alu instid0(SALU_CYCLE_1) | instskip(NEXT) | instid1(SALU_CYCLE_1)
	s_mul_hi_u32 s2, s6, s2
	s_mul_i32 s3, s2, s14
	s_delay_alu instid0(SALU_CYCLE_1)
	s_sub_i32 s3, s6, s3
	s_add_i32 s6, s2, 1
	s_sub_i32 s7, s3, s14
	s_cmp_ge_u32 s3, s14
	s_cselect_b32 s2, s6, s2
	s_cselect_b32 s3, s7, s3
	s_add_i32 s6, s2, 1
	s_cmp_ge_u32 s3, s14
	s_cselect_b32 s50, s6, s2
.LBB24_3:
	s_add_i32 s6, s15, 1
	s_delay_alu instid0(SALU_CYCLE_1) | instskip(SKIP_4) | instid1(SALU_CYCLE_1)
	s_mul_i32 s2, s5, s6
	s_mul_hi_u32 s3, s4, s6
	s_mul_i32 s4, s4, s6
	s_add_i32 s3, s3, s2
	s_mov_b32 s2, 0
	s_cmp_lg_u64 s[2:3], 0
	s_cbranch_scc0 .LBB24_313
; %bb.4:
	v_fmamk_f32 v1, v1, 0x4f800000, v3
	s_sub_u32 s7, 0, s14
	s_subb_u32 s10, 0, 0
	s_delay_alu instid0(VALU_DEP_1) | instskip(SKIP_2) | instid1(VALU_DEP_1)
	v_rcp_f32_e32 v1, v1
	s_waitcnt_depctr 0xfff
	v_mul_f32_e32 v1, 0x5f7ffffc, v1
	v_mul_f32_e32 v3, 0x2f800000, v1
	s_delay_alu instid0(VALU_DEP_1) | instskip(NEXT) | instid1(VALU_DEP_1)
	v_trunc_f32_e32 v3, v3
	v_fmamk_f32 v1, v3, 0xcf800000, v1
	v_cvt_u32_f32_e32 v3, v3
	s_delay_alu instid0(VALU_DEP_2) | instskip(NEXT) | instid1(VALU_DEP_2)
	v_cvt_u32_f32_e32 v1, v1
	v_readfirstlane_b32 s5, v3
	s_delay_alu instid0(VALU_DEP_2) | instskip(NEXT) | instid1(VALU_DEP_2)
	v_readfirstlane_b32 s6, v1
	s_mul_i32 s12, s7, s5
	s_delay_alu instid0(VALU_DEP_1)
	s_mul_hi_u32 s16, s7, s6
	s_mul_i32 s13, s10, s6
	s_add_i32 s12, s16, s12
	s_mul_i32 s17, s7, s6
	s_add_i32 s12, s12, s13
	s_mul_hi_u32 s16, s6, s17
	s_mul_hi_u32 s18, s5, s17
	s_mul_i32 s13, s5, s17
	s_mul_hi_u32 s17, s6, s12
	s_mul_i32 s6, s6, s12
	s_mul_hi_u32 s19, s5, s12
	s_add_u32 s6, s16, s6
	s_addc_u32 s16, 0, s17
	s_add_u32 s6, s6, s13
	s_mul_i32 s12, s5, s12
	s_addc_u32 s6, s16, s18
	s_addc_u32 s13, s19, 0
	s_add_u32 s6, s6, s12
	s_addc_u32 s12, 0, s13
	v_add_co_u32 v1, s6, v1, s6
	s_delay_alu instid0(VALU_DEP_1) | instskip(SKIP_1) | instid1(VALU_DEP_1)
	s_cmp_lg_u32 s6, 0
	s_addc_u32 s5, s5, s12
	v_readfirstlane_b32 s6, v1
	s_mul_i32 s12, s7, s5
	s_delay_alu instid0(VALU_DEP_1)
	s_mul_hi_u32 s13, s7, s6
	s_mul_i32 s10, s10, s6
	s_add_i32 s12, s13, s12
	s_mul_i32 s7, s7, s6
	s_add_i32 s12, s12, s10
	s_mul_hi_u32 s13, s5, s7
	s_mul_i32 s16, s5, s7
	s_mul_hi_u32 s7, s6, s7
	s_mul_hi_u32 s17, s6, s12
	s_mul_i32 s6, s6, s12
	s_mul_hi_u32 s10, s5, s12
	s_add_u32 s6, s7, s6
	s_addc_u32 s7, 0, s17
	s_add_u32 s6, s6, s16
	s_mul_i32 s12, s5, s12
	s_addc_u32 s6, s7, s13
	s_addc_u32 s7, s10, 0
	s_add_u32 s6, s6, s12
	s_addc_u32 s7, 0, s7
	v_add_co_u32 v1, s6, v1, s6
	s_delay_alu instid0(VALU_DEP_1) | instskip(SKIP_2) | instid1(SALU_CYCLE_1)
	s_cmp_lg_u32 s6, 0
	s_addc_u32 s5, s5, s7
	s_ashr_i32 s6, s3, 31
	s_add_u32 s12, s4, s6
	s_addc_u32 s13, s3, s6
	v_readfirstlane_b32 s3, v1
	s_mov_b32 s7, s6
	s_delay_alu instid0(SALU_CYCLE_1) | instskip(NEXT) | instid1(SALU_CYCLE_1)
	s_xor_b64 s[12:13], s[12:13], s[6:7]
	s_mul_i32 s16, s12, s5
	s_delay_alu instid0(VALU_DEP_1)
	s_mul_hi_u32 s17, s12, s3
	s_mul_hi_u32 s10, s12, s5
	;; [unrolled: 1-line block ×3, first 2 shown]
	s_mul_i32 s3, s13, s3
	s_add_u32 s16, s17, s16
	s_addc_u32 s10, 0, s10
	s_mul_hi_u32 s18, s13, s5
	s_add_u32 s3, s16, s3
	s_mul_i32 s5, s13, s5
	s_addc_u32 s3, s10, s19
	s_addc_u32 s10, s18, 0
	s_add_u32 s3, s3, s5
	s_addc_u32 s5, 0, s10
	s_mul_i32 s16, s14, s3
	s_add_u32 s10, s3, 1
	v_sub_co_u32 v1, s12, s12, s16
	s_mul_hi_u32 s16, s14, s3
	s_addc_u32 s17, s5, 0
	s_mul_i32 s18, s14, s5
	s_delay_alu instid0(VALU_DEP_1)
	v_sub_co_u32 v3, s19, v1, s14
	s_add_u32 s20, s3, 2
	s_addc_u32 s21, s5, 0
	s_add_i32 s16, s16, s18
	s_cmp_lg_u32 s12, 0
	v_readfirstlane_b32 s12, v3
	s_subb_u32 s13, s13, s16
	s_cmp_lg_u32 s19, 0
	s_subb_u32 s16, s13, 0
	s_delay_alu instid0(VALU_DEP_1) | instskip(SKIP_4) | instid1(SALU_CYCLE_1)
	s_cmp_ge_u32 s12, s14
	s_cselect_b32 s12, -1, 0
	s_cmp_eq_u32 s16, 0
	v_readfirstlane_b32 s16, v1
	s_cselect_b32 s12, s12, -1
	s_cmp_lg_u32 s12, 0
	s_cselect_b32 s10, s20, s10
	s_cselect_b32 s12, s21, s17
	s_cmp_ge_u32 s16, s14
	s_cselect_b32 s16, -1, 0
	s_cmp_eq_u32 s13, 0
	s_cselect_b32 s13, s16, -1
	s_delay_alu instid0(SALU_CYCLE_1) | instskip(SKIP_2) | instid1(SALU_CYCLE_1)
	s_cmp_lg_u32 s13, 0
	s_cselect_b32 s13, s12, s5
	s_cselect_b32 s12, s10, s3
	s_xor_b64 s[12:13], s[12:13], s[6:7]
	s_delay_alu instid0(SALU_CYCLE_1)
	s_sub_u32 s54, s12, s6
	s_load_b64 s[12:13], s[0:1], 0x5c
	s_and_not1_b32 vcc_lo, exec_lo, s2
	s_cbranch_vccnz .LBB24_6
.LBB24_5:
	v_rcp_iflag_f32_e32 v1, v2
	s_sub_i32 s3, 0, s14
	s_waitcnt_depctr 0xfff
	v_mul_f32_e32 v1, 0x4f7ffffe, v1
	s_delay_alu instid0(VALU_DEP_1) | instskip(NEXT) | instid1(VALU_DEP_1)
	v_cvt_u32_f32_e32 v1, v1
	v_readfirstlane_b32 s2, v1
	s_delay_alu instid0(VALU_DEP_1) | instskip(NEXT) | instid1(SALU_CYCLE_1)
	s_mul_i32 s3, s3, s2
	s_mul_hi_u32 s3, s2, s3
	s_delay_alu instid0(SALU_CYCLE_1) | instskip(NEXT) | instid1(SALU_CYCLE_1)
	s_add_i32 s2, s2, s3
	s_mul_hi_u32 s2, s4, s2
	s_delay_alu instid0(SALU_CYCLE_1) | instskip(NEXT) | instid1(SALU_CYCLE_1)
	s_mul_i32 s3, s2, s14
	s_sub_i32 s3, s4, s3
	s_add_i32 s4, s2, 1
	s_sub_i32 s5, s3, s14
	s_cmp_ge_u32 s3, s14
	s_cselect_b32 s2, s4, s2
	s_cselect_b32 s3, s5, s3
	s_add_i32 s4, s2, 1
	s_cmp_ge_u32 s3, s14
	s_cselect_b32 s54, s4, s2
.LBB24_6:
	s_abs_i32 s73, s72
	v_bfe_u32 v252, v0, 10, 10
	v_cvt_f32_u32_e32 v1, s73
	s_clause 0x6
	s_load_b512 s[16:31], s[0:1], 0x0
	s_load_b32 s2, s[0:1], 0x40
	s_load_b64 s[46:47], s[0:1], 0x8c
	s_load_b128 s[36:39], s[0:1], 0x98
	s_load_b64 s[42:43], s[0:1], 0xa8
	s_load_b64 s[52:53], s[0:1], 0xb8
	;; [unrolled: 1-line block ×3, first 2 shown]
	s_sub_i32 s3, 0, s73
	s_abs_i32 s1, s50
	v_rcp_iflag_f32_e32 v1, v1
	s_ashr_i32 s51, s11, 3
	s_waitcnt lgkmcnt(0)
	s_ashr_i32 s55, s48, 3
	s_ashr_i32 s0, s50, 31
	;; [unrolled: 1-line block ×3, first 2 shown]
	v_and_b32_e32 v251, 0x3ff, v0
	v_lshrrev_b32_e32 v0, 3, v252
	v_lshlrev_b32_e32 v69, 3, v252
	v_lshlrev_b32_e32 v253, 4, v252
	v_and_b32_e32 v75, 7, v252
	s_waitcnt_depctr 0xfff
	v_dual_mul_f32 v1, 0x4f7ffffe, v1 :: v_dual_and_b32 v70, 1, v252
	scratch_store_b32 off, v0, off offset:92 ; 4-byte Folded Spill
	v_add_nc_u32_e32 v78, 2, v252
	s_ashr_i32 s10, s38, 2
	v_cvt_u32_f32_e32 v1, v1
	s_ashr_i32 s34, s46, 2
	s_ashr_i32 s40, s53, 1
	v_cvt_f16_f32_e32 v0, s2
	v_add_nc_u32_e32 v77, 4, v252
	v_readfirstlane_b32 s75, v1
	v_add_nc_u32_e32 v76, 6, v252
	v_add_nc_u32_e32 v74, 8, v252
	;; [unrolled: 1-line block ×4, first 2 shown]
	s_mul_i32 s3, s3, s75
	v_add_nc_u32_e32 v71, 14, v252
	s_mul_hi_u32 s3, s75, s3
	v_pack_b32_f16 v0, v0, v0
	s_add_i32 s75, s75, s3
	s_mov_b32 s57, 0
	s_mul_hi_u32 s3, s1, s75
	scratch_store_b32 off, v70, off offset:448 ; 4-byte Folded Spill
	s_mul_i32 s3, s3, s73
	scratch_store_b32 off, v0, off offset:80 ; 4-byte Folded Spill
	s_sub_i32 s1, s1, s3
	s_delay_alu instid0(SALU_CYCLE_1) | instskip(SKIP_2) | instid1(SALU_CYCLE_1)
	s_sub_i32 s3, s1, s73
	s_cmp_ge_u32 s1, s73
	s_cselect_b32 s1, s3, s1
	s_sub_i32 s3, s1, s73
	s_cmp_ge_u32 s1, s73
	s_cselect_b32 s1, s3, s1
	s_sub_i32 s3, s54, s50
	s_xor_b32 s1, s1, s0
	s_delay_alu instid0(SALU_CYCLE_1) | instskip(NEXT) | instid1(SALU_CYCLE_1)
	s_sub_i32 s97, s1, s0
	s_add_i32 s3, s3, s97
	s_delay_alu instid0(SALU_CYCLE_1)
	s_min_i32 s92, s72, s3
	s_cmp_gt_i32 s54, s50
	s_cselect_b32 s4, -1, 0
	s_cmp_le_i32 s54, s50
	s_cselect_b32 s0, -1, 0
	s_cmp_gt_i32 s72, s3
	s_cselect_b32 s1, -1, 0
	s_delay_alu instid0(SALU_CYCLE_1) | instskip(NEXT) | instid1(SALU_CYCLE_1)
	s_or_b32 s0, s1, s0
	s_and_b32 vcc_lo, exec_lo, s0
	s_cbranch_vccz .LBB24_9
; %bb.7:
	s_and_not1_b32 vcc_lo, exec_lo, s4
	s_cbranch_vccz .LBB24_273
.LBB24_8:
	s_endpgm
.LBB24_9:
	v_lshrrev_b32_e32 v179, 4, v251
	s_cmp_eq_u64 s[24:25], 0
	v_lshrrev_b32_e32 v33, 1, v252
	s_cselect_b32 s46, -1, 0
	s_cmp_lg_u64 s[26:27], 0
	v_lshl_add_u32 v3, v252, 1, v179
	s_cselect_b32 s53, -1, 0
	s_lshl_b32 s2, s10, 2
	v_add_nc_u32_e32 v35, 1, v33
	v_add_nc_u32_e32 v36, 2, v33
	v_mul_lo_u32 v16, s10, v3
	v_add_nc_u32_e32 v38, 3, v33
	v_add_nc_u32_e32 v40, 4, v33
	v_lshlrev_b32_e32 v37, 1, v35
	v_and_b32_e32 v39, 15, v35
	v_lshlrev_b32_e32 v41, 1, v36
	v_and_b32_e32 v42, 15, v36
	v_lshlrev_b32_e32 v43, 1, v38
	v_add_nc_u32_e32 v18, s2, v16
	v_and_b32_e32 v44, 15, v38
	v_lshlrev_b32_e32 v45, 1, v40
	v_and_b32_e32 v46, 15, v40
	v_and_or_b32 v37, 0x60, v37, v39
	v_add_nc_u32_e32 v20, s2, v18
	v_add_nc_u32_e32 v39, 5, v33
	v_and_or_b32 v41, 0x60, v41, v42
	v_and_or_b32 v42, 0x60, v43, v44
	;; [unrolled: 1-line block ×3, first 2 shown]
	v_add_nc_u32_e32 v22, s2, v20
	v_add_nc_u32_e32 v44, 6, v33
	;; [unrolled: 1-line block ×3, first 2 shown]
	v_lshlrev_b32_e32 v45, 1, v39
	v_and_b32_e32 v47, 15, v39
	v_add_nc_u32_e32 v24, s2, v22
	v_add_nc_u32_e32 v48, 8, v33
	v_lshlrev_b32_e32 v49, 1, v44
	v_and_b32_e32 v50, 15, v44
	v_lshlrev_b32_e32 v51, 1, v46
	v_add_nc_u32_e32 v26, s2, v24
	v_and_b32_e32 v52, 15, v46
	v_lshlrev_b32_e32 v53, 1, v48
	v_and_b32_e32 v54, 15, v48
	v_and_or_b32 v45, 0x60, v45, v47
	v_add_nc_u32_e32 v28, s2, v26
	v_add_nc_u32_e32 v47, 9, v33
	v_and_or_b32 v49, 0x60, v49, v50
	v_and_or_b32 v50, 0x60, v51, v52
	v_add_nc_u32_e32 v52, 10, v33
	v_add_nc_u32_e32 v56, 12, v33
	s_lshl_b32 s56, s15, 4
	v_add_nc_u32_e32 v30, s2, v28
	s_lshl_b64 s[2:3], s[56:57], 3
	v_and_or_b32 v51, 0x60, v53, v54
	v_lshlrev_b32_e32 v53, 1, v47
	v_and_b32_e32 v55, 15, v47
	v_lshlrev_b32_e32 v57, 1, v52
	v_and_b32_e32 v58, 15, v52
	;; [unrolled: 2-line block ×3, first 2 shown]
	s_ashr_i32 s41, s40, 31
	s_ashr_i32 s35, s34, 31
	s_lshl_b32 s1, s34, 2
	s_ashr_i32 s11, s10, 31
	s_add_u32 s4, s30, s2
	s_addc_u32 s5, s31, s3
	s_abs_i32 s76, s71
	v_and_or_b32 v53, 0x60, v53, v55
	v_and_or_b32 v55, 0x60, v57, v58
	;; [unrolled: 1-line block ×3, first 2 shown]
	v_cvt_f32_u32_e32 v62, s76
	v_add_nc_u32_e32 v54, 11, v33
	v_add_nc_u32_e32 v63, 13, v33
	s_abs_i32 s79, s69
	v_and_b32_e32 v1, 0x1f0, v69
	v_rcp_iflag_f32_e32 v62, v62
	v_lshlrev_b32_e32 v59, 1, v54
	v_and_b32_e32 v60, 15, v54
	v_lshlrev_b32_e32 v5, 2, v251
	v_and_b32_e32 v61, 15, v63
	v_mul_lo_u32 v0, s34, v3
	v_mad_u32_u24 v2, 0x110, v1, 0
	v_and_or_b32 v57, 0x60, v59, v60
	v_lshlrev_b32_e32 v59, 1, v63
	v_and_or_b32 v1, v251, 8, v1
	v_mul_f32_e32 v62, 0x4f7ffffe, v62
	v_add_nc_u32_e32 v60, 14, v33
	s_abs_i32 s78, s70
	v_and_or_b32 v59, 0x60, v59, v61
	v_cvt_f32_u32_e32 v61, s79
	v_cvt_u32_f32_e32 v62, v62
	v_lshrrev_b32_e32 v1, 3, v1
	v_lshlrev_b32_e32 v64, 1, v60
	v_and_b32_e32 v66, 15, v60
	v_rcp_iflag_f32_e32 v61, v61
	v_readfirstlane_b32 s6, v62
	v_add_nc_u32_e32 v62, v253, v251
	v_lshlrev_b32_e32 v4, 1, v251
	v_cvt_f32_u32_e32 v67, s78
	v_and_b32_e32 v6, 16, v253
	v_mad_u32_u24 v21, 0x50, v1, 0
	v_mul_u32_u24_e32 v62, 0x110, v62
	scratch_store_b32 off, v2, off offset:100 ; 4-byte Folded Spill
	v_dual_mov_b32 v231, 0 :: v_dual_add_nc_u32 v2, s1, v0
	v_ashrrev_i32_e32 v1, 31, v0
	s_abs_i32 s77, s52
	v_and_or_b32 v64, 0x60, v64, v66
	v_rcp_iflag_f32_e32 v66, v67
	v_mul_f32_e32 v61, 0x4f7ffffe, v61
	v_and_b32_e32 v9, 30, v4
	v_add_nc_u32_e32 v4, s1, v2
	v_cvt_f32_u32_e32 v65, s77
	v_lshlrev_b64 v[130:131], 2, v[0:1]
	v_mov_b32_e32 v1, v252
	v_mad_u32_u24 v31, 0x110, v6, 0
	v_lshlrev_b32_e32 v17, 1, v6
	v_add_nc_u32_e32 v6, s1, v4
	v_mul_f32_e32 v66, 0x4f7ffffe, v66
	v_rcp_iflag_f32_e32 v65, v65
	v_and_b32_e32 v32, 15, v251
	v_add_nc_u32_e32 v33, 15, v33
	v_add_nc_u32_e32 v8, s1, v6
	v_and_b32_e32 v79, 60, v5
	v_cmp_gt_u32_e64 s0, 2, v3
	v_mad_u32_u24 v5, 0x50, v3, 0
	v_lshlrev_b32_e32 v67, 1, v33
	v_add_nc_u32_e32 v10, s1, v8
	v_and_b32_e32 v68, 15, v33
	v_mul_f32_e32 v65, 0x4f7ffffe, v65
	v_lshl_add_u32 v34, v32, 2, v31
	v_mul_u32_u24_e32 v3, 0xc0, v3
	v_add_nc_u32_e32 v12, s1, v10
	v_lshlrev_b32_e32 v7, 2, v79
	v_cvt_u32_f32_e32 v65, v65
	v_add_nc_u32_e32 v187, 64, v34
	v_add_nc_u32_e32 v188, 0x80, v34
	;; [unrolled: 1-line block ×3, first 2 shown]
	s_sub_i32 s1, 0, s77
	v_add_nc_u32_e32 v189, 0xc0, v34
	v_and_or_b32 v34, 0x60, v67, v68
	v_mul_lo_u32 v67, s1, v65
	v_add3_u32 v185, v5, v3, v7
	v_ashrrev_i32_e32 v3, 31, v2
	v_cvt_u32_f32_e32 v66, v66
	v_cvt_u32_f32_e32 v61, v61
	v_bfe_u32 v68, v252, 1, 4
	v_mov_b32_e32 v0, v251
	v_lshlrev_b64 v[132:133], 2, v[2:3]
	v_mul_hi_u32 v67, v65, v67
	v_readfirstlane_b32 s7, v66
	v_or_b32_e32 v66, v69, v251
	v_readfirstlane_b32 s56, v61
	v_or_b32_e32 v61, v253, v32
	v_lshrrev_b32_e32 v2, 3, v78
	scratch_store_b32 off, v62, off offset:104 ; 4-byte Folded Spill
	v_lshlrev_b32_e32 v66, 3, v66
	v_add_nc_u32_e32 v62, v65, v67
	scratch_store_b32 off, v9, off offset:188 ; 4-byte Folded Spill
	v_mad_u32_u24 v61, 0x44, v61, v179
	v_lshl_add_u32 v9, v9, 1, v5
	v_and_or_b32 v65, v252, 32, v68
	s_clause 0x1
	scratch_store_b32 off, v62, off offset:180
	scratch_store_b32 off, v2, off offset:128
	v_mad_u32_u24 v62, 0x44, v252, v251
	v_add_co_u32 v68, s4, s4, v66
	v_lshl_add_u32 v61, v61, 2, 0
	v_add_nc_u32_e32 v67, 32, v251
	s_delay_alu instid0(VALU_DEP_4)
	v_lshl_add_u32 v66, v62, 2, 0
	v_and_b32_e32 v2, 7, v77
	v_lshlrev_b32_e32 v19, 1, v179
	v_ashrrev_i32_e32 v23, 31, v22
	v_mad_u32_u24 v62, 0x44, v65, v67
	v_add_nc_u32_e32 v3, 0x220, v66
	s_clause 0x2
	scratch_store_b32 off, v9, off offset:68
	scratch_store_b32 off, v61, off offset:108
	;; [unrolled: 1-line block ×3, first 2 shown]
	v_mad_u32_u24 v61, 0x44, v65, v251
	v_mul_u32_u24_e32 v65, 0x110, v65
	s_clause 0x1
	scratch_store_b32 off, v0, off offset:76
	scratch_store_b32 off, v3, off offset:72
	v_and_b32_e32 v0, 7, v0
	v_lshl_add_u32 v61, v61, 2, 0
	s_clause 0x1
	scratch_store_b32 off, v65, off offset:240
	scratch_store_b32 off, v69, off offset:480
	v_mad_u32_u24 v65, 0x44, v37, v251
	s_clause 0x1
	scratch_store_b32 off, v0, off offset:200
	scratch_store_b32 off, v61, off offset:244
	v_mad_u32_u24 v61, 0x44, v37, v67
	v_mul_u32_u24_e32 v37, 0x110, v37
	v_mul_lo_u32 v0, v75, s55
	v_lshl_add_u32 v62, v62, 2, 0
	v_add_co_ci_u32_e64 v69, null, s5, 0, s4
	v_lshl_add_u32 v61, v61, 2, 0
	scratch_store_b32 off, v37, off offset:408 ; 4-byte Folded Spill
	v_lshl_add_u32 v37, v65, 2, 0
	s_clause 0x1
	scratch_store_b32 off, v78, off offset:508
	scratch_store_b32 off, v0, off offset:120
	v_and_b32_e32 v0, 7, v78
	v_and_b32_e32 v3, 7, v76
	scratch_store_b32 off, v37, off offset:412 ; 4-byte Folded Spill
	v_mad_u32_u24 v37, 0x44, v41, v251
	s_sub_i32 s4, 0, s76
	s_sub_i32 s5, 0, s79
	s_mul_i32 s4, s4, s6
	s_mul_i32 s5, s5, s56
	v_lshl_add_u32 v37, v37, 2, 0
	scratch_store_b32 off, v61, off offset:416 ; 4-byte Folded Spill
	v_mad_u32_u24 v61, 0x44, v41, v67
	v_mul_u32_u24_e32 v41, 0x110, v41
	s_mul_hi_u32 s4, s6, s4
	scratch_store_b32 off, v37, off offset:436 ; 4-byte Folded Spill
	v_mad_u32_u24 v37, 0x44, v42, v67
	v_lshl_add_u32 v61, v61, 2, 0
	scratch_store_b64 off, v[68:69], off offset:400 ; 8-byte Folded Spill
	s_add_i32 s81, s6, s4
	s_sub_i32 s4, 0, s78
	v_lshl_add_u32 v37, v37, 2, 0
	s_clause 0x1
	scratch_store_b32 off, v61, off offset:440
	scratch_store_b32 off, v41, off offset:432
	v_mad_u32_u24 v41, 0x44, v42, v251
	v_mul_u32_u24_e32 v42, 0x110, v42
	s_mul_i32 s4, s4, s7
	v_add3_u32 v186, v21, v17, v19
	s_mul_hi_u32 s4, s7, s4
	v_lshl_add_u32 v41, v41, 2, 0
	scratch_store_b32 off, v42, off offset:460 ; 4-byte Folded Spill
	v_mul_u32_u24_e32 v42, 0x110, v43
	s_add_i32 s83, s7, s4
	s_mul_hi_u32 s4, s56, s5
	scratch_store_b32 off, v41, off offset:464 ; 4-byte Folded Spill
	v_mad_u32_u24 v41, 0x44, v43, v251
	v_ashrrev_i32_e32 v17, 31, v16
	s_add_i32 s85, s56, s4
	v_ashrrev_i32_e32 v19, 31, v18
	v_ashrrev_i32_e32 v21, 31, v20
	v_lshl_add_u32 v41, v41, 2, 0
	scratch_store_b32 off, v37, off offset:468 ; 4-byte Folded Spill
	v_mad_u32_u24 v37, 0x44, v43, v67
	v_lshlrev_b64 v[16:17], 2, v[16:17]
	v_lshlrev_b64 v[18:19], 2, v[18:19]
	scratch_store_b32 off, v41, off offset:524 ; 4-byte Folded Spill
	v_mad_u32_u24 v41, 0x44, v45, v67
	v_lshl_add_u32 v37, v37, 2, 0
	scratch_store_b32 off, v253, off offset:476 ; 4-byte Folded Spill
	v_lshlrev_b64 v[20:21], 2, v[20:21]
	v_lshlrev_b64 v[22:23], 2, v[22:23]
	v_lshl_add_u32 v41, v41, 2, 0
	scratch_store_b32 off, v42, off offset:520 ; 4-byte Folded Spill
	v_mad_u32_u24 v42, 0x44, v45, v251
	v_ashrrev_i32_e32 v25, 31, v24
	v_ashrrev_i32_e32 v27, 31, v26
	scratch_store_b32 off, v41, off offset:552 ; 4-byte Folded Spill
	v_mad_u32_u24 v41, 0x44, v49, v67
	v_ashrrev_i32_e32 v29, 31, v28
	v_lshlrev_b64 v[24:25], 2, v[24:25]
	v_lshlrev_b64 v[26:27], 2, v[26:27]
	v_mad_u32_u24 v183, 0x110, v32, v31
	v_lshl_add_u32 v41, v41, 2, 0
	scratch_store_b32 off, v37, off offset:528 ; 4-byte Folded Spill
	v_mul_u32_u24_e32 v37, 0x110, v45
	v_lshlrev_b64 v[28:29], 2, v[28:29]
	v_ashrrev_i32_e32 v31, 31, v30
	scratch_store_b32 off, v41, off offset:576 ; 4-byte Folded Spill
	v_mul_u32_u24_e32 v41, 0x110, v50
	scratch_store_b32 off, v37, off offset:544 ; 4-byte Folded Spill
	v_lshl_add_u32 v37, v42, 2, 0
	v_mul_u32_u24_e32 v42, 0x110, v49
	v_lshlrev_b64 v[30:31], 2, v[30:31]
	scratch_store_b32 off, v41, off offset:584 ; 4-byte Folded Spill
	v_ashrrev_i32_e32 v5, 31, v4
	scratch_store_b32 off, v37, off offset:548 ; 4-byte Folded Spill
	v_mad_u32_u24 v37, 0x44, v49, v251
	v_ashrrev_i32_e32 v7, 31, v6
	v_ashrrev_i32_e32 v9, 31, v8
	v_lshlrev_b64 v[134:135], 2, v[4:5]
	v_ashrrev_i32_e32 v11, 31, v10
	v_lshl_add_u32 v37, v37, 2, 0
	scratch_store_b32 off, v42, off offset:568 ; 4-byte Folded Spill
	v_mad_u32_u24 v42, 0x44, v50, v251
	v_lshlrev_b64 v[136:137], 2, v[6:7]
	v_lshlrev_b64 v[138:139], 2, v[8:9]
	;; [unrolled: 1-line block ×3, first 2 shown]
	v_ashrrev_i32_e32 v13, 31, v12
	v_lshl_add_u32 v41, v42, 2, 0
	scratch_store_b32 off, v37, off offset:572 ; 4-byte Folded Spill
	v_mad_u32_u24 v37, 0x44, v50, v67
	v_lshrrev_b32_e32 v42, 3, v48
	v_lshlrev_b64 v[142:143], 2, v[12:13]
	v_ashrrev_i32_e32 v15, 31, v14
	v_cmp_eq_u32_e64 s1, 0, v70
	v_lshl_add_u32 v37, v37, 2, 0
	scratch_store_b32 off, v41, off offset:588 ; 4-byte Folded Spill
	v_mad_u32_u24 v41, 0x44, v51, v251
	v_lshlrev_b64 v[144:145], 2, v[14:15]
	v_cmp_eq_u32_e64 s2, 1, v70
	scratch_store_b32 off, v37, off offset:592 ; 4-byte Folded Spill
	v_mad_u32_u24 v37, 0x44, v51, v67
	v_lshl_add_u32 v41, v41, 2, 0
	scratch_store_b32 off, v42, off offset:596 ; 4-byte Folded Spill
	v_mul_u32_u24_e32 v42, 0x110, v51
	v_cmp_gt_u32_e64 s3, 16, v251
	v_lshl_add_u32 v37, v37, 2, 0
	v_mad_i32_i24 v244, 0xfffffef4, v32, v183
	v_lshlrev_b32_e32 v245, 4, v32
	scratch_store_b32 off, v42, off offset:608 ; 4-byte Folded Spill
	v_mul_u32_u24_e32 v42, 0x110, v53
	scratch_store_b32 off, v41, off offset:612 ; 4-byte Folded Spill
	v_mad_u32_u24 v41, 0x44, v53, v251
	v_add_nc_u32_e32 v246, 0x440, v185
	v_add_nc_u32_e32 v247, 0x880, v185
	scratch_store_b32 off, v42, off offset:632 ; 4-byte Folded Spill
	v_mad_u32_u24 v42, 0x44, v55, v251
	v_lshl_add_u32 v41, v41, 2, 0
	scratch_store_b32 off, v37, off offset:616 ; 4-byte Folded Spill
	v_mad_u32_u24 v37, 0x44, v53, v67
	v_add_nc_u32_e32 v248, 0xcc0, v185
	v_add_nc_u32_e32 v249, 0x1100, v185
	;; [unrolled: 1-line block ×4, first 2 shown]
	v_lshl_add_u32 v37, v37, 2, 0
	scratch_store_b32 off, v41, off offset:636 ; 4-byte Folded Spill
	v_mad_u32_u24 v41, 0x44, v55, v67
	v_xor_b32_e32 v253, 1, v179
	s_mul_i32 s38, s8, s9
	s_ashr_i32 s80, s71, 31
	s_ashr_i32 s82, s70, 31
	v_lshl_add_u32 v41, v41, 2, 0
	scratch_store_b32 off, v37, off offset:640 ; 4-byte Folded Spill
	v_mul_u32_u24_e32 v37, 0x110, v55
	s_ashr_i32 s84, s69, 31
	s_lshl_b64 s[58:59], s[40:41], 1
	scratch_store_b32 off, v41, off offset:664 ; 4-byte Folded Spill
	v_mad_u32_u24 v41, 0x44, v57, v67
	s_lshl_b64 s[60:61], s[10:11], 7
	s_lshl_b64 s[62:63], s[34:35], 7
	scratch_store_b32 off, v0, off offset:124 ; 4-byte Folded Spill
	v_mul_lo_u32 v0, v0, s55
	v_lshl_add_u32 v41, v41, 2, 0
	scratch_store_b32 off, v37, off offset:656 ; 4-byte Folded Spill
	v_lshl_add_u32 v37, v42, 2, 0
	v_mul_u32_u24_e32 v42, 0x110, v57
	scratch_store_b32 off, v41, off offset:688 ; 4-byte Folded Spill
	v_mul_u32_u24_e32 v41, 0x110, v58
	scratch_store_b32 off, v37, off offset:660 ; 4-byte Folded Spill
	v_mad_u32_u24 v37, 0x44, v57, v251
	s_delay_alu instid0(VALU_DEP_1) | instskip(SKIP_4) | instid1(VALU_DEP_1)
	v_lshl_add_u32 v37, v37, 2, 0
	scratch_store_b32 off, v42, off offset:680 ; 4-byte Folded Spill
	v_mad_u32_u24 v42, 0x44, v58, v251
	scratch_store_b32 off, v37, off offset:684 ; 4-byte Folded Spill
	v_mad_u32_u24 v37, 0x44, v58, v67
	v_lshl_add_u32 v37, v37, 2, 0
	scratch_store_b32 off, v41, off offset:704 ; 4-byte Folded Spill
	v_lshl_add_u32 v41, v42, 2, 0
	v_mul_u32_u24_e32 v42, 0x110, v59
	scratch_store_b32 off, v41, off offset:708 ; 4-byte Folded Spill
	v_mad_u32_u24 v41, 0x44, v59, v251
	s_delay_alu instid0(VALU_DEP_1) | instskip(SKIP_2) | instid1(VALU_DEP_1)
	v_lshl_add_u32 v41, v41, 2, 0
	scratch_store_b32 off, v37, off offset:712 ; 4-byte Folded Spill
	v_mad_u32_u24 v37, 0x44, v59, v67
	v_lshl_add_u32 v37, v37, 2, 0
	scratch_store_b32 off, v42, off offset:728 ; 4-byte Folded Spill
	v_mad_u32_u24 v42, 0x44, v64, v251
	scratch_store_b32 off, v37, off offset:736 ; 4-byte Folded Spill
	v_mul_u32_u24_e32 v37, 0x110, v64
	scratch_store_b32 off, v41, off offset:732 ; 4-byte Folded Spill
	v_mad_u32_u24 v41, 0x44, v64, v67
	s_delay_alu instid0(VALU_DEP_1)
	v_lshl_add_u32 v41, v41, 2, 0
	scratch_store_b32 off, v37, off offset:752 ; 4-byte Folded Spill
	v_lshl_add_u32 v37, v42, 2, 0
	scratch_store_b32 off, v41, off offset:760 ; 4-byte Folded Spill
	v_mad_u32_u24 v41, 0x44, v34, v67
	scratch_store_b32 off, v37, off offset:756 ; 4-byte Folded Spill
	v_mad_u32_u24 v37, 0x44, v34, v251
	v_mul_u32_u24_e32 v34, 0x110, v34
	v_add_nc_u32_e32 v251, 0x1980, v185
	scratch_store_b32 off, v34, off offset:768 ; 4-byte Folded Spill
	v_lshl_add_u32 v34, v37, 2, 0
	scratch_store_b32 off, v34, off offset:772 ; 4-byte Folded Spill
	v_lshl_add_u32 v34, v41, 2, 0
	scratch_store_b32 off, v34, off offset:776 ; 4-byte Folded Spill
	v_mul_u32_u24_e32 v34, 0x110, v32
	s_clause 0x3
	scratch_store_b32 off, v34, off offset:116
	scratch_store_b32 off, v62, off offset:248
	;; [unrolled: 1-line block ×4, first 2 shown]
	v_lshrrev_b32_e32 v0, 3, v77
	s_clause 0x1
	scratch_store_b32 off, v0, off offset:140
	scratch_store_b32 off, v2, off offset:132
	v_mul_lo_u32 v0, v2, s55
	s_clause 0x1
	scratch_store_b32 off, v0, off offset:208
	scratch_store_b32 off, v76, off offset:500
	v_lshrrev_b32_e32 v0, 3, v76
	s_clause 0x1
	scratch_store_b32 off, v0, off offset:144
	scratch_store_b32 off, v3, off offset:136
	v_mul_lo_u32 v0, v3, s55
	v_lshrrev_b32_e32 v2, 3, v74
	v_lshrrev_b32_e32 v3, 3, v73
	s_clause 0x2
	scratch_store_b32 off, v74, off offset:496
	scratch_store_b32 off, v3, off offset:160
	;; [unrolled: 1-line block ×3, first 2 shown]
	v_and_b32_e32 v0, 7, v73
	scratch_store_b32 off, v2, off offset:152 ; 4-byte Folded Spill
	v_and_b32_e32 v2, 7, v72
	scratch_store_b32 off, v73, off offset:492 ; 4-byte Folded Spill
	;; [unrolled: 2-line block ×3, first 2 shown]
	v_mul_lo_u32 v0, v0, s55
	s_clause 0x1
	scratch_store_b32 off, v0, off offset:216
	scratch_store_b32 off, v72, off offset:488
	v_lshrrev_b32_e32 v0, 3, v72
	s_clause 0x1
	scratch_store_b32 off, v0, off offset:168
	scratch_store_b32 off, v2, off offset:156
	v_mul_lo_u32 v0, v2, s55
	s_clause 0x1
	scratch_store_b32 off, v0, off offset:220
	scratch_store_b32 off, v71, off offset:484
	v_lshrrev_b32_e32 v0, 3, v71
	s_clause 0x1
	scratch_store_b32 off, v0, off offset:172
	scratch_store_b32 off, v3, off offset:164
	v_mul_lo_u32 v0, v3, s55
	scratch_store_b32 off, v0, off offset:224 ; 4-byte Folded Spill
	v_lshrrev_b32_e32 v0, 4, v1
	scratch_store_b32 off, v0, off offset:228 ; 4-byte Folded Spill
	v_lshrrev_b32_e32 v0, 3, v35
	scratch_store_b32 off, v0, off offset:252 ; 4-byte Folded Spill
	v_and_b32_e32 v0, 7, v35
	scratch_store_b64 off, v[0:1], off offset:232 ; 8-byte Folded Spill
	v_lshrrev_b32_e32 v0, 3, v36
	scratch_store_b32 off, v0, off offset:420 ; 4-byte Folded Spill
	v_and_b32_e32 v0, 7, v36
	scratch_store_b64 off, v[0:1], off offset:392 ; 8-byte Folded Spill
	;; [unrolled: 4-line block ×13, first 2 shown]
	v_lshrrev_b32_e32 v0, 3, v33
	scratch_store_b32 off, v0, off offset:764 ; 4-byte Folded Spill
	v_and_b32_e32 v0, 7, v33
	s_clause 0x1
	scratch_store_b64 off, v[0:1], off offset:744
	scratch_store_b32 off, v79, off
	v_add_co_u32 v0, s4, s22, v79
	scratch_store_b32 off, v0, off offset:256 ; 4-byte Folded Spill
	v_add_co_ci_u32_e64 v0, null, s23, 0, s4
	scratch_store_b32 off, v0, off offset:260 ; 4-byte Folded Spill
	v_add_co_u32 v0, vcc_lo, s20, v16
	s_clause 0x1
	scratch_store_b32 off, v0, off offset:264
	scratch_store_b64 off, v[16:17], off offset:4
	v_add_co_ci_u32_e32 v0, vcc_lo, s21, v17, vcc_lo
	scratch_store_b32 off, v0, off offset:268 ; 4-byte Folded Spill
	v_add_co_u32 v0, vcc_lo, s20, v18
	s_clause 0x1
	scratch_store_b32 off, v0, off offset:272
	scratch_store_b64 off, v[18:19], off offset:12
	v_add_co_ci_u32_e32 v0, vcc_lo, s21, v19, vcc_lo
	scratch_store_b32 off, v0, off offset:276 ; 4-byte Folded Spill
	v_add_co_u32 v0, vcc_lo, s20, v20
	s_clause 0x1
	scratch_store_b32 off, v0, off offset:280
	scratch_store_b64 off, v[20:21], off offset:20
	v_add_co_ci_u32_e32 v0, vcc_lo, s21, v21, vcc_lo
	scratch_store_b32 off, v0, off offset:284 ; 4-byte Folded Spill
	v_add_co_u32 v0, vcc_lo, s20, v22
	s_clause 0x1
	scratch_store_b32 off, v0, off offset:288
	scratch_store_b64 off, v[22:23], off offset:28
	v_add_co_ci_u32_e32 v0, vcc_lo, s21, v23, vcc_lo
	scratch_store_b32 off, v0, off offset:292 ; 4-byte Folded Spill
	v_add_co_u32 v0, vcc_lo, s20, v24
	s_clause 0x1
	scratch_store_b32 off, v0, off offset:296
	scratch_store_b64 off, v[24:25], off offset:36
	v_add_co_ci_u32_e32 v0, vcc_lo, s21, v25, vcc_lo
	scratch_store_b32 off, v0, off offset:300 ; 4-byte Folded Spill
	v_add_co_u32 v0, vcc_lo, s20, v26
	s_clause 0x1
	scratch_store_b32 off, v0, off offset:304
	scratch_store_b64 off, v[26:27], off offset:44
	v_add_co_ci_u32_e32 v0, vcc_lo, s21, v27, vcc_lo
	scratch_store_b32 off, v0, off offset:308 ; 4-byte Folded Spill
	v_add_co_u32 v0, vcc_lo, s20, v28
	s_clause 0x1
	scratch_store_b32 off, v0, off offset:312
	scratch_store_b64 off, v[28:29], off offset:52
	v_add_co_ci_u32_e32 v0, vcc_lo, s21, v29, vcc_lo
	scratch_store_b32 off, v0, off offset:316 ; 4-byte Folded Spill
	v_add_co_u32 v0, vcc_lo, s20, v30
	s_clause 0x1
	scratch_store_b32 off, v0, off offset:320
	scratch_store_b64 off, v[30:31], off offset:60
	v_add_co_ci_u32_e32 v0, vcc_lo, s21, v31, vcc_lo
	scratch_store_b32 off, v0, off offset:324 ; 4-byte Folded Spill
	v_add_co_u32 v0, vcc_lo, s18, v130
	scratch_store_b32 off, v0, off offset:328 ; 4-byte Folded Spill
	v_add_co_ci_u32_e32 v0, vcc_lo, s19, v131, vcc_lo
	scratch_store_b32 off, v0, off offset:332 ; 4-byte Folded Spill
	v_add_co_u32 v0, vcc_lo, s18, v132
	scratch_store_b32 off, v0, off offset:336 ; 4-byte Folded Spill
	v_add_co_ci_u32_e32 v0, vcc_lo, s19, v133, vcc_lo
	;; [unrolled: 4-line block ×8, first 2 shown]
	s_clause 0x1
	scratch_store_b32 off, v0, off offset:388
	scratch_store_b32 off, v1, off offset:96
	v_bfe_u32 v0, v1, 1, 3
	s_clause 0x1
	scratch_store_b32 off, v75, off offset:176
	scratch_store_b64 off, v[0:1], off offset:192
.LBB24_10:                              ; =>This Loop Header: Depth=1
                                        ;     Child Loop BB24_178 Depth 2
                                        ;     Child Loop BB24_48 Depth 2
	s_abs_i32 s4, s50
	s_ashr_i32 s6, s50, 31
	s_mul_hi_u32 s5, s4, s81
	s_xor_b32 s6, s6, s80
	s_mul_i32 s7, s5, s76
	s_delay_alu instid0(SALU_CYCLE_1)
	s_sub_i32 s4, s4, s7
	s_add_i32 s7, s5, 1
	s_sub_i32 s41, s4, s76
	s_cmp_ge_u32 s4, s76
	s_cselect_b32 s5, s7, s5
	s_cselect_b32 s4, s41, s4
	s_add_i32 s7, s5, 1
	s_cmp_ge_u32 s4, s76
	s_cselect_b32 s4, s7, s5
	s_delay_alu instid0(SALU_CYCLE_1) | instskip(NEXT) | instid1(SALU_CYCLE_1)
	s_xor_b32 s4, s4, s6
	s_sub_i32 s4, s4, s6
	s_delay_alu instid0(SALU_CYCLE_1) | instskip(NEXT) | instid1(SALU_CYCLE_1)
	s_mul_i32 s5, s4, s71
	s_sub_i32 s6, s50, s5
	s_delay_alu instid0(SALU_CYCLE_1) | instskip(SKIP_4) | instid1(SALU_CYCLE_1)
	s_abs_i32 s5, s6
	s_ashr_i32 s41, s6, 31
	s_mul_hi_u32 s7, s5, s83
	s_xor_b32 s41, s41, s82
	s_mul_i32 s56, s7, s78
	s_sub_i32 s5, s5, s56
	s_add_i32 s56, s7, 1
	s_sub_i32 s59, s5, s78
	s_cmp_ge_u32 s5, s78
	s_cselect_b32 s7, s56, s7
	s_cselect_b32 s5, s59, s5
	s_add_i32 s56, s7, 1
	s_cmp_ge_u32 s5, s78
	s_cselect_b32 s5, s56, s7
	s_delay_alu instid0(SALU_CYCLE_1) | instskip(NEXT) | instid1(SALU_CYCLE_1)
	s_xor_b32 s5, s5, s41
	s_sub_i32 s5, s5, s41
	s_delay_alu instid0(SALU_CYCLE_1) | instskip(NEXT) | instid1(SALU_CYCLE_1)
	s_mul_i32 s7, s5, s70
	s_sub_i32 s7, s6, s7
	s_delay_alu instid0(SALU_CYCLE_1) | instskip(SKIP_4) | instid1(SALU_CYCLE_1)
	s_abs_i32 s6, s7
	s_ashr_i32 s56, s7, 31
	s_mul_hi_u32 s41, s6, s85
	s_xor_b32 s56, s56, s84
	s_mul_i32 s59, s41, s79
	;; [unrolled: 21-line block ×3, first 2 shown]
	s_sub_i32 s41, s41, s59
	s_add_i32 s59, s56, 1
	s_sub_i32 s64, s41, s73
	s_cmp_ge_u32 s41, s73
	s_cselect_b32 s56, s59, s56
	s_cselect_b32 s41, s64, s41
	s_add_i32 s59, s56, 1
	s_cmp_ge_u32 s41, s73
	s_cselect_b32 s41, s59, s56
	s_and_not1_b32 vcc_lo, exec_lo, s53
	s_xor_b32 s41, s41, s7
	s_delay_alu instid0(SALU_CYCLE_1)
	s_sub_i32 s89, s41, s7
	s_cbranch_vccnz .LBB24_12
; %bb.11:                               ;   in Loop: Header=BB24_10 Depth=1
	s_mul_i32 s7, s4, s68
	s_delay_alu instid0(SALU_CYCLE_1) | instskip(NEXT) | instid1(SALU_CYCLE_1)
	s_add_i32 s64, s89, s7
	s_ashr_i32 s65, s64, 31
	s_delay_alu instid0(SALU_CYCLE_1) | instskip(NEXT) | instid1(SALU_CYCLE_1)
	s_lshl_b64 s[64:65], s[64:65], 2
	s_add_u32 s64, s26, s64
	s_addc_u32 s65, s27, s65
	global_load_b32 v0, v231, s[64:65]
	s_waitcnt vmcnt(0)
	v_readfirstlane_b32 s7, v0
	s_delay_alu instid0(VALU_DEP_1) | instskip(NEXT) | instid1(SALU_CYCLE_1)
	s_ashr_i32 s41, s7, 31
	s_lshr_b32 s41, s41, 27
	s_delay_alu instid0(SALU_CYCLE_1) | instskip(NEXT) | instid1(SALU_CYCLE_1)
	s_add_i32 s7, s7, s41
	s_ashr_i32 s7, s7, 5
	s_delay_alu instid0(SALU_CYCLE_1)
	s_min_i32 s92, s92, s7
.LBB24_12:                              ;   in Loop: Header=BB24_10 Depth=1
	scratch_load_b32 v0, off, off offset:180 ; 4-byte Folded Reload
	s_mul_i32 s7, s5, s33
	s_lshl_b32 s86, s6, 3
	s_mul_i32 s41, s4, s49
	s_add_i32 s6, s86, s7
	s_ashr_i32 s7, s41, 31
	s_mul_i32 s56, s6, s48
	s_add_u32 s41, s16, s41
	s_addc_u32 s7, s17, s7
	s_ashr_i32 s59, s56, 31
	s_add_u32 s101, s41, s56
	s_addc_u32 s102, s7, s59
	s_mul_i32 s7, s4, s37
	s_mul_hi_u32 s41, s4, s36
	s_ashr_i32 s66, s4, 31
	s_add_i32 s7, s41, s7
	s_mul_i32 s41, s66, s36
	s_mul_i32 s94, s4, s36
	s_add_i32 s93, s7, s41
	s_mul_i32 s95, s5, s47
	s_add_u32 s7, s18, s94
	s_addc_u32 s41, s19, s93
	s_ashr_i32 s96, s95, 31
	s_add_u32 s90, s7, s95
	s_addc_u32 s91, s41, s96
	s_abs_i32 s7, s4
	s_mul_i32 s67, s4, s43
	s_mul_hi_u32 s87, s4, s42
	s_mul_i32 s98, s4, s42
	s_waitcnt vmcnt(1)
	v_or_b32_e32 v165, s86, v75
	s_waitcnt vmcnt(0)
	v_mul_hi_u32 v0, s7, v0
	s_delay_alu instid0(VALU_DEP_1) | instskip(NEXT) | instid1(VALU_DEP_1)
	v_mul_lo_u32 v0, v0, s77
	v_sub_nc_u32_e32 v0, s7, v0
	s_mul_i32 s7, s38, s4
	s_mul_i32 s4, s66, s42
	s_add_i32 s7, s6, s7
	s_delay_alu instid0(SALU_CYCLE_1)
	s_lshl_b32 s56, s7, 6
	v_subrev_nc_u32_e32 v1, s77, v0
	v_cmp_le_u32_e32 vcc_lo, s77, v0
	s_lshl_b64 s[64:65], s[56:57], 3
	s_mul_i32 s56, s5, s39
	s_add_u32 s41, s28, s64
	s_addc_u32 s59, s29, s65
	v_cndmask_b32_e32 v0, v0, v1, vcc_lo
	s_add_i32 s7, s87, s67
	s_delay_alu instid0(SALU_CYCLE_1) | instskip(SKIP_1) | instid1(VALU_DEP_1)
	s_add_i32 s99, s7, s4
	s_add_u32 s4, s20, s98
	v_subrev_nc_u32_e32 v1, s77, v0
	v_cmp_le_u32_e32 vcc_lo, s77, v0
	s_addc_u32 s5, s21, s99
	s_ashr_i32 s100, s56, 31
	s_add_u32 s87, s4, s56
	s_addc_u32 s88, s5, s100
	v_cndmask_b32_e32 v0, v0, v1, vcc_lo
	s_ashr_i32 s7, s6, 31
	s_delay_alu instid0(SALU_CYCLE_1) | instskip(NEXT) | instid1(VALU_DEP_1)
	s_lshl_b64 s[4:5], s[6:7], 2
	v_xor_b32_e32 v0, s66, v0
	s_add_u32 s4, s24, s4
	s_addc_u32 s5, s25, s5
	s_and_b32 s6, s46, exec_lo
	s_cselect_b32 s65, 0, s5
	v_subrev_nc_u32_e32 v0, s66, v0
	s_cselect_b32 s64, 0, s4
	s_cmp_lg_u32 s97, 0
	s_delay_alu instid0(VALU_DEP_1) | instskip(SKIP_3) | instid1(VALU_DEP_4)
	v_ashrrev_i32_e32 v1, 31, v0
	v_mul_lo_u32 v2, v0, s45
	v_mul_hi_u32 v3, v0, s44
	v_mul_lo_u32 v161, v0, s44
	v_mul_lo_u32 v1, v1, s44
	s_delay_alu instid0(VALU_DEP_3) | instskip(NEXT) | instid1(VALU_DEP_1)
	v_add_nc_u32_e32 v0, v3, v2
	v_add_nc_u32_e32 v162, v0, v1
	s_delay_alu instid0(VALU_DEP_4)
	v_add_co_u32 v0, vcc_lo, s22, v161
	scratch_store_b32 off, v0, off offset:84 ; 4-byte Folded Spill
	v_add_co_ci_u32_e32 v0, vcc_lo, s23, v162, vcc_lo
	v_cmp_gt_i32_e32 vcc_lo, s33, v165
	scratch_store_b32 off, v0, off offset:88 ; 4-byte Folded Spill
	s_cbranch_scc0 .LBB24_50
; %bb.13:                               ;   in Loop: Header=BB24_10 Depth=1
	scratch_load_b32 v0, off, off offset:92 ; 4-byte Folded Reload
	s_lshl_b32 s103, s89, 1
	s_xor_b32 s5, vcc_lo, -1
	s_waitcnt vmcnt(0)
	v_add_nc_u32_e32 v1, s103, v0
	s_delay_alu instid0(VALU_DEP_1) | instskip(NEXT) | instid1(VALU_DEP_1)
	v_cmp_le_i32_e64 s4, s8, v1
	s_or_b32 s4, s4, s5
	s_delay_alu instid0(SALU_CYCLE_1) | instskip(NEXT) | instid1(SALU_CYCLE_1)
	s_and_saveexec_b32 s6, s4
	s_xor_b32 s4, exec_lo, s6
	s_cbranch_execz .LBB24_15
; %bb.14:                               ;   in Loop: Header=BB24_10 Depth=1
	scratch_load_b32 v0, off, off offset:112 ; 4-byte Folded Reload
                                        ; implicit-def: $vgpr1
	s_waitcnt vmcnt(0)
	ds_store_2addr_b32 v0, v231, v231 offset1:32
.LBB24_15:                              ;   in Loop: Header=BB24_10 Depth=1
	s_and_not1_saveexec_b32 s4, s4
	s_cbranch_execz .LBB24_17
; %bb.16:                               ;   in Loop: Header=BB24_10 Depth=1
	v_mul_lo_u32 v0, v1, s51
	s_clause 0x1
	scratch_load_b32 v1, off, off offset:76
	scratch_load_b32 v2, off, off offset:120
	s_waitcnt vmcnt(0)
	v_add3_u32 v0, v0, v2, v1
	s_delay_alu instid0(VALU_DEP_1) | instskip(NEXT) | instid1(VALU_DEP_1)
	v_ashrrev_i32_e32 v1, 31, v0
	v_lshlrev_b64 v[0:1], 3, v[0:1]
	s_delay_alu instid0(VALU_DEP_1) | instskip(NEXT) | instid1(VALU_DEP_2)
	v_add_co_u32 v0, vcc_lo, s101, v0
	v_add_co_ci_u32_e32 v1, vcc_lo, s102, v1, vcc_lo
	s_clause 0x1
	global_load_b64 v[2:3], v[0:1], off
	global_load_b64 v[0:1], v[0:1], off offset:256
	s_waitcnt vmcnt(1)
	v_cvt_f16_f32_e32 v2, v2
	v_cvt_f16_f32_e32 v3, v3
	s_waitcnt vmcnt(0)
	v_cvt_f16_f32_e32 v0, v0
	v_cvt_f16_f32_e32 v1, v1
	s_delay_alu instid0(VALU_DEP_3)
	v_pack_b32_f16 v2, v2, v3
	scratch_load_b32 v3, off, off offset:80 ; 4-byte Folded Reload
	v_pack_b32_f16 v0, v0, v1
	s_waitcnt vmcnt(0)
	v_pk_mul_f16 v1, v3, v2
	scratch_load_b32 v2, off, off offset:112 ; 4-byte Folded Reload
	v_pk_mul_f16 v0, v3, v0
	s_waitcnt vmcnt(0)
	ds_store_2addr_b32 v2, v1, v0 offset1:32
.LBB24_17:                              ;   in Loop: Header=BB24_10 Depth=1
	s_or_b32 exec_lo, exec_lo, s4
	scratch_load_b32 v0, off, off offset:128 ; 4-byte Folded Reload
	s_waitcnt vmcnt(0)
	v_add_nc_u32_e32 v1, s103, v0
	scratch_load_b32 v0, off, off offset:124 ; 4-byte Folded Reload
	v_cmp_le_i32_e32 vcc_lo, s8, v1
	s_waitcnt vmcnt(0)
	v_or_b32_e32 v0, s86, v0
	s_delay_alu instid0(VALU_DEP_1) | instskip(NEXT) | instid1(VALU_DEP_1)
	v_cmp_le_i32_e64 s4, s33, v0
	s_or_b32 s4, vcc_lo, s4
	s_delay_alu instid0(SALU_CYCLE_1) | instskip(NEXT) | instid1(SALU_CYCLE_1)
	s_and_saveexec_b32 s6, s4
	s_xor_b32 s4, exec_lo, s6
	s_cbranch_execz .LBB24_19
; %bb.18:                               ;   in Loop: Header=BB24_10 Depth=1
	scratch_load_b32 v0, off, off offset:72 ; 4-byte Folded Reload
                                        ; implicit-def: $vgpr1
	s_waitcnt vmcnt(0)
	ds_store_2addr_b32 v0, v231, v231 offset1:32
.LBB24_19:                              ;   in Loop: Header=BB24_10 Depth=1
	s_and_not1_saveexec_b32 s4, s4
	s_cbranch_execz .LBB24_21
; %bb.20:                               ;   in Loop: Header=BB24_10 Depth=1
	v_mul_lo_u32 v0, v1, s51
	s_clause 0x1
	scratch_load_b32 v1, off, off offset:76
	scratch_load_b32 v2, off, off offset:204
	s_waitcnt vmcnt(0)
	v_add3_u32 v0, v0, v2, v1
	s_delay_alu instid0(VALU_DEP_1) | instskip(NEXT) | instid1(VALU_DEP_1)
	v_ashrrev_i32_e32 v1, 31, v0
	v_lshlrev_b64 v[0:1], 3, v[0:1]
	s_delay_alu instid0(VALU_DEP_1) | instskip(NEXT) | instid1(VALU_DEP_2)
	v_add_co_u32 v0, vcc_lo, s101, v0
	v_add_co_ci_u32_e32 v1, vcc_lo, s102, v1, vcc_lo
	s_clause 0x1
	global_load_b64 v[2:3], v[0:1], off
	global_load_b64 v[0:1], v[0:1], off offset:256
	s_waitcnt vmcnt(1)
	v_cvt_f16_f32_e32 v2, v2
	v_cvt_f16_f32_e32 v3, v3
	s_waitcnt vmcnt(0)
	v_cvt_f16_f32_e32 v0, v0
	v_cvt_f16_f32_e32 v1, v1
	s_delay_alu instid0(VALU_DEP_3)
	v_pack_b32_f16 v2, v2, v3
	scratch_load_b32 v3, off, off offset:80 ; 4-byte Folded Reload
	v_pack_b32_f16 v0, v0, v1
	s_waitcnt vmcnt(0)
	v_pk_mul_f16 v1, v3, v2
	scratch_load_b32 v2, off, off offset:72 ; 4-byte Folded Reload
	v_pk_mul_f16 v0, v3, v0
	s_waitcnt vmcnt(0)
	ds_store_2addr_b32 v2, v1, v0 offset1:32
.LBB24_21:                              ;   in Loop: Header=BB24_10 Depth=1
	s_or_b32 exec_lo, exec_lo, s4
	scratch_load_b32 v0, off, off offset:140 ; 4-byte Folded Reload
	s_waitcnt vmcnt(0)
	v_add_nc_u32_e32 v1, s103, v0
	scratch_load_b32 v0, off, off offset:132 ; 4-byte Folded Reload
	v_cmp_le_i32_e32 vcc_lo, s8, v1
	s_waitcnt vmcnt(0)
	v_or_b32_e32 v0, s86, v0
	s_delay_alu instid0(VALU_DEP_1) | instskip(NEXT) | instid1(VALU_DEP_1)
	v_cmp_le_i32_e64 s4, s33, v0
	s_or_b32 s4, vcc_lo, s4
	s_delay_alu instid0(SALU_CYCLE_1) | instskip(NEXT) | instid1(SALU_CYCLE_1)
	s_and_saveexec_b32 s6, s4
	s_xor_b32 s4, exec_lo, s6
	s_cbranch_execz .LBB24_23
; %bb.22:                               ;   in Loop: Header=BB24_10 Depth=1
	scratch_load_b32 v0, off, off offset:72 ; 4-byte Folded Reload
                                        ; implicit-def: $vgpr1
	s_waitcnt vmcnt(0)
	ds_store_2addr_b32 v0, v231, v231 offset0:136 offset1:168
.LBB24_23:                              ;   in Loop: Header=BB24_10 Depth=1
	s_and_not1_saveexec_b32 s4, s4
	s_cbranch_execz .LBB24_25
; %bb.24:                               ;   in Loop: Header=BB24_10 Depth=1
	v_mul_lo_u32 v0, v1, s51
	s_clause 0x1
	scratch_load_b32 v1, off, off offset:76
	scratch_load_b32 v2, off, off offset:208
	s_waitcnt vmcnt(0)
	v_add3_u32 v0, v0, v2, v1
	s_delay_alu instid0(VALU_DEP_1) | instskip(NEXT) | instid1(VALU_DEP_1)
	v_ashrrev_i32_e32 v1, 31, v0
	v_lshlrev_b64 v[0:1], 3, v[0:1]
	s_delay_alu instid0(VALU_DEP_1) | instskip(NEXT) | instid1(VALU_DEP_2)
	v_add_co_u32 v0, vcc_lo, s101, v0
	v_add_co_ci_u32_e32 v1, vcc_lo, s102, v1, vcc_lo
	s_clause 0x1
	global_load_b64 v[2:3], v[0:1], off
	global_load_b64 v[0:1], v[0:1], off offset:256
	s_waitcnt vmcnt(1)
	v_cvt_f16_f32_e32 v2, v2
	v_cvt_f16_f32_e32 v3, v3
	s_waitcnt vmcnt(0)
	v_cvt_f16_f32_e32 v0, v0
	v_cvt_f16_f32_e32 v1, v1
	s_delay_alu instid0(VALU_DEP_3)
	v_pack_b32_f16 v2, v2, v3
	scratch_load_b32 v3, off, off offset:80 ; 4-byte Folded Reload
	v_pack_b32_f16 v0, v0, v1
	s_waitcnt vmcnt(0)
	v_pk_mul_f16 v1, v3, v2
	scratch_load_b32 v2, off, off offset:72 ; 4-byte Folded Reload
	v_pk_mul_f16 v0, v3, v0
	s_waitcnt vmcnt(0)
	ds_store_2addr_b32 v2, v1, v0 offset0:136 offset1:168
.LBB24_25:                              ;   in Loop: Header=BB24_10 Depth=1
	s_or_b32 exec_lo, exec_lo, s4
	scratch_load_b32 v0, off, off offset:144 ; 4-byte Folded Reload
	s_waitcnt vmcnt(0)
	v_add_nc_u32_e32 v1, s103, v0
	scratch_load_b32 v0, off, off offset:136 ; 4-byte Folded Reload
	v_cmp_le_i32_e32 vcc_lo, s8, v1
	s_waitcnt vmcnt(0)
	v_or_b32_e32 v0, s86, v0
	s_delay_alu instid0(VALU_DEP_1) | instskip(NEXT) | instid1(VALU_DEP_1)
	v_cmp_le_i32_e64 s4, s33, v0
	s_or_b32 s4, vcc_lo, s4
	s_delay_alu instid0(SALU_CYCLE_1) | instskip(NEXT) | instid1(SALU_CYCLE_1)
	s_and_saveexec_b32 s6, s4
	s_xor_b32 s4, exec_lo, s6
	s_cbranch_execz .LBB24_27
; %bb.26:                               ;   in Loop: Header=BB24_10 Depth=1
	scratch_load_b32 v0, off, off offset:72 ; 4-byte Folded Reload
                                        ; implicit-def: $vgpr1
	s_waitcnt vmcnt(0)
	v_add_nc_u32_e32 v0, 0x400, v0
	ds_store_2addr_b32 v0, v231, v231 offset0:16 offset1:48
.LBB24_27:                              ;   in Loop: Header=BB24_10 Depth=1
	s_and_not1_saveexec_b32 s4, s4
	s_cbranch_execz .LBB24_29
; %bb.28:                               ;   in Loop: Header=BB24_10 Depth=1
	v_mul_lo_u32 v0, v1, s51
	s_clause 0x1
	scratch_load_b32 v1, off, off offset:76
	scratch_load_b32 v2, off, off offset:212
	s_waitcnt vmcnt(0)
	v_add3_u32 v0, v0, v2, v1
	s_delay_alu instid0(VALU_DEP_1) | instskip(NEXT) | instid1(VALU_DEP_1)
	v_ashrrev_i32_e32 v1, 31, v0
	v_lshlrev_b64 v[0:1], 3, v[0:1]
	s_delay_alu instid0(VALU_DEP_1) | instskip(NEXT) | instid1(VALU_DEP_2)
	v_add_co_u32 v0, vcc_lo, s101, v0
	v_add_co_ci_u32_e32 v1, vcc_lo, s102, v1, vcc_lo
	s_clause 0x1
	global_load_b64 v[2:3], v[0:1], off
	global_load_b64 v[0:1], v[0:1], off offset:256
	s_waitcnt vmcnt(1)
	v_cvt_f16_f32_e32 v2, v2
	v_cvt_f16_f32_e32 v3, v3
	s_waitcnt vmcnt(0)
	v_cvt_f16_f32_e32 v0, v0
	v_cvt_f16_f32_e32 v1, v1
	s_delay_alu instid0(VALU_DEP_3)
	v_pack_b32_f16 v2, v2, v3
	scratch_load_b32 v3, off, off offset:80 ; 4-byte Folded Reload
	v_pack_b32_f16 v0, v0, v1
	s_waitcnt vmcnt(0)
	v_pk_mul_f16 v1, v3, v2
	scratch_load_b32 v2, off, off offset:72 ; 4-byte Folded Reload
	v_pk_mul_f16 v0, v3, v0
	s_waitcnt vmcnt(0)
	v_add_nc_u32_e32 v2, 0x400, v2
	ds_store_2addr_b32 v2, v1, v0 offset0:16 offset1:48
.LBB24_29:                              ;   in Loop: Header=BB24_10 Depth=1
	s_or_b32 exec_lo, exec_lo, s4
	scratch_load_b32 v0, off, off offset:152 ; 4-byte Folded Reload
	s_waitcnt vmcnt(0)
	v_add_nc_u32_e32 v1, s103, v0
	s_delay_alu instid0(VALU_DEP_1) | instskip(SKIP_1) | instid1(SALU_CYCLE_1)
	v_cmp_le_i32_e32 vcc_lo, s8, v1
	s_or_b32 s4, vcc_lo, s5
	s_and_saveexec_b32 s5, s4
	s_delay_alu instid0(SALU_CYCLE_1)
	s_xor_b32 s4, exec_lo, s5
	s_cbranch_execz .LBB24_31
; %bb.30:                               ;   in Loop: Header=BB24_10 Depth=1
	scratch_load_b32 v0, off, off offset:72 ; 4-byte Folded Reload
                                        ; implicit-def: $vgpr1
	s_waitcnt vmcnt(0)
	v_add_nc_u32_e32 v0, 0x400, v0
	ds_store_2addr_b32 v0, v231, v231 offset0:152 offset1:184
.LBB24_31:                              ;   in Loop: Header=BB24_10 Depth=1
	s_and_not1_saveexec_b32 s4, s4
	s_cbranch_execz .LBB24_33
; %bb.32:                               ;   in Loop: Header=BB24_10 Depth=1
	v_mul_lo_u32 v0, v1, s51
	s_clause 0x1
	scratch_load_b32 v1, off, off offset:76
	scratch_load_b32 v2, off, off offset:120
	s_waitcnt vmcnt(0)
	v_add3_u32 v0, v0, v2, v1
	s_delay_alu instid0(VALU_DEP_1) | instskip(NEXT) | instid1(VALU_DEP_1)
	v_ashrrev_i32_e32 v1, 31, v0
	v_lshlrev_b64 v[0:1], 3, v[0:1]
	s_delay_alu instid0(VALU_DEP_1) | instskip(NEXT) | instid1(VALU_DEP_2)
	v_add_co_u32 v0, vcc_lo, s101, v0
	v_add_co_ci_u32_e32 v1, vcc_lo, s102, v1, vcc_lo
	s_clause 0x1
	global_load_b64 v[2:3], v[0:1], off
	global_load_b64 v[0:1], v[0:1], off offset:256
	s_waitcnt vmcnt(1)
	v_cvt_f16_f32_e32 v2, v2
	v_cvt_f16_f32_e32 v3, v3
	s_waitcnt vmcnt(0)
	v_cvt_f16_f32_e32 v0, v0
	v_cvt_f16_f32_e32 v1, v1
	s_delay_alu instid0(VALU_DEP_3)
	v_pack_b32_f16 v2, v2, v3
	scratch_load_b32 v3, off, off offset:80 ; 4-byte Folded Reload
	v_pack_b32_f16 v0, v0, v1
	s_waitcnt vmcnt(0)
	v_pk_mul_f16 v1, v3, v2
	scratch_load_b32 v2, off, off offset:72 ; 4-byte Folded Reload
	v_pk_mul_f16 v0, v3, v0
	s_waitcnt vmcnt(0)
	v_add_nc_u32_e32 v2, 0x400, v2
	ds_store_2addr_b32 v2, v1, v0 offset0:152 offset1:184
.LBB24_33:                              ;   in Loop: Header=BB24_10 Depth=1
	s_or_b32 exec_lo, exec_lo, s4
	scratch_load_b32 v0, off, off offset:160 ; 4-byte Folded Reload
	s_waitcnt vmcnt(0)
	v_add_nc_u32_e32 v1, s103, v0
	scratch_load_b32 v0, off, off offset:148 ; 4-byte Folded Reload
	v_cmp_le_i32_e32 vcc_lo, s8, v1
	s_waitcnt vmcnt(0)
	v_or_b32_e32 v0, s86, v0
	s_delay_alu instid0(VALU_DEP_1) | instskip(NEXT) | instid1(VALU_DEP_1)
	v_cmp_le_i32_e64 s4, s33, v0
	s_or_b32 s4, vcc_lo, s4
	s_delay_alu instid0(SALU_CYCLE_1) | instskip(NEXT) | instid1(SALU_CYCLE_1)
	s_and_saveexec_b32 s5, s4
	s_xor_b32 s4, exec_lo, s5
	s_cbranch_execz .LBB24_35
; %bb.34:                               ;   in Loop: Header=BB24_10 Depth=1
	scratch_load_b32 v0, off, off offset:72 ; 4-byte Folded Reload
                                        ; implicit-def: $vgpr1
	s_waitcnt vmcnt(0)
	v_add_nc_u32_e32 v0, 0x800, v0
	ds_store_2addr_b32 v0, v231, v231 offset0:32 offset1:64
.LBB24_35:                              ;   in Loop: Header=BB24_10 Depth=1
	s_and_not1_saveexec_b32 s4, s4
	s_cbranch_execz .LBB24_37
; %bb.36:                               ;   in Loop: Header=BB24_10 Depth=1
	v_mul_lo_u32 v0, v1, s51
	s_clause 0x1
	scratch_load_b32 v1, off, off offset:76
	scratch_load_b32 v2, off, off offset:216
	s_waitcnt vmcnt(0)
	v_add3_u32 v0, v0, v2, v1
	s_delay_alu instid0(VALU_DEP_1) | instskip(NEXT) | instid1(VALU_DEP_1)
	v_ashrrev_i32_e32 v1, 31, v0
	v_lshlrev_b64 v[0:1], 3, v[0:1]
	s_delay_alu instid0(VALU_DEP_1) | instskip(NEXT) | instid1(VALU_DEP_2)
	v_add_co_u32 v0, vcc_lo, s101, v0
	v_add_co_ci_u32_e32 v1, vcc_lo, s102, v1, vcc_lo
	s_clause 0x1
	global_load_b64 v[2:3], v[0:1], off
	global_load_b64 v[0:1], v[0:1], off offset:256
	s_waitcnt vmcnt(1)
	v_cvt_f16_f32_e32 v2, v2
	v_cvt_f16_f32_e32 v3, v3
	s_waitcnt vmcnt(0)
	v_cvt_f16_f32_e32 v0, v0
	v_cvt_f16_f32_e32 v1, v1
	s_delay_alu instid0(VALU_DEP_3)
	v_pack_b32_f16 v2, v2, v3
	scratch_load_b32 v3, off, off offset:80 ; 4-byte Folded Reload
	v_pack_b32_f16 v0, v0, v1
	s_waitcnt vmcnt(0)
	v_pk_mul_f16 v1, v3, v2
	scratch_load_b32 v2, off, off offset:72 ; 4-byte Folded Reload
	v_pk_mul_f16 v0, v3, v0
	s_waitcnt vmcnt(0)
	v_add_nc_u32_e32 v2, 0x800, v2
	ds_store_2addr_b32 v2, v1, v0 offset0:32 offset1:64
.LBB24_37:                              ;   in Loop: Header=BB24_10 Depth=1
	s_or_b32 exec_lo, exec_lo, s4
	scratch_load_b32 v0, off, off offset:168 ; 4-byte Folded Reload
	s_waitcnt vmcnt(0)
	v_add_nc_u32_e32 v1, s103, v0
	scratch_load_b32 v0, off, off offset:156 ; 4-byte Folded Reload
	v_cmp_le_i32_e32 vcc_lo, s8, v1
	s_waitcnt vmcnt(0)
	v_or_b32_e32 v0, s86, v0
	s_delay_alu instid0(VALU_DEP_1) | instskip(NEXT) | instid1(VALU_DEP_1)
	v_cmp_le_i32_e64 s4, s33, v0
	s_or_b32 s4, vcc_lo, s4
	s_delay_alu instid0(SALU_CYCLE_1) | instskip(NEXT) | instid1(SALU_CYCLE_1)
	s_and_saveexec_b32 s5, s4
	;; [unrolled: 58-line block ×3, first 2 shown]
	s_xor_b32 s4, exec_lo, s5
	s_cbranch_execz .LBB24_43
; %bb.42:                               ;   in Loop: Header=BB24_10 Depth=1
	scratch_load_b32 v0, off, off offset:72 ; 4-byte Folded Reload
                                        ; implicit-def: $vgpr1
	s_waitcnt vmcnt(0)
	v_add_nc_u32_e32 v0, 0xc00, v0
	ds_store_2addr_b32 v0, v231, v231 offset0:48 offset1:80
.LBB24_43:                              ;   in Loop: Header=BB24_10 Depth=1
	s_and_not1_saveexec_b32 s4, s4
	s_cbranch_execz .LBB24_45
; %bb.44:                               ;   in Loop: Header=BB24_10 Depth=1
	v_mul_lo_u32 v0, v1, s51
	s_clause 0x1
	scratch_load_b32 v1, off, off offset:76
	scratch_load_b32 v2, off, off offset:224
	s_waitcnt vmcnt(0)
	v_add3_u32 v0, v0, v2, v1
	s_delay_alu instid0(VALU_DEP_1) | instskip(NEXT) | instid1(VALU_DEP_1)
	v_ashrrev_i32_e32 v1, 31, v0
	v_lshlrev_b64 v[0:1], 3, v[0:1]
	s_delay_alu instid0(VALU_DEP_1) | instskip(NEXT) | instid1(VALU_DEP_2)
	v_add_co_u32 v0, vcc_lo, s101, v0
	v_add_co_ci_u32_e32 v1, vcc_lo, s102, v1, vcc_lo
	s_clause 0x1
	global_load_b64 v[2:3], v[0:1], off
	global_load_b64 v[0:1], v[0:1], off offset:256
	s_waitcnt vmcnt(1)
	v_cvt_f16_f32_e32 v2, v2
	v_cvt_f16_f32_e32 v3, v3
	s_waitcnt vmcnt(0)
	v_cvt_f16_f32_e32 v0, v0
	v_cvt_f16_f32_e32 v1, v1
	s_delay_alu instid0(VALU_DEP_3)
	v_pack_b32_f16 v2, v2, v3
	scratch_load_b32 v3, off, off offset:80 ; 4-byte Folded Reload
	v_pack_b32_f16 v0, v0, v1
	s_waitcnt vmcnt(0)
	v_pk_mul_f16 v1, v3, v2
	scratch_load_b32 v2, off, off offset:72 ; 4-byte Folded Reload
	v_pk_mul_f16 v0, v3, v0
	s_waitcnt vmcnt(0)
	v_add_nc_u32_e32 v2, 0xc00, v2
	ds_store_2addr_b32 v2, v1, v0 offset0:48 offset1:80
.LBB24_45:                              ;   in Loop: Header=BB24_10 Depth=1
	s_or_b32 exec_lo, exec_lo, s4
	s_clause 0x1
	scratch_load_b32 v0, off, off offset:100
	scratch_load_b32 v1, off, off offset:116
	s_waitcnt vmcnt(0) lgkmcnt(0)
	s_waitcnt_vscnt null, 0x0
	s_barrier
	buffer_gl0_inv
	s_add_i32 s104, s92, -1
	v_mov_b32_e32 v39, 0
	s_cmp_le_i32 s104, s97
	v_add_nc_u32_e32 v0, v0, v1
	ds_load_b128 v[48:51], v0
	ds_load_b128 v[52:55], v0 offset:16
	ds_load_b128 v[40:43], v0 offset:32
	;; [unrolled: 1-line block ×15, first 2 shown]
	s_waitcnt lgkmcnt(0)
	s_barrier
	buffer_gl0_inv
	s_cbranch_scc1 .LBB24_51
; %bb.46:                               ;   in Loop: Header=BB24_10 Depth=1
	s_clause 0x1
	scratch_load_b32 v0, off, off offset:96
	scratch_load_b32 v3, off, off offset:188
	v_mbcnt_lo_u32_b32 v5, -1, 0
	s_lshl_b32 s66, s97, 5
	v_mov_b32_e32 v153, 0xfeffffff
	s_delay_alu instid0(VALU_DEP_2) | instskip(NEXT) | instid1(VALU_DEP_1)
	v_xor_b32_e32 v2, 16, v5
	v_cmp_gt_i32_e32 vcc_lo, 32, v2
	v_cndmask_b32_e32 v2, v5, v2, vcc_lo
	s_delay_alu instid0(VALU_DEP_1) | instskip(SKIP_2) | instid1(VALU_DEP_1)
	v_lshlrev_b32_e32 v113, 2, v2
	s_waitcnt vmcnt(1)
	v_add_nc_u32_e32 v0, s89, v0
	v_lshl_add_u32 v0, v0, 1, v179
	s_delay_alu instid0(VALU_DEP_1) | instskip(NEXT) | instid1(VALU_DEP_1)
	v_mul_hi_u32 v1, s12, v0
	v_add_nc_u32_e32 v1, v0, v1
	s_delay_alu instid0(VALU_DEP_1) | instskip(NEXT) | instid1(VALU_DEP_1)
	v_lshrrev_b32_e32 v1, s13, v1
	v_mul_lo_u32 v1, v1, s8
	s_delay_alu instid0(VALU_DEP_1) | instskip(NEXT) | instid1(VALU_DEP_1)
	v_sub_nc_u32_e32 v4, v0, v1
	v_mad_i64_i32 v[0:1], null, v4, s40, 0
	scratch_load_b32 v4, off, off offset:84 ; 4-byte Folded Reload
	s_waitcnt vmcnt(1)
	v_dual_mov_b32 v8, 0 :: v_dual_lshlrev_b32 v3, 1, v3
	s_delay_alu instid0(VALU_DEP_1)
	v_dual_mov_b32 v112, 0 :: v_dual_mov_b32 v9, v8
	v_lshlrev_b64 v[0:1], 1, v[0:1]
	v_mov_b32_e32 v11, v8
	v_mov_b32_e32 v10, v8
	;; [unrolled: 1-line block ×30, first 2 shown]
	s_waitcnt vmcnt(0)
	v_add_co_u32 v0, vcc_lo, v4, v0
	scratch_load_b32 v4, off, off offset:88 ; 4-byte Folded Reload
	s_waitcnt vmcnt(0)
	v_add_co_ci_u32_e32 v1, vcc_lo, v4, v1, vcc_lo
	v_add_co_u32 v146, vcc_lo, v0, v3
	s_delay_alu instid0(VALU_DEP_2)
	v_add_co_ci_u32_e32 v147, vcc_lo, 0, v1, vcc_lo
	s_ashr_i32 s67, s66, 31
	s_and_saveexec_b32 s4, s0
	s_cbranch_execz .LBB24_48
.LBB24_47:                              ;   in Loop: Header=BB24_10 Depth=1
	s_lshl_b64 s[6:7], s[66:67], 1
	s_delay_alu instid0(SALU_CYCLE_1)
	v_add_co_u32 v0, vcc_lo, v146, s6
	v_add_co_ci_u32_e32 v1, vcc_lo, s7, v147, vcc_lo
	global_load_b32 v0, v[0:1], off
	scratch_load_b32 v1, off, off offset:68 ; 4-byte Folded Reload
	s_waitcnt vmcnt(0)
	ds_store_b32 v1, v0 offset:8704
.LBB24_48:                              ;   Parent Loop BB24_10 Depth=1
                                        ; =>  This Inner Loop Header: Depth=2
	s_or_b32 exec_lo, exec_lo, s4
	scratch_load_b32 v0, off, off           ; 4-byte Folded Reload
	s_mul_hi_i32 s5, s66, s34
	s_mul_i32 s4, s66, s34
	v_mov_b32_e32 v232, v231
	s_lshl_b64 s[4:5], s[4:5], 2
	v_mov_b32_e32 v234, v231
	s_add_u32 s4, s90, s4
	s_addc_u32 s5, s91, s5
	v_mov_b32_e32 v235, v231
	v_mov_b32_e32 v236, v231
	;; [unrolled: 1-line block ×4, first 2 shown]
	v_add_nc_u32_e32 v128, 0x400, v244
	v_add_nc_u32_e32 v155, 0xc00, v244
	v_mov_b32_e32 v233, v231
	v_dual_mov_b32 v198, v231 :: v_dual_mov_b32 v199, v232
	v_dual_mov_b32 v202, v235 :: v_dual_mov_b32 v203, v236
	;; [unrolled: 1-line block ×3, first 2 shown]
	s_delay_alu instid0(VALU_DEP_4)
	v_dual_mov_b32 v200, v233 :: v_dual_mov_b32 v201, v234
	v_add_nc_u32_e32 v129, 0x800, v244
	s_waitcnt vmcnt(0)
	v_lshlrev_b32_e32 v104, 2, v0
	v_add_co_u32 v0, vcc_lo, s4, v130
	v_add_co_ci_u32_e32 v2, vcc_lo, s5, v131, vcc_lo
	s_delay_alu instid0(VALU_DEP_2) | instskip(NEXT) | instid1(VALU_DEP_2)
	v_add_co_u32 v1, vcc_lo, v0, v104
	v_add_co_ci_u32_e32 v2, vcc_lo, 0, v2, vcc_lo
	v_add_co_u32 v0, vcc_lo, s4, v132
	v_add_co_ci_u32_e32 v3, vcc_lo, s5, v133, vcc_lo
	s_delay_alu instid0(VALU_DEP_2) | instskip(NEXT) | instid1(VALU_DEP_2)
	v_add_co_u32 v4, vcc_lo, v0, v104
	v_add_co_ci_u32_e32 v5, vcc_lo, 0, v3, vcc_lo
	s_clause 0x1
	global_load_b128 v[0:3], v[1:2], off
	global_load_b128 v[4:7], v[4:5], off
	s_waitcnt vmcnt(1)
	ds_store_b128 v185, v[0:3]
	s_waitcnt vmcnt(0)
	ds_store_b128 v246, v[4:7]
	v_add_co_u32 v0, vcc_lo, s4, v134
	v_add_co_ci_u32_e32 v1, vcc_lo, s5, v135, vcc_lo
	s_delay_alu instid0(VALU_DEP_2) | instskip(NEXT) | instid1(VALU_DEP_2)
	v_add_co_u32 v0, vcc_lo, v0, v104
	v_add_co_ci_u32_e32 v1, vcc_lo, 0, v1, vcc_lo
	v_add_co_u32 v2, vcc_lo, s4, v136
	v_add_co_ci_u32_e32 v3, vcc_lo, s5, v137, vcc_lo
	s_delay_alu instid0(VALU_DEP_2) | instskip(NEXT) | instid1(VALU_DEP_2)
	v_add_co_u32 v4, vcc_lo, v2, v104
	v_add_co_ci_u32_e32 v5, vcc_lo, 0, v3, vcc_lo
	s_clause 0x1
	global_load_b128 v[0:3], v[0:1], off
	global_load_b128 v[4:7], v[4:5], off
	s_waitcnt vmcnt(1)
	ds_store_b128 v247, v[0:3]
	s_waitcnt vmcnt(0)
	ds_store_b128 v248, v[4:7]
	;; [unrolled: 17-line block ×3, first 2 shown]
	v_add_co_u32 v0, vcc_lo, s4, v142
	v_add_co_ci_u32_e32 v1, vcc_lo, s5, v143, vcc_lo
	s_delay_alu instid0(VALU_DEP_2) | instskip(NEXT) | instid1(VALU_DEP_2)
	v_add_co_u32 v0, vcc_lo, v0, v104
	v_add_co_ci_u32_e32 v1, vcc_lo, 0, v1, vcc_lo
	v_add_co_u32 v2, vcc_lo, s4, v144
	v_add_co_ci_u32_e32 v3, vcc_lo, s5, v145, vcc_lo
	s_mul_hi_i32 s5, s66, s10
	s_delay_alu instid0(VALU_DEP_2) | instskip(NEXT) | instid1(VALU_DEP_2)
	v_add_co_u32 v4, vcc_lo, v2, v104
	v_add_co_ci_u32_e32 v5, vcc_lo, 0, v3, vcc_lo
	s_clause 0x1
	global_load_b128 v[0:3], v[0:1], off
	global_load_b128 v[4:7], v[4:5], off
	s_waitcnt vmcnt(1)
	ds_store_b128 v251, v[0:3]
	s_waitcnt vmcnt(0)
	ds_store_b128 v252, v[4:7]
	s_waitcnt lgkmcnt(0)
	s_barrier
	buffer_gl0_inv
	ds_load_b128 v[0:3], v183
	ds_load_b128 v[4:7], v183 offset:16
	s_mul_i32 s4, s66, s10
	s_delay_alu instid0(SALU_CYCLE_1) | instskip(NEXT) | instid1(SALU_CYCLE_1)
	s_lshl_b64 s[6:7], s[4:5], 2
	s_add_u32 s5, s87, s6
	s_addc_u32 s4, s88, s7
	v_cmp_eq_u32_e64 s6, 1, v179
	s_add_i32 s97, s97, 1
	s_add_i32 s66, s66, 32
	s_cmp_lt_i32 s97, s104
	s_waitcnt lgkmcnt(0)
	v_wmma_f32_16x16x16_f16 v[198:205], v[0:7], v[48:55], v[198:205]
	ds_load_b128 v[0:3], v183 offset:32
	ds_load_b128 v[4:7], v183 offset:48
	s_waitcnt lgkmcnt(0)
	v_wmma_f32_16x16x16_f16 v[198:205], v[0:7], v[40:47], v[198:205]
	ds_load_b128 v[0:3], v183 offset:64
	ds_load_b128 v[4:7], v183 offset:80
	;; [unrolled: 4-line block ×7, first 2 shown]
	s_waitcnt lgkmcnt(0)
	s_barrier
	buffer_gl0_inv
	v_wmma_f32_16x16x16_f16 v[198:205], v[0:7], v[96:103], v[198:205]
	ds_load_u16 v0, v186 offset:8704
	ds_load_u16 v1, v186 offset:8708
	;; [unrolled: 1-line block ×8, first 2 shown]
	s_waitcnt lgkmcnt(7)
	v_cvt_f32_f16_e32 v0, v0
	s_waitcnt lgkmcnt(6)
	v_cvt_f32_f16_e32 v1, v1
	;; [unrolled: 2-line block ×7, first 2 shown]
	v_dual_add_f32 v115, v200, v2 :: v_dual_add_f32 v116, v201, v3
	scratch_load_b64 v[2:3], off, off offset:4 ; 8-byte Folded Reload
	s_waitcnt lgkmcnt(0)
	v_cvt_f32_f16_e32 v105, v7
	v_dual_add_f32 v114, v199, v1 :: v_dual_add_f32 v7, v202, v4
	v_dual_add_f32 v5, v203, v5 :: v_dual_add_f32 v4, v204, v6
	s_delay_alu instid0(VALU_DEP_3)
	v_add_f32_e32 v1, v205, v105
	scratch_load_b64 v[105:106], off, off offset:12 ; 8-byte Folded Reload
	v_add_f32_e32 v0, v198, v0
	s_waitcnt vmcnt(1)
	v_add_co_u32 v2, vcc_lo, s5, v2
	v_add_co_ci_u32_e32 v3, vcc_lo, s4, v3, vcc_lo
	s_delay_alu instid0(VALU_DEP_2) | instskip(NEXT) | instid1(VALU_DEP_2)
	v_add_co_u32 v2, vcc_lo, v2, v104
	v_add_co_ci_u32_e32 v3, vcc_lo, 0, v3, vcc_lo
	s_waitcnt vmcnt(0)
	v_add_co_u32 v6, vcc_lo, s5, v105
	v_add_co_ci_u32_e32 v105, vcc_lo, s4, v106, vcc_lo
	s_delay_alu instid0(VALU_DEP_2) | instskip(NEXT) | instid1(VALU_DEP_2)
	v_add_co_u32 v109, vcc_lo, v6, v104
	v_add_co_ci_u32_e32 v110, vcc_lo, 0, v105, vcc_lo
	s_clause 0x1
	global_load_b128 v[105:108], v[2:3], off
	global_load_b128 v[170:173], v[109:110], off
	s_waitcnt vmcnt(1)
	ds_store_b128 v185, v[105:108]
	s_waitcnt vmcnt(0)
	ds_store_b128 v246, v[170:173]
	s_clause 0x1
	scratch_load_b64 v[2:3], off, off offset:20
	scratch_load_b64 v[105:106], off, off offset:28
	s_waitcnt vmcnt(1)
	v_add_co_u32 v2, vcc_lo, s5, v2
	v_add_co_ci_u32_e32 v3, vcc_lo, s4, v3, vcc_lo
	s_delay_alu instid0(VALU_DEP_2) | instskip(NEXT) | instid1(VALU_DEP_2)
	v_add_co_u32 v2, vcc_lo, v2, v104
	v_add_co_ci_u32_e32 v3, vcc_lo, 0, v3, vcc_lo
	s_waitcnt vmcnt(0)
	v_add_co_u32 v6, vcc_lo, s5, v105
	v_add_co_ci_u32_e32 v105, vcc_lo, s4, v106, vcc_lo
	s_delay_alu instid0(VALU_DEP_2) | instskip(NEXT) | instid1(VALU_DEP_2)
	v_add_co_u32 v109, vcc_lo, v6, v104
	v_add_co_ci_u32_e32 v110, vcc_lo, 0, v105, vcc_lo
	s_clause 0x1
	global_load_b128 v[105:108], v[2:3], off
	global_load_b128 v[170:173], v[109:110], off
	s_waitcnt vmcnt(1)
	ds_store_b128 v247, v[105:108]
	s_waitcnt vmcnt(0)
	ds_store_b128 v248, v[170:173]
	s_clause 0x1
	scratch_load_b64 v[2:3], off, off offset:36
	scratch_load_b64 v[105:106], off, off offset:44
	;; [unrolled: 22-line block ×3, first 2 shown]
	s_waitcnt vmcnt(1)
	v_add_co_u32 v2, vcc_lo, s5, v2
	v_add_co_ci_u32_e32 v3, vcc_lo, s4, v3, vcc_lo
	s_delay_alu instid0(VALU_DEP_2) | instskip(NEXT) | instid1(VALU_DEP_2)
	v_add_co_u32 v2, vcc_lo, v2, v104
	v_add_co_ci_u32_e32 v3, vcc_lo, 0, v3, vcc_lo
	s_waitcnt vmcnt(0)
	v_add_co_u32 v6, vcc_lo, s5, v105
	v_add_co_ci_u32_e32 v105, vcc_lo, s4, v106, vcc_lo
	v_cmp_eq_u32_e64 s5, 0, v179
	s_delay_alu instid0(VALU_DEP_3) | instskip(NEXT) | instid1(VALU_DEP_3)
	v_add_co_u32 v108, vcc_lo, v6, v104
	v_add_co_ci_u32_e32 v109, vcc_lo, 0, v105, vcc_lo
	s_clause 0x1
	global_load_b128 v[104:107], v[2:3], off
	global_load_b128 v[108:111], v[108:109], off
	v_dual_add_f32 v2, 0x40051340, v0 :: v_dual_add_f32 v3, 0x40051340, v114
	v_add_f32_e32 v6, 0x40051340, v116
	s_waitcnt vmcnt(1)
	ds_store_b128 v251, v[104:107]
	s_waitcnt vmcnt(0)
	ds_store_b128 v252, v[108:111]
	v_max3_f32 v2, v153, v2, v3
	v_add_f32_e32 v3, 0x40051340, v115
	s_waitcnt lgkmcnt(0)
	s_barrier
	buffer_gl0_inv
	v_max3_f32 v2, v2, v3, v6
	v_dual_add_f32 v3, 0x40051340, v7 :: v_dual_add_f32 v6, 0x40051340, v5
	s_delay_alu instid0(VALU_DEP_1) | instskip(SKIP_1) | instid1(VALU_DEP_1)
	v_max3_f32 v2, v2, v3, v6
	v_dual_add_f32 v3, 0x40051340, v4 :: v_dual_add_f32 v6, 0x40051340, v1
	v_max3_f32 v2, v2, v3, v6
	ds_bpermute_b32 v3, v113, v2
	s_waitcnt lgkmcnt(0)
	v_max_f32_e32 v3, v3, v3
	s_delay_alu instid0(VALU_DEP_1) | instskip(NEXT) | instid1(VALU_DEP_1)
	v_max_f32_e32 v152, v2, v3
	v_sub_f32_e32 v2, v114, v152
	s_delay_alu instid0(VALU_DEP_1) | instskip(SKIP_3) | instid1(VALU_DEP_4)
	v_dual_mul_f32 v3, 0x3fb8aa3b, v2 :: v_dual_sub_f32 v0, v0, v152
	v_sub_f32_e32 v7, v7, v152
	v_sub_f32_e32 v5, v5, v152
	;; [unrolled: 1-line block ×3, first 2 shown]
	v_fma_f32 v6, 0x3fb8aa3b, v2, -v3
	v_rndne_f32_e32 v104, v3
	v_sub_f32_e32 v4, v4, v152
	s_delay_alu instid0(VALU_DEP_2) | instskip(SKIP_1) | instid1(VALU_DEP_2)
	v_dual_fmac_f32 v6, 0x32a5705f, v2 :: v_dual_sub_f32 v3, v3, v104
	v_cvt_i32_f32_e32 v104, v104
	v_add_f32_e32 v3, v3, v6
	v_cmp_ngt_f32_e32 vcc_lo, 0xc2ce8ed0, v2
	s_delay_alu instid0(VALU_DEP_2) | instskip(SKIP_2) | instid1(VALU_DEP_1)
	v_exp_f32_e32 v3, v3
	s_waitcnt_depctr 0xfff
	v_ldexp_f32 v3, v3, v104
	v_cndmask_b32_e32 v3, 0, v3, vcc_lo
	v_cmp_nlt_f32_e32 vcc_lo, 0x42b17218, v2
	v_cmp_ngt_f32_e64 s4, 0xc2ce8ed0, v0
	s_delay_alu instid0(VALU_DEP_3) | instskip(SKIP_2) | instid1(VALU_DEP_1)
	v_cndmask_b32_e32 v3, 0x7f800000, v3, vcc_lo
	v_cmp_eq_u32_e32 vcc_lo, 1, v253
	v_mul_f32_e32 v6, 0x3fb8aa3b, v0
	v_fma_f32 v105, 0x3fb8aa3b, v0, -v6
	v_rndne_f32_e32 v106, v6
	s_delay_alu instid0(VALU_DEP_1) | instskip(SKIP_1) | instid1(VALU_DEP_2)
	v_dual_fmac_f32 v105, 0x32a5705f, v0 :: v_dual_sub_f32 v6, v6, v106
	v_cvt_i32_f32_e32 v104, v106
	v_add_f32_e32 v6, v6, v105
	s_delay_alu instid0(VALU_DEP_1)
	v_exp_f32_e32 v6, v6
	s_waitcnt_depctr 0xfff
	v_ldexp_f32 v6, v6, v104
	ds_bpermute_b32 v104, v113, v3
	v_cndmask_b32_e64 v2, 0, v6, s4
	v_cmp_nlt_f32_e64 s4, 0x42b17218, v0
	s_delay_alu instid0(VALU_DEP_1)
	v_cndmask_b32_e64 v2, 0x7f800000, v2, s4
	v_cmp_eq_u32_e64 s4, 0, v253
	ds_bpermute_b32 v0, v113, v2
	s_waitcnt lgkmcnt(0)
	v_cndmask_b32_e64 v6, v2, v0, s4
	v_cndmask_b32_e32 v0, v2, v0, vcc_lo
	s_delay_alu instid0(VALU_DEP_2) | instskip(SKIP_1) | instid1(VALU_DEP_2)
	v_cndmask_b32_e64 v105, v6, v3, s5
	v_cvt_f16_f32_e32 v6, v6
	v_cndmask_b32_e64 v106, v105, v104, s4
	s_delay_alu instid0(VALU_DEP_4) | instskip(SKIP_1) | instid1(VALU_DEP_2)
	v_cndmask_b32_e64 v105, v0, v3, s6
	v_cvt_f16_f32_e32 v0, v0
	v_cndmask_b32_e32 v107, v105, v104, vcc_lo
	s_delay_alu instid0(VALU_DEP_2) | instskip(SKIP_2) | instid1(VALU_DEP_4)
	v_pack_b32_f16 v104, v6, v0
	v_sub_f32_e32 v0, v115, v152
	v_cvt_f16_f32_e32 v105, v106
	v_cvt_f16_f32_e32 v108, v107
	s_delay_alu instid0(VALU_DEP_3) | instskip(SKIP_1) | instid1(VALU_DEP_3)
	v_mul_f32_e32 v6, 0x3fb8aa3b, v0
	v_cmp_ngt_f32_e64 s7, 0xc2ce8ed0, v0
	v_pack_b32_f16 v105, v105, v108
	s_delay_alu instid0(VALU_DEP_3) | instskip(SKIP_1) | instid1(VALU_DEP_2)
	v_fma_f32 v108, 0x3fb8aa3b, v0, -v6
	v_rndne_f32_e32 v109, v6
	v_fmac_f32_e32 v108, 0x32a5705f, v0
	s_delay_alu instid0(VALU_DEP_2) | instskip(NEXT) | instid1(VALU_DEP_1)
	v_sub_f32_e32 v6, v6, v109
	v_add_f32_e32 v6, v6, v108
	v_cvt_i32_f32_e32 v108, v109
	s_delay_alu instid0(VALU_DEP_2) | instskip(SKIP_2) | instid1(VALU_DEP_1)
	v_exp_f32_e32 v6, v6
	s_waitcnt_depctr 0xfff
	v_ldexp_f32 v6, v6, v108
	v_cndmask_b32_e64 v6, 0, v6, s7
	v_cmp_nlt_f32_e64 s7, 0x42b17218, v0
	s_delay_alu instid0(VALU_DEP_1) | instskip(NEXT) | instid1(VALU_DEP_1)
	v_cndmask_b32_e64 v6, 0x7f800000, v6, s7
	v_cndmask_b32_e64 v0, v106, v6, s5
	;; [unrolled: 1-line block ×3, first 2 shown]
	ds_bpermute_b32 v107, v113, v6
	s_waitcnt lgkmcnt(0)
	v_cndmask_b32_e64 v0, v0, v107, s4
	v_cndmask_b32_e32 v107, v106, v107, vcc_lo
	s_delay_alu instid0(VALU_DEP_2) | instskip(NEXT) | instid1(VALU_DEP_2)
	v_cvt_f16_f32_e32 v106, v0
	v_cvt_f16_f32_e32 v108, v107
	s_delay_alu instid0(VALU_DEP_1) | instskip(SKIP_1) | instid1(VALU_DEP_1)
	v_pack_b32_f16 v106, v106, v108
	v_sub_f32_e32 v108, v116, v152
	v_mul_f32_e32 v109, 0x3fb8aa3b, v108
	v_cmp_ngt_f32_e64 s7, 0xc2ce8ed0, v108
	s_delay_alu instid0(VALU_DEP_2) | instskip(SKIP_1) | instid1(VALU_DEP_1)
	v_fma_f32 v110, 0x3fb8aa3b, v108, -v109
	v_rndne_f32_e32 v111, v109
	v_dual_fmac_f32 v110, 0x32a5705f, v108 :: v_dual_sub_f32 v109, v109, v111
	s_delay_alu instid0(VALU_DEP_1) | instskip(SKIP_1) | instid1(VALU_DEP_2)
	v_add_f32_e32 v109, v109, v110
	v_cvt_i32_f32_e32 v110, v111
	v_exp_f32_e32 v109, v109
	s_waitcnt_depctr 0xfff
	v_ldexp_f32 v109, v109, v110
	s_delay_alu instid0(VALU_DEP_1) | instskip(SKIP_1) | instid1(VALU_DEP_1)
	v_cndmask_b32_e64 v109, 0, v109, s7
	v_cmp_nlt_f32_e64 s7, 0x42b17218, v108
	v_cndmask_b32_e64 v122, 0x7f800000, v109, s7
	v_cmp_ngt_f32_e64 s7, 0xc2ce8ed0, v7
	ds_bpermute_b32 v108, v113, v122
	v_cndmask_b32_e64 v0, v0, v122, s5
	v_cndmask_b32_e64 v107, v107, v122, s6
	s_waitcnt lgkmcnt(0)
	s_delay_alu instid0(VALU_DEP_2) | instskip(NEXT) | instid1(VALU_DEP_2)
	v_cndmask_b32_e64 v0, v0, v108, s4
	v_cndmask_b32_e32 v108, v107, v108, vcc_lo
	s_delay_alu instid0(VALU_DEP_2) | instskip(NEXT) | instid1(VALU_DEP_2)
	v_cvt_f16_f32_e32 v107, v0
	v_cvt_f16_f32_e32 v109, v108
	s_delay_alu instid0(VALU_DEP_1) | instskip(SKIP_1) | instid1(VALU_DEP_1)
	v_pack_b32_f16 v107, v107, v109
	v_mul_f32_e32 v109, 0x3fb8aa3b, v7
	v_fma_f32 v110, 0x3fb8aa3b, v7, -v109
	v_rndne_f32_e32 v111, v109
	s_delay_alu instid0(VALU_DEP_2) | instskip(NEXT) | instid1(VALU_DEP_2)
	v_fmac_f32_e32 v110, 0x32a5705f, v7
	v_sub_f32_e32 v109, v109, v111
	s_delay_alu instid0(VALU_DEP_1) | instskip(SKIP_1) | instid1(VALU_DEP_2)
	v_add_f32_e32 v109, v109, v110
	v_cvt_i32_f32_e32 v110, v111
	v_exp_f32_e32 v109, v109
	s_waitcnt_depctr 0xfff
	v_ldexp_f32 v109, v109, v110
	s_delay_alu instid0(VALU_DEP_1) | instskip(SKIP_1) | instid1(VALU_DEP_1)
	v_cndmask_b32_e64 v109, 0, v109, s7
	v_cmp_nlt_f32_e64 s7, 0x42b17218, v7
	v_cndmask_b32_e64 v7, 0x7f800000, v109, s7
	ds_bpermute_b32 v109, v113, v7
	v_cndmask_b32_e64 v0, v0, v7, s5
	v_cndmask_b32_e64 v108, v108, v7, s6
	s_waitcnt lgkmcnt(0)
	s_delay_alu instid0(VALU_DEP_2) | instskip(NEXT) | instid1(VALU_DEP_2)
	v_cndmask_b32_e64 v0, v0, v109, s4
	v_cndmask_b32_e32 v109, v108, v109, vcc_lo
	s_delay_alu instid0(VALU_DEP_2) | instskip(NEXT) | instid1(VALU_DEP_2)
	v_cvt_f16_f32_e32 v108, v0
	v_cvt_f16_f32_e32 v110, v109
	s_delay_alu instid0(VALU_DEP_1) | instskip(SKIP_1) | instid1(VALU_DEP_1)
	v_pack_b32_f16 v108, v108, v110
	v_mul_f32_e32 v110, 0x3fb8aa3b, v5
	v_fma_f32 v111, 0x3fb8aa3b, v5, -v110
	v_rndne_f32_e32 v114, v110
	s_delay_alu instid0(VALU_DEP_1) | instskip(SKIP_1) | instid1(VALU_DEP_2)
	v_dual_sub_f32 v110, v110, v114 :: v_dual_fmac_f32 v111, 0x32a5705f, v5
	v_cmp_ngt_f32_e64 s7, 0xc2ce8ed0, v5
	v_add_f32_e32 v110, v110, v111
	v_cvt_i32_f32_e32 v111, v114
	s_delay_alu instid0(VALU_DEP_2) | instskip(SKIP_2) | instid1(VALU_DEP_1)
	v_exp_f32_e32 v110, v110
	s_waitcnt_depctr 0xfff
	v_ldexp_f32 v110, v110, v111
	v_cndmask_b32_e64 v110, 0, v110, s7
	v_cmp_nlt_f32_e64 s7, 0x42b17218, v5
	s_delay_alu instid0(VALU_DEP_1) | instskip(SKIP_1) | instid1(VALU_DEP_2)
	v_cndmask_b32_e64 v123, 0x7f800000, v110, s7
	v_cmp_ngt_f32_e64 s7, 0xc2ce8ed0, v4
	v_cndmask_b32_e64 v5, v109, v123, s6
	ds_bpermute_b32 v109, v113, v123
	v_cndmask_b32_e64 v0, v0, v123, s5
	s_waitcnt lgkmcnt(0)
	s_delay_alu instid0(VALU_DEP_1) | instskip(SKIP_1) | instid1(VALU_DEP_2)
	v_cndmask_b32_e64 v0, v0, v109, s4
	v_cndmask_b32_e32 v5, v5, v109, vcc_lo
	v_cvt_f16_f32_e32 v109, v0
	s_delay_alu instid0(VALU_DEP_2) | instskip(NEXT) | instid1(VALU_DEP_1)
	v_cvt_f16_f32_e32 v110, v5
	v_pack_b32_f16 v109, v109, v110
	v_mul_f32_e32 v110, 0x3fb8aa3b, v4
	s_delay_alu instid0(VALU_DEP_1) | instskip(SKIP_1) | instid1(VALU_DEP_1)
	v_fma_f32 v111, 0x3fb8aa3b, v4, -v110
	v_rndne_f32_e32 v114, v110
	v_dual_fmac_f32 v111, 0x32a5705f, v4 :: v_dual_sub_f32 v110, v110, v114
	s_delay_alu instid0(VALU_DEP_1) | instskip(SKIP_1) | instid1(VALU_DEP_2)
	v_add_f32_e32 v110, v110, v111
	v_cvt_i32_f32_e32 v111, v114
	v_exp_f32_e32 v110, v110
	s_waitcnt_depctr 0xfff
	v_ldexp_f32 v110, v110, v111
	s_delay_alu instid0(VALU_DEP_1) | instskip(SKIP_1) | instid1(VALU_DEP_1)
	v_cndmask_b32_e64 v110, 0, v110, s7
	v_cmp_nlt_f32_e64 s7, 0x42b17218, v4
	v_cndmask_b32_e64 v124, 0x7f800000, v110, s7
	v_cmp_ngt_f32_e64 s7, 0xc2ce8ed0, v1
	s_delay_alu instid0(VALU_DEP_2) | instskip(SKIP_3) | instid1(VALU_DEP_1)
	v_cndmask_b32_e64 v4, v5, v124, s6
	ds_bpermute_b32 v5, v113, v124
	v_cndmask_b32_e64 v0, v0, v124, s5
	s_waitcnt lgkmcnt(0)
	v_cndmask_b32_e64 v0, v0, v5, s4
	v_cndmask_b32_e32 v4, v4, v5, vcc_lo
	s_delay_alu instid0(VALU_DEP_2) | instskip(NEXT) | instid1(VALU_DEP_2)
	v_cvt_f16_f32_e32 v5, v0
	v_cvt_f16_f32_e32 v110, v4
	s_delay_alu instid0(VALU_DEP_1) | instskip(SKIP_1) | instid1(VALU_DEP_1)
	v_pack_b32_f16 v110, v5, v110
	v_mul_f32_e32 v5, 0x3fb8aa3b, v1
	v_fma_f32 v111, 0x3fb8aa3b, v1, -v5
	v_rndne_f32_e32 v114, v5
	s_delay_alu instid0(VALU_DEP_2) | instskip(NEXT) | instid1(VALU_DEP_2)
	v_fmac_f32_e32 v111, 0x32a5705f, v1
	v_sub_f32_e32 v5, v5, v114
	s_delay_alu instid0(VALU_DEP_1) | instskip(SKIP_1) | instid1(VALU_DEP_2)
	v_add_f32_e32 v5, v5, v111
	v_cvt_i32_f32_e32 v111, v114
	v_exp_f32_e32 v5, v5
	s_waitcnt_depctr 0xfff
	v_ldexp_f32 v5, v5, v111
	s_delay_alu instid0(VALU_DEP_1) | instskip(SKIP_1) | instid1(VALU_DEP_1)
	v_cndmask_b32_e64 v5, 0, v5, s7
	v_cmp_nlt_f32_e64 s7, 0x42b17218, v1
	v_cndmask_b32_e64 v125, 0x7f800000, v5, s7
	s_delay_alu instid0(VALU_DEP_1) | instskip(SKIP_3) | instid1(VALU_DEP_1)
	v_cndmask_b32_e64 v1, v4, v125, s6
	ds_bpermute_b32 v4, v113, v125
	v_cndmask_b32_e64 v0, v0, v125, s5
	s_waitcnt lgkmcnt(0)
	v_cndmask_b32_e64 v0, v0, v4, s4
	v_cndmask_b32_e32 v1, v1, v4, vcc_lo
	s_delay_alu instid0(VALU_DEP_2) | instskip(NEXT) | instid1(VALU_DEP_2)
	v_cvt_f16_f32_e32 v0, v0
	v_cvt_f16_f32_e32 v1, v1
	s_delay_alu instid0(VALU_DEP_1) | instskip(SKIP_1) | instid1(VALU_DEP_1)
	v_pack_b32_f16 v111, v0, v1
	v_sub_f32_e32 v0, v153, v152
	v_mul_f32_e32 v1, 0x3fb8aa3b, v0
	v_cmp_ngt_f32_e32 vcc_lo, 0xc2ce8ed0, v0
	s_delay_alu instid0(VALU_DEP_2) | instskip(SKIP_1) | instid1(VALU_DEP_1)
	v_fma_f32 v4, 0x3fb8aa3b, v0, -v1
	v_rndne_f32_e32 v5, v1
	v_dual_fmac_f32 v4, 0x32a5705f, v0 :: v_dual_sub_f32 v1, v1, v5
	s_delay_alu instid0(VALU_DEP_1) | instskip(SKIP_1) | instid1(VALU_DEP_2)
	v_add_f32_e32 v1, v1, v4
	v_cvt_i32_f32_e32 v4, v5
	v_exp_f32_e32 v1, v1
	s_waitcnt_depctr 0xfff
	v_ldexp_f32 v1, v1, v4
	s_delay_alu instid0(VALU_DEP_1) | instskip(SKIP_1) | instid1(VALU_DEP_2)
	v_cndmask_b32_e32 v1, 0, v1, vcc_lo
	v_cmp_nlt_f32_e32 vcc_lo, 0x42b17218, v0
	v_cndmask_b32_e32 v1, 0x7f800000, v1, vcc_lo
	v_cmp_le_f32_e32 vcc_lo, 0xc1a00000, v0
	s_delay_alu instid0(VALU_DEP_2)
	v_cndmask_b32_e32 v126, 0, v1, vcc_lo
	ds_load_2addr_b32 v[0:1], v244 offset1:16
	ds_load_2addr_b32 v[4:5], v244 offset0:68 offset1:84
	ds_load_2addr_b32 v[114:115], v244 offset0:136 offset1:152
	ds_load_2addr_b32 v[116:117], v244 offset0:204 offset1:220
	ds_load_2addr_b32 v[118:119], v128 offset0:16 offset1:84
	ds_load_2addr_b32 v[120:121], v128 offset0:132 offset1:152
	ds_load_2addr_b32 v[148:149], v128 offset0:200 offset1:220
	ds_load_2addr_b32 v[150:151], v129 offset0:12 offset1:32
	ds_load_2addr_b32 v[153:154], v129 offset0:100 offset1:116
	ds_load_2addr_b32 v[156:157], v129 offset0:168 offset1:184
	ds_load_2addr_b32 v[158:159], v129 offset0:236 offset1:252
	ds_load_2addr_b32 v[163:164], v155 offset0:48 offset1:116
	ds_load_2addr_b32 v[166:167], v155 offset0:164 offset1:184
	ds_load_2addr_b32 v[170:171], v155 offset0:232 offset1:252
	ds_load_b32 v160, v187 offset:2176
	ds_load_b32 v168, v187 offset:3264
	;; [unrolled: 1-line block ×8, first 2 shown]
	ds_load_2addr_b32 v[172:173], v128 offset0:100 offset1:116
	ds_load_2addr_b32 v[175:176], v128 offset0:168 offset1:184
	;; [unrolled: 1-line block ×3, first 2 shown]
	v_add_nc_u32_e32 v128, 0x1000, v244
	ds_load_2addr_b32 v[190:191], v155 offset0:132 offset1:148
	ds_load_2addr_b32 v[192:193], v128 offset0:12 offset1:28
	;; [unrolled: 1-line block ×3, first 2 shown]
	v_cvt_f16_f32_e32 v127, v126
	ds_load_2addr_b32 v[206:207], v244 offset0:32 offset1:48
	ds_load_2addr_b32 v[208:209], v244 offset0:100 offset1:116
	;; [unrolled: 1-line block ×7, first 2 shown]
	v_pk_mul_f16 v32, v127, v32 op_sel_hi:[0,1]
	v_pk_mul_f16 v33, v127, v33 op_sel_hi:[0,1]
	;; [unrolled: 1-line block ×32, first 2 shown]
	ds_load_b32 v127, v189 offset:2176
	ds_load_b32 v128, v189 offset:3264
	s_waitcnt lgkmcnt(35)
	v_perm_b32 v198, v4, v0, 0x5040100
	s_waitcnt lgkmcnt(33)
	v_perm_b32 v199, v116, v114, 0x5040100
	;; [unrolled: 2-line block ×8, first 2 shown]
	s_waitcnt lgkmcnt(0)
	s_barrier
	buffer_gl0_inv
	v_wmma_f16_16x16x16_f16 v[32:39], v[198:205], v[104:111], v[32:39]
	v_perm_b32 v198, v5, v1, 0x5040100
	v_perm_b32 v199, v117, v115, 0x5040100
	v_perm_b32 v200, v172, v182, 0x5040100
	v_perm_b32 v201, v180, v175, 0x5040100
	v_perm_b32 v202, v154, v160, 0x5040100
	v_perm_b32 v203, v159, v157, 0x5040100
	v_perm_b32 v204, v190, v168, 0x5040100
	v_perm_b32 v205, v192, v194, 0x5040100
	s_delay_alu instid0(VALU_DEP_1)
	v_wmma_f16_16x16x16_f16 v[24:31], v[198:205], v[104:111], v[24:31]
	v_perm_b32 v198, v208, v206, 0x5040100
	v_perm_b32 v200, v173, v169, 0x5040100
	v_perm_b32 v199, v214, v210, 0x5040100
	v_perm_b32 v201, v181, v176, 0x5040100
	v_perm_b32 v202, v216, v174, 0x5040100
	v_perm_b32 v203, v222, v220, 0x5040100
	v_perm_b32 v204, v191, v177, 0x5040100
	v_perm_b32 v205, v193, v195, 0x5040100
	s_delay_alu instid0(VALU_DEP_1)
	;; [unrolled: 10-line block ×3, first 2 shown]
	v_wmma_f16_16x16x16_f16 v[8:15], v[198:205], v[104:111], v[8:15]
	v_perm_b32 v198, v4, v0, 0x7060302
	v_add_f32_e32 v0, v2, v3
	v_perm_b32 v200, v119, v118, 0x7060302
	v_perm_b32 v204, v164, v163, 0x7060302
	;; [unrolled: 1-line block ×4, first 2 shown]
	v_add_f32_e32 v0, v6, v0
	v_perm_b32 v202, v153, v151, 0x7060302
	v_perm_b32 v203, v158, v156, 0x7060302
	;; [unrolled: 1-line block ×3, first 2 shown]
	s_delay_alu instid0(VALU_DEP_4) | instskip(NEXT) | instid1(VALU_DEP_2)
	v_add_f32_e32 v0, v122, v0
	v_wmma_f16_16x16x16_f16 v[32:39], v[198:205], v[104:111], v[32:39] op_sel:[0,0,1]
	v_perm_b32 v198, v5, v1, 0x7060302
	v_perm_b32 v199, v117, v115, 0x7060302
	;; [unrolled: 1-line block ×8, first 2 shown]
	v_add_f32_e32 v0, v7, v0
	s_delay_alu instid0(VALU_DEP_2)
	v_wmma_f16_16x16x16_f16 v[24:31], v[198:205], v[104:111], v[24:31] op_sel:[0,0,1]
	v_perm_b32 v201, v181, v176, 0x7060302
	v_perm_b32 v205, v193, v195, 0x7060302
	;; [unrolled: 1-line block ×8, first 2 shown]
	v_add_f32_e32 v0, v123, v0
	s_delay_alu instid0(VALU_DEP_2)
	v_wmma_f16_16x16x16_f16 v[16:23], v[198:205], v[104:111], v[16:23] op_sel:[0,0,1]
	v_perm_b32 v198, v209, v207, 0x7060302
	v_perm_b32 v199, v215, v211, 0x7060302
	;; [unrolled: 1-line block ×8, first 2 shown]
	v_add_f32_e32 v0, v124, v0
	s_delay_alu instid0(VALU_DEP_2) | instskip(NEXT) | instid1(VALU_DEP_2)
	v_wmma_f16_16x16x16_f16 v[8:15], v[198:205], v[104:111], v[8:15] op_sel:[0,0,1]
	v_add_f32_e32 v104, v125, v0
	s_delay_alu instid0(VALU_DEP_1)
	v_fmac_f32_e32 v104, v112, v126
	s_cbranch_scc0 .LBB24_52
; %bb.49:                               ;   in Loop: Header=BB24_48 Depth=2
	s_delay_alu instid0(VALU_DEP_1)
	v_mov_b32_e32 v112, v104
	v_mov_b32_e32 v153, v152
	s_ashr_i32 s67, s66, 31
	s_and_saveexec_b32 s4, s0
	s_cbranch_execnz .LBB24_47
	s_branch .LBB24_48
.LBB24_50:                              ;   in Loop: Header=BB24_10 Depth=1
	s_cbranch_execnz .LBB24_143
	s_branch .LBB24_270
.LBB24_51:                              ;   in Loop: Header=BB24_10 Depth=1
	v_dual_mov_b32 v104, 0 :: v_dual_mov_b32 v37, 0
	v_dual_mov_b32 v152, 0xfeffffff :: v_dual_mov_b32 v35, 0
	;; [unrolled: 1-line block ×15, first 2 shown]
	v_mov_b32_e32 v12, 0
	v_mov_b32_e32 v10, 0
	v_mov_b32_e32 v8, 0
.LBB24_52:                              ;   in Loop: Header=BB24_10 Depth=1
	s_lshl_b32 s4, s97, 5
	s_delay_alu instid0(SALU_CYCLE_1)
	s_ashr_i32 s5, s4, 31
	s_and_saveexec_b32 s6, s0
	s_cbranch_execz .LBB24_54
; %bb.53:                               ;   in Loop: Header=BB24_10 Depth=1
	scratch_load_b32 v0, off, off offset:96 ; 4-byte Folded Reload
	s_lshl_b64 s[66:67], s[4:5], 1
	s_clause 0x1
	scratch_load_b32 v3, off, off offset:88
	scratch_load_b32 v4, off, off offset:188
	s_waitcnt vmcnt(2)
	v_add_nc_u32_e32 v0, s89, v0
	s_waitcnt vmcnt(0)
	v_lshlrev_b32_e32 v4, 1, v4
	s_delay_alu instid0(VALU_DEP_2) | instskip(NEXT) | instid1(VALU_DEP_1)
	v_lshl_or_b32 v0, v0, 1, v179
	v_mul_hi_u32 v1, s12, v0
	s_delay_alu instid0(VALU_DEP_1) | instskip(NEXT) | instid1(VALU_DEP_1)
	v_add_nc_u32_e32 v1, v0, v1
	v_lshrrev_b32_e32 v1, s13, v1
	s_delay_alu instid0(VALU_DEP_1) | instskip(NEXT) | instid1(VALU_DEP_1)
	v_mul_lo_u32 v1, v1, s8
	v_sub_nc_u32_e32 v2, v0, v1
	s_delay_alu instid0(VALU_DEP_1)
	v_mad_i64_i32 v[0:1], null, v2, s40, 0
	scratch_load_b32 v2, off, off offset:84 ; 4-byte Folded Reload
	v_lshlrev_b64 v[0:1], 1, v[0:1]
	s_waitcnt vmcnt(0)
	v_add_co_u32 v2, vcc_lo, v2, s66
	v_add_co_ci_u32_e32 v3, vcc_lo, s67, v3, vcc_lo
	s_delay_alu instid0(VALU_DEP_2) | instskip(NEXT) | instid1(VALU_DEP_2)
	v_add_co_u32 v0, vcc_lo, v2, v0
	v_add_co_ci_u32_e32 v1, vcc_lo, v3, v1, vcc_lo
	s_delay_alu instid0(VALU_DEP_2) | instskip(NEXT) | instid1(VALU_DEP_2)
	v_add_co_u32 v0, vcc_lo, v0, v4
	v_add_co_ci_u32_e32 v1, vcc_lo, 0, v1, vcc_lo
	global_load_b32 v0, v[0:1], off
	scratch_load_b32 v1, off, off offset:68 ; 4-byte Folded Reload
	s_waitcnt vmcnt(0)
	ds_store_b32 v1, v0 offset:8704
.LBB24_54:                              ;   in Loop: Header=BB24_10 Depth=1
	s_or_b32 exec_lo, exec_lo, s6
	scratch_load_b32 v0, off, off           ; 4-byte Folded Reload
	s_mul_hi_i32 s7, s4, s34
	s_mul_i32 s6, s4, s34
	v_mov_b32_e32 v233, v231
	s_lshl_b64 s[6:7], s[6:7], 2
	v_mov_b32_e32 v234, v231
	s_add_u32 s5, s90, s6
	s_addc_u32 s6, s91, s7
	v_mov_b32_e32 v235, v231
	v_mov_b32_e32 v236, v231
	;; [unrolled: 1-line block ×6, first 2 shown]
	v_dual_mov_b32 v108, v233 :: v_dual_mov_b32 v109, v234
	v_dual_mov_b32 v110, v235 :: v_dual_mov_b32 v111, v236
	;; [unrolled: 1-line block ×3, first 2 shown]
	v_mov_b32_e32 v107, v232
	s_waitcnt vmcnt(0)
	v_lshlrev_b32_e32 v105, 2, v0
	v_add_co_u32 v0, vcc_lo, s5, v130
	v_add_co_ci_u32_e32 v2, vcc_lo, s6, v131, vcc_lo
	s_delay_alu instid0(VALU_DEP_2) | instskip(NEXT) | instid1(VALU_DEP_2)
	v_add_co_u32 v1, vcc_lo, v0, v105
	v_add_co_ci_u32_e32 v2, vcc_lo, 0, v2, vcc_lo
	v_add_co_u32 v0, vcc_lo, s5, v132
	v_add_co_ci_u32_e32 v3, vcc_lo, s6, v133, vcc_lo
	s_delay_alu instid0(VALU_DEP_2) | instskip(NEXT) | instid1(VALU_DEP_2)
	v_add_co_u32 v4, vcc_lo, v0, v105
	v_add_co_ci_u32_e32 v5, vcc_lo, 0, v3, vcc_lo
	s_clause 0x1
	global_load_b128 v[0:3], v[1:2], off
	global_load_b128 v[4:7], v[4:5], off
	s_waitcnt vmcnt(1)
	ds_store_b128 v185, v[0:3]
	s_waitcnt vmcnt(0)
	ds_store_b128 v246, v[4:7]
	v_add_co_u32 v0, vcc_lo, s5, v134
	v_add_co_ci_u32_e32 v1, vcc_lo, s6, v135, vcc_lo
	s_delay_alu instid0(VALU_DEP_2) | instskip(NEXT) | instid1(VALU_DEP_2)
	v_add_co_u32 v0, vcc_lo, v0, v105
	v_add_co_ci_u32_e32 v1, vcc_lo, 0, v1, vcc_lo
	v_add_co_u32 v2, vcc_lo, s5, v136
	v_add_co_ci_u32_e32 v3, vcc_lo, s6, v137, vcc_lo
	s_delay_alu instid0(VALU_DEP_2) | instskip(NEXT) | instid1(VALU_DEP_2)
	v_add_co_u32 v4, vcc_lo, v2, v105
	v_add_co_ci_u32_e32 v5, vcc_lo, 0, v3, vcc_lo
	s_clause 0x1
	global_load_b128 v[0:3], v[0:1], off
	global_load_b128 v[4:7], v[4:5], off
	s_waitcnt vmcnt(1)
	ds_store_b128 v247, v[0:3]
	s_waitcnt vmcnt(0)
	ds_store_b128 v248, v[4:7]
	;; [unrolled: 17-line block ×3, first 2 shown]
	v_add_co_u32 v0, vcc_lo, s5, v142
	v_add_co_ci_u32_e32 v1, vcc_lo, s6, v143, vcc_lo
	s_delay_alu instid0(VALU_DEP_2) | instskip(NEXT) | instid1(VALU_DEP_2)
	v_add_co_u32 v0, vcc_lo, v0, v105
	v_add_co_ci_u32_e32 v1, vcc_lo, 0, v1, vcc_lo
	v_add_co_u32 v2, vcc_lo, s5, v144
	v_add_co_ci_u32_e32 v3, vcc_lo, s6, v145, vcc_lo
	s_mul_hi_i32 s5, s4, s10
	s_delay_alu instid0(VALU_DEP_2) | instskip(NEXT) | instid1(VALU_DEP_2)
	v_add_co_u32 v4, vcc_lo, v2, v105
	v_add_co_ci_u32_e32 v5, vcc_lo, 0, v3, vcc_lo
	s_clause 0x1
	global_load_b128 v[0:3], v[0:1], off
	global_load_b128 v[4:7], v[4:5], off
	s_mul_i32 s4, s4, s10
	v_cmp_eq_u32_e64 s6, 1, v179
	s_lshl_b64 s[4:5], s[4:5], 2
	s_waitcnt vmcnt(1)
	ds_store_b128 v251, v[0:3]
	s_waitcnt vmcnt(0)
	ds_store_b128 v252, v[4:7]
	s_waitcnt lgkmcnt(0)
	s_barrier
	buffer_gl0_inv
	ds_load_b128 v[0:3], v183
	ds_load_b128 v[4:7], v183 offset:16
	s_add_u32 s4, s87, s4
	s_addc_u32 s5, s88, s5
	s_cmp_lg_u64 s[64:65], 0
	s_waitcnt lgkmcnt(0)
	v_wmma_f32_16x16x16_f16 v[106:113], v[0:7], v[48:55], v[106:113]
	ds_load_b128 v[0:3], v183 offset:32
	ds_load_b128 v[4:7], v183 offset:48
	s_waitcnt lgkmcnt(0)
	v_wmma_f32_16x16x16_f16 v[106:113], v[0:7], v[40:47], v[106:113]
	ds_load_b128 v[0:3], v183 offset:64
	ds_load_b128 v[4:7], v183 offset:80
	;; [unrolled: 4-line block ×6, first 2 shown]
	v_add_nc_u32_e32 v85, 0x400, v244
	s_waitcnt lgkmcnt(0)
	v_wmma_f32_16x16x16_f16 v[106:113], v[0:7], v[88:95], v[106:113]
	ds_load_b128 v[0:3], v183 offset:224
	ds_load_b128 v[4:7], v183 offset:240
	s_waitcnt lgkmcnt(0)
	s_barrier
	buffer_gl0_inv
	v_wmma_f32_16x16x16_f16 v[106:113], v[0:7], v[96:103], v[106:113]
	ds_load_u16 v0, v186 offset:8704
	ds_load_u16 v1, v186 offset:8708
	;; [unrolled: 1-line block ×8, first 2 shown]
	s_waitcnt lgkmcnt(7)
	v_cvt_f32_f16_e32 v0, v0
	s_waitcnt lgkmcnt(6)
	v_cvt_f32_f16_e32 v1, v1
	;; [unrolled: 2-line block ×7, first 2 shown]
	v_dual_add_f32 v49, v106, v0 :: v_dual_add_f32 v50, v107, v1
	v_dual_add_f32 v48, v108, v2 :: v_dual_add_f32 v47, v109, v3
	s_delay_alu instid0(VALU_DEP_3) | instskip(NEXT) | instid1(VALU_DEP_3)
	v_dual_add_f32 v43, v112, v6 :: v_dual_add_f32 v44, v111, v5
	v_dual_add_f32 v1, 0x40051340, v50 :: v_dual_add_f32 v0, 0x40051340, v49
	s_waitcnt lgkmcnt(0)
	v_cvt_f32_f16_e32 v7, v7
	v_dual_add_f32 v45, v110, v4 :: v_dual_add_f32 v2, 0x40051340, v47
	v_add_nc_u32_e32 v107, 0xc00, v244
	v_max3_f32 v0, v152, v0, v1
	s_delay_alu instid0(VALU_DEP_4) | instskip(NEXT) | instid1(VALU_DEP_1)
	v_dual_add_f32 v1, 0x40051340, v48 :: v_dual_add_f32 v42, v113, v7
	v_max3_f32 v0, v0, v1, v2
	v_dual_add_f32 v1, 0x40051340, v45 :: v_dual_add_f32 v2, 0x40051340, v44
	s_delay_alu instid0(VALU_DEP_1) | instskip(NEXT) | instid1(VALU_DEP_4)
	v_max3_f32 v0, v0, v1, v2
	v_dual_add_f32 v1, 0x40051340, v43 :: v_dual_add_f32 v2, 0x40051340, v42
	s_delay_alu instid0(VALU_DEP_1) | instskip(SKIP_1) | instid1(VALU_DEP_1)
	v_max3_f32 v0, v0, v1, v2
	v_mbcnt_lo_u32_b32 v2, -1, 0
	v_xor_b32_e32 v1, 16, v2
	s_delay_alu instid0(VALU_DEP_1) | instskip(SKIP_1) | instid1(VALU_DEP_1)
	v_cmp_gt_i32_e32 vcc_lo, 32, v1
	v_cndmask_b32_e32 v1, v2, v1, vcc_lo
	v_lshlrev_b32_e32 v40, 2, v1
	ds_bpermute_b32 v1, v40, v0
	s_waitcnt lgkmcnt(0)
	v_max_f32_e32 v1, v1, v1
	s_delay_alu instid0(VALU_DEP_1) | instskip(NEXT) | instid1(VALU_DEP_1)
	v_max_f32_e32 v41, v0, v1
	v_sub_f32_e32 v0, v152, v41
	s_delay_alu instid0(VALU_DEP_1) | instskip(NEXT) | instid1(VALU_DEP_1)
	v_mul_f32_e32 v1, 0x3fb8aa3b, v0
	v_fma_f32 v2, 0x3fb8aa3b, v0, -v1
	v_rndne_f32_e32 v3, v1
	s_delay_alu instid0(VALU_DEP_1) | instskip(SKIP_1) | instid1(VALU_DEP_2)
	v_dual_sub_f32 v1, v1, v3 :: v_dual_fmac_f32 v2, 0x32a5705f, v0
	v_cmp_ngt_f32_e32 vcc_lo, 0xc2ce8ed0, v0
	v_add_f32_e32 v1, v1, v2
	v_cvt_i32_f32_e32 v2, v3
	s_delay_alu instid0(VALU_DEP_2) | instskip(SKIP_2) | instid1(VALU_DEP_1)
	v_exp_f32_e32 v1, v1
	s_waitcnt_depctr 0xfff
	v_ldexp_f32 v1, v1, v2
	v_cndmask_b32_e32 v1, 0, v1, vcc_lo
	v_cmp_nlt_f32_e32 vcc_lo, 0x42b17218, v0
	s_delay_alu instid0(VALU_DEP_2) | instskip(SKIP_1) | instid1(VALU_DEP_2)
	v_cndmask_b32_e32 v1, 0x7f800000, v1, vcc_lo
	v_cmp_le_f32_e32 vcc_lo, 0xc1a00000, v0
	v_cndmask_b32_e32 v46, 0, v1, vcc_lo
	s_delay_alu instid0(VALU_DEP_1) | instskip(NEXT) | instid1(VALU_DEP_1)
	v_cvt_f16_f32_e32 v0, v46
	v_pk_mul_f16 v2, v0, v9 op_sel_hi:[0,1]
	v_pk_mul_f16 v3, v0, v10 op_sel_hi:[0,1]
	scratch_load_b64 v[9:10], off, off offset:4 ; 8-byte Folded Reload
	v_pk_mul_f16 v4, v0, v11 op_sel_hi:[0,1]
	v_pk_mul_f16 v5, v0, v12 op_sel_hi:[0,1]
	scratch_load_b64 v[11:12], off, off offset:12 ; 8-byte Folded Reload
	v_pk_mul_f16 v32, v0, v32 op_sel_hi:[0,1]
	v_pk_mul_f16 v33, v0, v33 op_sel_hi:[0,1]
	;; [unrolled: 1-line block ×28, first 2 shown]
	s_waitcnt vmcnt(1)
	v_add_co_u32 v0, vcc_lo, s4, v9
	v_add_co_ci_u32_e32 v10, vcc_lo, s5, v10, vcc_lo
	s_delay_alu instid0(VALU_DEP_2) | instskip(NEXT) | instid1(VALU_DEP_2)
	v_add_co_u32 v9, vcc_lo, v0, v105
	v_add_co_ci_u32_e32 v10, vcc_lo, 0, v10, vcc_lo
	s_waitcnt vmcnt(0)
	v_add_co_u32 v0, vcc_lo, s4, v11
	v_add_co_ci_u32_e32 v11, vcc_lo, s5, v12, vcc_lo
	s_delay_alu instid0(VALU_DEP_2) | instskip(NEXT) | instid1(VALU_DEP_2)
	v_add_co_u32 v13, vcc_lo, v0, v105
	v_add_co_ci_u32_e32 v14, vcc_lo, 0, v11, vcc_lo
	s_clause 0x1
	global_load_b128 v[9:12], v[9:10], off
	global_load_b128 v[51:54], v[13:14], off
	s_waitcnt vmcnt(1)
	ds_store_b128 v185, v[9:12]
	s_waitcnt vmcnt(0)
	ds_store_b128 v246, v[51:54]
	s_clause 0x1
	scratch_load_b64 v[9:10], off, off offset:20
	scratch_load_b64 v[11:12], off, off offset:28
	s_waitcnt vmcnt(1)
	v_add_co_u32 v0, vcc_lo, s4, v9
	v_add_co_ci_u32_e32 v10, vcc_lo, s5, v10, vcc_lo
	s_delay_alu instid0(VALU_DEP_2) | instskip(NEXT) | instid1(VALU_DEP_2)
	v_add_co_u32 v9, vcc_lo, v0, v105
	v_add_co_ci_u32_e32 v10, vcc_lo, 0, v10, vcc_lo
	s_waitcnt vmcnt(0)
	v_add_co_u32 v0, vcc_lo, s4, v11
	v_add_co_ci_u32_e32 v11, vcc_lo, s5, v12, vcc_lo
	s_delay_alu instid0(VALU_DEP_2) | instskip(NEXT) | instid1(VALU_DEP_2)
	v_add_co_u32 v13, vcc_lo, v0, v105
	v_add_co_ci_u32_e32 v14, vcc_lo, 0, v11, vcc_lo
	s_clause 0x1
	global_load_b128 v[9:12], v[9:10], off
	global_load_b128 v[51:54], v[13:14], off
	s_waitcnt vmcnt(1)
	ds_store_b128 v247, v[9:12]
	s_waitcnt vmcnt(0)
	ds_store_b128 v248, v[51:54]
	s_clause 0x1
	scratch_load_b64 v[9:10], off, off offset:36
	scratch_load_b64 v[11:12], off, off offset:44
	s_waitcnt vmcnt(1)
	v_add_co_u32 v0, vcc_lo, s4, v9
	v_add_co_ci_u32_e32 v10, vcc_lo, s5, v10, vcc_lo
	s_delay_alu instid0(VALU_DEP_2) | instskip(NEXT) | instid1(VALU_DEP_2)
	v_add_co_u32 v9, vcc_lo, v0, v105
	v_add_co_ci_u32_e32 v10, vcc_lo, 0, v10, vcc_lo
	s_waitcnt vmcnt(0)
	v_add_co_u32 v0, vcc_lo, s4, v11
	v_add_co_ci_u32_e32 v11, vcc_lo, s5, v12, vcc_lo
	s_delay_alu instid0(VALU_DEP_2) | instskip(NEXT) | instid1(VALU_DEP_2)
	v_add_co_u32 v13, vcc_lo, v0, v105
	v_add_co_ci_u32_e32 v14, vcc_lo, 0, v11, vcc_lo
	s_clause 0x1
	global_load_b128 v[9:12], v[9:10], off
	global_load_b128 v[51:54], v[13:14], off
	s_waitcnt vmcnt(1)
	ds_store_b128 v249, v[9:12]
	s_waitcnt vmcnt(0)
	ds_store_b128 v250, v[51:54]
	s_clause 0x1
	scratch_load_b64 v[9:10], off, off offset:52
	scratch_load_b64 v[11:12], off, off offset:60
	s_waitcnt vmcnt(1)
	v_add_co_u32 v0, vcc_lo, s4, v9
	v_add_co_ci_u32_e32 v10, vcc_lo, s5, v10, vcc_lo
	s_delay_alu instid0(VALU_DEP_2) | instskip(NEXT) | instid1(VALU_DEP_2)
	v_add_co_u32 v9, vcc_lo, v0, v105
	v_add_co_ci_u32_e32 v10, vcc_lo, 0, v10, vcc_lo
	s_waitcnt vmcnt(0)
	v_add_co_u32 v0, vcc_lo, s4, v11
	v_add_co_ci_u32_e32 v11, vcc_lo, s5, v12, vcc_lo
	v_cmp_eq_u32_e64 s5, 0, v179
	s_delay_alu instid0(VALU_DEP_3) | instskip(NEXT) | instid1(VALU_DEP_3)
	v_add_co_u32 v13, vcc_lo, v0, v105
	v_add_co_ci_u32_e32 v14, vcc_lo, 0, v11, vcc_lo
	s_clause 0x1
	global_load_b128 v[9:12], v[9:10], off
	global_load_b128 v[51:54], v[13:14], off
	v_sub_f32_e32 v0, v50, v41
	s_waitcnt vmcnt(1)
	ds_store_b128 v251, v[9:12]
	s_waitcnt vmcnt(0)
	ds_store_b128 v252, v[51:54]
	v_mul_f32_e32 v9, 0x3fb8aa3b, v0
	v_cmp_ngt_f32_e32 vcc_lo, 0xc2ce8ed0, v0
	v_add_nc_u32_e32 v105, 0x800, v244
	s_waitcnt lgkmcnt(0)
	s_barrier
	v_fma_f32 v10, 0x3fb8aa3b, v0, -v9
	v_rndne_f32_e32 v11, v9
	buffer_gl0_inv
	v_dual_fmac_f32 v10, 0x32a5705f, v0 :: v_dual_sub_f32 v9, v9, v11
	v_cvt_i32_f32_e32 v11, v11
	s_delay_alu instid0(VALU_DEP_2) | instskip(SKIP_1) | instid1(VALU_DEP_2)
	v_add_f32_e32 v9, v9, v10
	v_sub_f32_e32 v10, v49, v41
	v_exp_f32_e32 v9, v9
	s_delay_alu instid0(VALU_DEP_1) | instskip(SKIP_1) | instid1(VALU_DEP_2)
	v_mul_f32_e32 v12, 0x3fb8aa3b, v10
	v_cmp_ngt_f32_e64 s4, 0xc2ce8ed0, v10
	v_fma_f32 v13, 0x3fb8aa3b, v10, -v12
	v_rndne_f32_e32 v14, v12
	s_waitcnt_depctr 0xfff
	v_ldexp_f32 v9, v9, v11
	s_delay_alu instid0(VALU_DEP_1) | instskip(SKIP_1) | instid1(VALU_DEP_2)
	v_dual_sub_f32 v12, v12, v14 :: v_dual_cndmask_b32 v9, 0, v9
	v_cmp_nlt_f32_e32 vcc_lo, 0x42b17218, v0
	v_cndmask_b32_e32 v15, 0x7f800000, v9, vcc_lo
	v_cmp_eq_u32_e32 vcc_lo, 1, v253
	v_fmac_f32_e32 v13, 0x32a5705f, v10
	s_delay_alu instid0(VALU_DEP_1) | instskip(NEXT) | instid1(VALU_DEP_1)
	v_add_f32_e32 v12, v12, v13
	v_exp_f32_e32 v11, v12
	v_cvt_i32_f32_e32 v12, v14
	s_waitcnt_depctr 0xfff
	v_ldexp_f32 v11, v11, v12
	s_delay_alu instid0(VALU_DEP_1)
	v_cndmask_b32_e64 v0, 0, v11, s4
	v_cmp_nlt_f32_e64 s4, 0x42b17218, v10
	ds_bpermute_b32 v11, v40, v15
	v_cndmask_b32_e64 v0, 0x7f800000, v0, s4
	v_cmp_eq_u32_e64 s4, 0, v253
	ds_bpermute_b32 v9, v40, v0
	s_waitcnt lgkmcnt(0)
	v_cndmask_b32_e64 v10, v0, v9, s4
	v_cndmask_b32_e32 v9, v0, v9, vcc_lo
	s_delay_alu instid0(VALU_DEP_2) | instskip(NEXT) | instid1(VALU_DEP_2)
	v_cndmask_b32_e64 v12, v10, v15, s5
	v_cndmask_b32_e64 v13, v9, v15, s6
	v_cvt_f16_f32_e32 v10, v10
	v_cvt_f16_f32_e32 v9, v9
	s_delay_alu instid0(VALU_DEP_4) | instskip(NEXT) | instid1(VALU_DEP_2)
	v_cndmask_b32_e64 v12, v12, v11, s4
	v_pack_b32_f16 v49, v10, v9
	v_sub_f32_e32 v9, v48, v41
	v_cndmask_b32_e32 v11, v13, v11, vcc_lo
	s_delay_alu instid0(VALU_DEP_4) | instskip(NEXT) | instid1(VALU_DEP_3)
	v_cvt_f16_f32_e32 v13, v12
	v_mul_f32_e32 v10, 0x3fb8aa3b, v9
	s_delay_alu instid0(VALU_DEP_3) | instskip(SKIP_1) | instid1(VALU_DEP_2)
	v_cvt_f16_f32_e32 v14, v11
	v_cmp_ngt_f32_e64 s7, 0xc2ce8ed0, v9
	v_pack_b32_f16 v50, v13, v14
	s_delay_alu instid0(VALU_DEP_4) | instskip(SKIP_1) | instid1(VALU_DEP_1)
	v_fma_f32 v13, 0x3fb8aa3b, v9, -v10
	v_rndne_f32_e32 v14, v10
	v_dual_fmac_f32 v13, 0x32a5705f, v9 :: v_dual_sub_f32 v10, v10, v14
	s_delay_alu instid0(VALU_DEP_1) | instskip(SKIP_1) | instid1(VALU_DEP_2)
	v_add_f32_e32 v10, v10, v13
	v_cvt_i32_f32_e32 v13, v14
	v_exp_f32_e32 v10, v10
	s_waitcnt_depctr 0xfff
	v_ldexp_f32 v10, v10, v13
	s_delay_alu instid0(VALU_DEP_1) | instskip(SKIP_1) | instid1(VALU_DEP_1)
	v_cndmask_b32_e64 v10, 0, v10, s7
	v_cmp_nlt_f32_e64 s7, 0x42b17218, v9
	v_cndmask_b32_e64 v103, 0x7f800000, v10, s7
	s_delay_alu instid0(VALU_DEP_1) | instskip(SKIP_3) | instid1(VALU_DEP_1)
	v_cndmask_b32_e64 v10, v11, v103, s6
	ds_bpermute_b32 v11, v40, v103
	v_cndmask_b32_e64 v9, v12, v103, s5
	s_waitcnt lgkmcnt(0)
	v_cndmask_b32_e64 v9, v9, v11, s4
	v_cndmask_b32_e32 v10, v10, v11, vcc_lo
	s_delay_alu instid0(VALU_DEP_2) | instskip(NEXT) | instid1(VALU_DEP_2)
	v_cvt_f16_f32_e32 v11, v9
	v_cvt_f16_f32_e32 v12, v10
	s_delay_alu instid0(VALU_DEP_1) | instskip(SKIP_1) | instid1(VALU_DEP_1)
	v_pack_b32_f16 v51, v11, v12
	v_sub_f32_e32 v11, v47, v41
	v_mul_f32_e32 v12, 0x3fb8aa3b, v11
	v_cmp_ngt_f32_e64 s7, 0xc2ce8ed0, v11
	s_delay_alu instid0(VALU_DEP_2) | instskip(SKIP_1) | instid1(VALU_DEP_1)
	v_fma_f32 v13, 0x3fb8aa3b, v11, -v12
	v_rndne_f32_e32 v14, v12
	v_dual_fmac_f32 v13, 0x32a5705f, v11 :: v_dual_sub_f32 v12, v12, v14
	v_add_f32_e32 v0, v0, v15
	s_delay_alu instid0(VALU_DEP_2) | instskip(SKIP_1) | instid1(VALU_DEP_3)
	v_add_f32_e32 v12, v12, v13
	v_cvt_i32_f32_e32 v13, v14
	v_add_f32_e32 v0, v103, v0
	s_delay_alu instid0(VALU_DEP_3) | instskip(SKIP_2) | instid1(VALU_DEP_1)
	v_exp_f32_e32 v12, v12
	s_waitcnt_depctr 0xfff
	v_ldexp_f32 v12, v12, v13
	v_cndmask_b32_e64 v12, 0, v12, s7
	v_cmp_nlt_f32_e64 s7, 0x42b17218, v11
	s_delay_alu instid0(VALU_DEP_1)
	v_cndmask_b32_e64 v109, 0x7f800000, v12, s7
	ds_bpermute_b32 v11, v40, v109
	v_cndmask_b32_e64 v9, v9, v109, s5
	v_cndmask_b32_e64 v10, v10, v109, s6
	v_add_f32_e32 v0, v109, v0
	s_waitcnt lgkmcnt(0)
	s_delay_alu instid0(VALU_DEP_3) | instskip(NEXT) | instid1(VALU_DEP_3)
	v_cndmask_b32_e64 v9, v9, v11, s4
	v_cndmask_b32_e32 v10, v10, v11, vcc_lo
	s_delay_alu instid0(VALU_DEP_2) | instskip(NEXT) | instid1(VALU_DEP_2)
	v_cvt_f16_f32_e32 v11, v9
	v_cvt_f16_f32_e32 v12, v10
	s_delay_alu instid0(VALU_DEP_1) | instskip(SKIP_1) | instid1(VALU_DEP_1)
	v_pack_b32_f16 v52, v11, v12
	v_sub_f32_e32 v11, v45, v41
	v_mul_f32_e32 v12, 0x3fb8aa3b, v11
	v_cmp_ngt_f32_e64 s7, 0xc2ce8ed0, v11
	s_delay_alu instid0(VALU_DEP_2) | instskip(SKIP_1) | instid1(VALU_DEP_1)
	v_fma_f32 v13, 0x3fb8aa3b, v11, -v12
	v_rndne_f32_e32 v14, v12
	v_dual_fmac_f32 v13, 0x32a5705f, v11 :: v_dual_sub_f32 v12, v12, v14
	s_delay_alu instid0(VALU_DEP_1) | instskip(SKIP_1) | instid1(VALU_DEP_2)
	v_add_f32_e32 v12, v12, v13
	v_cvt_i32_f32_e32 v13, v14
	v_exp_f32_e32 v12, v12
	s_waitcnt_depctr 0xfff
	v_ldexp_f32 v12, v12, v13
	s_delay_alu instid0(VALU_DEP_1) | instskip(SKIP_1) | instid1(VALU_DEP_1)
	v_cndmask_b32_e64 v12, 0, v12, s7
	v_cmp_nlt_f32_e64 s7, 0x42b17218, v11
	v_cndmask_b32_e64 v110, 0x7f800000, v12, s7
	ds_bpermute_b32 v11, v40, v110
	v_cndmask_b32_e64 v9, v9, v110, s5
	v_cndmask_b32_e64 v10, v10, v110, s6
	v_add_f32_e32 v0, v110, v0
	s_waitcnt lgkmcnt(0)
	s_delay_alu instid0(VALU_DEP_3) | instskip(NEXT) | instid1(VALU_DEP_3)
	v_cndmask_b32_e64 v9, v9, v11, s4
	v_cndmask_b32_e32 v10, v10, v11, vcc_lo
	s_delay_alu instid0(VALU_DEP_2) | instskip(NEXT) | instid1(VALU_DEP_2)
	v_cvt_f16_f32_e32 v11, v9
	v_cvt_f16_f32_e32 v12, v10
	s_delay_alu instid0(VALU_DEP_1) | instskip(SKIP_1) | instid1(VALU_DEP_1)
	v_pack_b32_f16 v53, v11, v12
	v_sub_f32_e32 v11, v44, v41
	v_mul_f32_e32 v12, 0x3fb8aa3b, v11
	v_cmp_ngt_f32_e64 s7, 0xc2ce8ed0, v11
	s_delay_alu instid0(VALU_DEP_2) | instskip(SKIP_1) | instid1(VALU_DEP_1)
	v_fma_f32 v13, 0x3fb8aa3b, v11, -v12
	v_rndne_f32_e32 v14, v12
	v_dual_fmac_f32 v13, 0x32a5705f, v11 :: v_dual_sub_f32 v12, v12, v14
	s_delay_alu instid0(VALU_DEP_1) | instskip(SKIP_1) | instid1(VALU_DEP_2)
	v_add_f32_e32 v12, v12, v13
	v_cvt_i32_f32_e32 v13, v14
	v_exp_f32_e32 v12, v12
	s_waitcnt_depctr 0xfff
	v_ldexp_f32 v12, v12, v13
	s_delay_alu instid0(VALU_DEP_1) | instskip(SKIP_1) | instid1(VALU_DEP_1)
	v_cndmask_b32_e64 v12, 0, v12, s7
	v_cmp_nlt_f32_e64 s7, 0x42b17218, v11
	;; [unrolled: 30-line block ×4, first 2 shown]
	v_cndmask_b32_e64 v113, 0x7f800000, v12, s7
	ds_bpermute_b32 v11, v40, v113
	v_cndmask_b32_e64 v9, v9, v113, s5
	v_cndmask_b32_e64 v10, v10, v113, s6
	v_add_f32_e32 v0, v113, v0
	s_delay_alu instid0(VALU_DEP_1) | instskip(SKIP_4) | instid1(SALU_CYCLE_1)
	v_fmac_f32_e32 v0, v104, v46
	s_waitcnt lgkmcnt(0)
	v_cndmask_b32_e64 v9, v9, v11, s4
	v_cndmask_b32_e32 v10, v10, v11, vcc_lo
	s_cselect_b32 s4, -1, 0
	s_and_b32 s5, s1, s4
	s_delay_alu instid0(VALU_DEP_2) | instskip(NEXT) | instid1(VALU_DEP_2)
	v_cvt_f16_f32_e32 v9, v9
	v_cvt_f16_f32_e32 v10, v10
	s_delay_alu instid0(VALU_DEP_1)
	v_pack_b32_f16 v56, v9, v10
	ds_load_2addr_b32 v[9:10], v244 offset1:16
	ds_load_2addr_b32 v[11:12], v244 offset0:68 offset1:84
	ds_load_2addr_b32 v[13:14], v244 offset0:136 offset1:152
	;; [unrolled: 1-line block ×13, first 2 shown]
	ds_load_b32 v114, v187 offset:2176
	ds_load_b32 v115, v187 offset:3264
	;; [unrolled: 1-line block ×8, first 2 shown]
	ds_load_2addr_b32 v[81:82], v85 offset0:100 offset1:116
	ds_load_2addr_b32 v[83:84], v85 offset0:168 offset1:184
	ds_load_2addr_b32 v[85:86], v85 offset0:236 offset1:252
	ds_load_2addr_b32 v[87:88], v107 offset0:132 offset1:148
	s_waitcnt lgkmcnt(24)
	v_perm_b32 v57, v11, v9, 0x5040100
	s_waitcnt lgkmcnt(22)
	v_perm_b32 v58, v42, v13, 0x5040100
	;; [unrolled: 2-line block ×8, first 2 shown]
	s_delay_alu instid0(VALU_DEP_1)
	v_wmma_f16_16x16x16_f16 v[32:39], v[57:64], v[49:56], v[32:39]
	v_add_nc_u32_e32 v64, 0x1000, v244
	ds_load_2addr_b32 v[89:90], v64 offset0:12 offset1:28
	ds_load_2addr_b32 v[91:92], v107 offset0:200 offset1:216
	;; [unrolled: 1-line block ×9, first 2 shown]
	ds_load_b32 v122, v189 offset:2176
	ds_load_b32 v123, v189 offset:3264
	v_perm_b32 v57, v12, v10, 0x5040100
	v_perm_b32 v58, v43, v14, 0x5040100
	s_waitcnt lgkmcnt(14)
	v_perm_b32 v59, v81, v120, 0x5040100
	s_waitcnt lgkmcnt(12)
	v_perm_b32 v60, v85, v83, 0x5040100
	v_perm_b32 v61, v70, v114, 0x5040100
	;; [unrolled: 1-line block ×3, first 2 shown]
	s_waitcnt lgkmcnt(11)
	v_perm_b32 v63, v87, v115, 0x5040100
	s_waitcnt lgkmcnt(0)
	s_barrier
	buffer_gl0_inv
	v_perm_b32 v64, v89, v91, 0x5040100
	s_delay_alu instid0(VALU_DEP_1)
	v_wmma_f16_16x16x16_f16 v[24:31], v[57:64], v[49:56], v[24:31]
	v_perm_b32 v57, v95, v93, 0x5040100
	v_perm_b32 v58, v99, v97, 0x5040100
	v_perm_b32 v59, v82, v116, 0x5040100
	v_perm_b32 v60, v86, v84, 0x5040100
	v_perm_b32 v61, v101, v117, 0x5040100
	v_perm_b32 v62, v107, v105, 0x5040100
	v_perm_b32 v63, v88, v118, 0x5040100
	v_perm_b32 v64, v90, v92, 0x5040100
	s_delay_alu instid0(VALU_DEP_1)
	v_wmma_f16_16x16x16_f16 v[16:23], v[57:64], v[49:56], v[16:23]
	v_perm_b32 v57, v96, v94, 0x5040100
	v_perm_b32 v58, v100, v98, 0x5040100
	v_perm_b32 v59, v47, v119, 0x5040100
	v_perm_b32 v60, v67, v65, 0x5040100
	v_perm_b32 v61, v102, v122, 0x5040100
	v_perm_b32 v62, v108, v106, 0x5040100
	v_perm_b32 v63, v77, v123, 0x5040100
	;; [unrolled: 10-line block ×3, first 2 shown]
	v_perm_b32 v64, v80, v78, 0x7060302
	ds_bpermute_b32 v9, v40, v0
	v_wmma_f16_16x16x16_f16 v[32:39], v[57:64], v[49:56], v[32:39] op_sel:[0,0,1]
	v_perm_b32 v57, v12, v10, 0x7060302
	v_perm_b32 v58, v43, v14, 0x7060302
	;; [unrolled: 1-line block ×8, first 2 shown]
	s_delay_alu instid0(VALU_DEP_1)
	v_wmma_f16_16x16x16_f16 v[24:31], v[57:64], v[49:56], v[24:31] op_sel:[0,0,1]
	v_perm_b32 v60, v86, v84, 0x7060302
	v_perm_b32 v64, v90, v92, 0x7060302
	;; [unrolled: 1-line block ×8, first 2 shown]
	s_waitcnt lgkmcnt(0)
	v_add_f32_e32 v9, v0, v9
	s_delay_alu instid0(VALU_DEP_2)
	v_wmma_f16_16x16x16_f16 v[16:23], v[57:64], v[49:56], v[16:23] op_sel:[0,0,1]
	v_perm_b32 v57, v96, v94, 0x7060302
	v_perm_b32 v58, v100, v98, 0x7060302
	;; [unrolled: 1-line block ×8, first 2 shown]
	s_delay_alu instid0(VALU_DEP_1)
	v_wmma_f16_16x16x16_f16 v[1:8], v[57:64], v[49:56], v[1:8] op_sel:[0,0,1]
	s_and_saveexec_b32 s4, s5
	s_cbranch_execz .LBB24_56
; %bb.55:                               ;   in Loop: Header=BB24_10 Depth=1
	scratch_load_b32 v0, off, off offset:200 ; 4-byte Folded Reload
	s_waitcnt vmcnt(0)
	v_lshlrev_b32_e32 v0, 2, v0
	global_load_b32 v0, v0, s[64:65]
	s_waitcnt vmcnt(0)
	v_dual_max_f32 v10, v41, v41 :: v_dual_max_f32 v11, v0, v0
	s_delay_alu instid0(VALU_DEP_1) | instskip(NEXT) | instid1(VALU_DEP_1)
	v_max_f32_e32 v10, v10, v11
	v_sub_f32_e32 v0, v0, v10
	s_delay_alu instid0(VALU_DEP_1) | instskip(SKIP_1) | instid1(VALU_DEP_2)
	v_mul_f32_e32 v15, 0x3fb8aa3b, v0
	v_sub_f32_e32 v11, v41, v10
	v_rndne_f32_e32 v42, v15
	s_delay_alu instid0(VALU_DEP_2) | instskip(SKIP_1) | instid1(VALU_DEP_2)
	v_mul_f32_e32 v12, 0x3fb8aa3b, v11
	v_cmp_ngt_f32_e32 vcc_lo, 0xc2ce8ed0, v11
	v_fma_f32 v13, 0x3fb8aa3b, v11, -v12
	v_rndne_f32_e32 v14, v12
	s_delay_alu instid0(VALU_DEP_2) | instskip(SKIP_1) | instid1(VALU_DEP_3)
	v_fmac_f32_e32 v13, 0x32a5705f, v11
	v_fma_f32 v41, 0x3fb8aa3b, v0, -v15
	v_sub_f32_e32 v12, v12, v14
	v_cvt_i32_f32_e32 v14, v14
	s_delay_alu instid0(VALU_DEP_2) | instskip(SKIP_1) | instid1(VALU_DEP_1)
	v_dual_fmac_f32 v41, 0x32a5705f, v0 :: v_dual_add_f32 v12, v12, v13
	v_sub_f32_e32 v13, v15, v42
	v_add_f32_e32 v13, v13, v41
	v_mov_b32_e32 v41, v10
	s_delay_alu instid0(VALU_DEP_4) | instskip(SKIP_3) | instid1(VALU_DEP_2)
	v_exp_f32_e32 v12, v12
	s_waitcnt_depctr 0xfff
	v_ldexp_f32 v12, v12, v14
	v_cvt_i32_f32_e32 v14, v42
	v_cndmask_b32_e32 v12, 0, v12, vcc_lo
	v_exp_f32_e32 v13, v13
	v_cmp_nlt_f32_e32 vcc_lo, 0x42b17218, v11
	s_delay_alu instid0(VALU_DEP_2) | instskip(SKIP_3) | instid1(VALU_DEP_1)
	v_cndmask_b32_e32 v12, 0x7f800000, v12, vcc_lo
	v_cmp_ngt_f32_e32 vcc_lo, 0xc2ce8ed0, v0
	s_waitcnt_depctr 0xfff
	v_ldexp_f32 v13, v13, v14
	v_cndmask_b32_e32 v13, 0, v13, vcc_lo
	v_cmp_le_f32_e32 vcc_lo, 0xc1a00000, v11
	v_cndmask_b32_e32 v11, 0, v12, vcc_lo
	v_cmp_nlt_f32_e32 vcc_lo, 0x42b17218, v0
	s_delay_alu instid0(VALU_DEP_2) | instskip(SKIP_1) | instid1(VALU_DEP_2)
	v_cvt_f16_f32_e32 v12, v11
	v_cndmask_b32_e32 v0, 0x7f800000, v13, vcc_lo
	v_pk_mul_f16 v32, v12, v32 op_sel_hi:[0,1]
	s_delay_alu instid0(VALU_DEP_2)
	v_fmac_f32_e32 v0, v9, v11
	v_pk_mul_f16 v33, v12, v33 op_sel_hi:[0,1]
	v_pk_mul_f16 v34, v12, v34 op_sel_hi:[0,1]
	;; [unrolled: 1-line block ×31, first 2 shown]
	v_mov_b32_e32 v9, v0
.LBB24_56:                              ;   in Loop: Header=BB24_10 Depth=1
	s_or_b32 exec_lo, exec_lo, s4
	s_and_saveexec_b32 s4, s3
	s_cbranch_execz .LBB24_58
; %bb.57:                               ;   in Loop: Header=BB24_10 Depth=1
	scratch_load_b32 v0, off, off offset:104 ; 4-byte Folded Reload
	s_waitcnt vmcnt(0)
	v_add_nc_u32_e32 v0, 0, v0
	ds_store_2addr_b32 v0, v41, v9 offset0:64 offset1:65
.LBB24_58:                              ;   in Loop: Header=BB24_10 Depth=1
	s_or_b32 exec_lo, exec_lo, s4
	s_waitcnt lgkmcnt(0)
	s_barrier
	buffer_gl0_inv
	s_and_saveexec_b32 s4, s2
	s_delay_alu instid0(SALU_CYCLE_1)
	s_xor_b32 s4, exec_lo, s4
	s_cbranch_execz .LBB24_60
; %bb.59:                               ;   in Loop: Header=BB24_10 Depth=1
	s_barrier
	buffer_gl0_inv
                                        ; implicit-def: $vgpr40
.LBB24_60:                              ;   in Loop: Header=BB24_10 Depth=1
	s_and_not1_saveexec_b32 s4, s4
	s_cbranch_execz .LBB24_64
; %bb.61:                               ;   in Loop: Header=BB24_10 Depth=1
	scratch_load_b32 v0, off, off offset:104 ; 4-byte Folded Reload
	s_waitcnt vmcnt(0)
	v_add_nc_u32_e32 v0, 0, v0
	ds_load_b64 v[11:12], v0 offset:256
	s_waitcnt lgkmcnt(0)
	s_barrier
	buffer_gl0_inv
	ds_bpermute_b32 v9, v40, v11
	s_waitcnt lgkmcnt(0)
	v_dual_max_f32 v10, v11, v11 :: v_dual_max_f32 v9, v9, v9
	s_delay_alu instid0(VALU_DEP_1) | instskip(NEXT) | instid1(VALU_DEP_1)
	v_max_f32_e32 v9, v10, v9
	v_sub_f32_e32 v10, v11, v9
	s_delay_alu instid0(VALU_DEP_1) | instskip(SKIP_1) | instid1(VALU_DEP_2)
	v_mul_f32_e32 v11, 0x3fb8aa3b, v10
	v_cmp_ngt_f32_e32 vcc_lo, 0xc2ce8ed0, v10
	v_fma_f32 v13, 0x3fb8aa3b, v10, -v11
	v_rndne_f32_e32 v14, v11
	s_delay_alu instid0(VALU_DEP_2) | instskip(NEXT) | instid1(VALU_DEP_2)
	v_fmac_f32_e32 v13, 0x32a5705f, v10
	v_sub_f32_e32 v11, v11, v14
	s_delay_alu instid0(VALU_DEP_1) | instskip(SKIP_1) | instid1(VALU_DEP_2)
	v_add_f32_e32 v11, v11, v13
	v_cvt_i32_f32_e32 v13, v14
	v_exp_f32_e32 v11, v11
	s_waitcnt_depctr 0xfff
	v_ldexp_f32 v11, v11, v13
	s_delay_alu instid0(VALU_DEP_1) | instskip(SKIP_1) | instid1(VALU_DEP_2)
	v_cndmask_b32_e32 v11, 0, v11, vcc_lo
	v_cmp_nlt_f32_e32 vcc_lo, 0x42b17218, v10
	v_cndmask_b32_e32 v10, 0x7f800000, v11, vcc_lo
	s_delay_alu instid0(VALU_DEP_1)
	v_mul_f32_e32 v11, v12, v10
	ds_bpermute_b32 v11, v40, v11
	s_waitcnt lgkmcnt(0)
	v_fmac_f32_e32 v11, v12, v10
	ds_store_b64 v0, v[10:11] offset:256
	s_and_saveexec_b32 s5, s3
	s_cbranch_execz .LBB24_63
; %bb.62:                               ;   in Loop: Header=BB24_10 Depth=1
	v_mov_b32_e32 v10, v11
	scratch_load_b64 v[11:12], off, off offset:400 ; 8-byte Folded Reload
	s_waitcnt vmcnt(0)
	global_store_b64 v[11:12], v[9:10], off
.LBB24_63:                              ;   in Loop: Header=BB24_10 Depth=1
	s_or_b32 exec_lo, exec_lo, s5
.LBB24_64:                              ;   in Loop: Header=BB24_10 Depth=1
	s_delay_alu instid0(SALU_CYCLE_1)
	s_or_b32 exec_lo, exec_lo, s4
	scratch_load_b32 v0, off, off offset:108 ; 4-byte Folded Reload
	s_waitcnt vmcnt(0)
	ds_store_2addr_b32 v0, v32, v33 offset1:2
	ds_store_2addr_b32 v0, v34, v35 offset0:4 offset1:6
	ds_store_2addr_b32 v0, v36, v37 offset0:8 offset1:10
	;; [unrolled: 1-line block ×15, first 2 shown]
	s_waitcnt lgkmcnt(0)
	s_waitcnt_vscnt null, 0x0
	s_barrier
	buffer_gl0_inv
	s_and_saveexec_b32 s6, s1
	s_cbranch_execz .LBB24_142
; %bb.65:                               ;   in Loop: Header=BB24_10 Depth=1
	scratch_load_b32 v0, off, off offset:228 ; 4-byte Folded Reload
	s_waitcnt vmcnt(0)
	v_add_nc_u32_e32 v2, s103, v0
	scratch_load_b64 v[0:1], off, off offset:192 ; 8-byte Folded Reload
	s_waitcnt vmcnt(0)
	v_mov_b32_e32 v1, 0x47
	v_cmp_gt_i32_e64 s4, s8, v2
	v_or_b32_e32 v0, s86, v0
	s_delay_alu instid0(VALU_DEP_1) | instskip(NEXT) | instid1(VALU_DEP_3)
	v_cmp_gt_i32_e32 vcc_lo, s33, v0
	s_and_b32 s4, s4, vcc_lo
	s_delay_alu instid0(SALU_CYCLE_1)
	s_and_saveexec_b32 s5, s4
	s_cbranch_execz .LBB24_67
; %bb.66:                               ;   in Loop: Header=BB24_10 Depth=1
	s_clause 0x1
	scratch_load_b32 v0, off, off offset:240
	scratch_load_b32 v7, off, off offset:244
	s_waitcnt vmcnt(1)
	v_add_nc_u32_e32 v3, 0, v0
	s_waitcnt vmcnt(0)
	ds_load_2addr_b32 v[0:1], v7 offset1:32
	ds_load_2addr_stride64_b32 v[3:4], v3 offset0:1 offset1:18
	scratch_load_b64 v[8:9], off, off offset:192 ; 8-byte Folded Reload
	ds_load_b32 v7, v7 offset:4352
	s_waitcnt lgkmcnt(1)
	v_fma_mix_f32 v10, v3, v1, 0 op_sel_hi:[0,1,0]
	v_fma_mix_f32 v1, v3, v1, 0 op_sel:[0,1,0] op_sel_hi:[0,1,0]
	s_waitcnt vmcnt(0)
	v_mad_u64_u32 v[5:6], null, v2, s9, v[8:9]
	scratch_load_b32 v2, off, off offset:76 ; 4-byte Folded Reload
	v_fma_mix_f32 v9, v3, v0, 0 op_sel_hi:[0,1,0]
	v_fma_mix_f32 v0, v3, v0, 0 op_sel:[0,1,0] op_sel_hi:[0,1,0]
	s_waitcnt vmcnt(0)
	v_lshl_add_u32 v5, v5, 6, v2
	scratch_load_b32 v2, off, off offset:248 ; 4-byte Folded Reload
	v_ashrrev_i32_e32 v6, 31, v5
	s_delay_alu instid0(VALU_DEP_1) | instskip(SKIP_3) | instid1(VALU_DEP_1)
	v_lshlrev_b64 v[5:6], 3, v[5:6]
	s_waitcnt vmcnt(0)
	ds_load_b32 v8, v2 offset:4352
	v_add_co_u32 v2, s4, s41, v5
	v_add_co_ci_u32_e64 v3, s4, s59, v6, s4
	s_waitcnt lgkmcnt(1)
	v_fma_mix_f32 v5, v4, v7, v9 op_sel_hi:[0,1,0]
	v_fma_mix_f32 v6, v4, v7, v0 op_sel:[0,1,0] op_sel_hi:[0,1,0]
	s_waitcnt lgkmcnt(0)
	v_fma_mix_f32 v7, v4, v8, v10 op_sel_hi:[0,1,0]
	v_fma_mix_f32 v8, v4, v8, v1 op_sel:[0,1,0] op_sel_hi:[0,1,0]
	v_mov_b32_e32 v1, 0
	s_clause 0x1
	global_store_b64 v[2:3], v[5:6], off
	global_store_b64 v[2:3], v[7:8], off offset:256
.LBB24_67:                              ;   in Loop: Header=BB24_10 Depth=1
	s_or_b32 exec_lo, exec_lo, s5
	s_mov_b32 s5, -1
	s_mov_b32 s7, exec_lo
	v_cmpx_gt_i32_e32 0x47, v1
; %bb.68:                               ;   in Loop: Header=BB24_10 Depth=1
	v_cmp_eq_u32_e64 s4, 0, v1
	s_delay_alu instid0(VALU_DEP_1)
	s_or_not1_b32 s5, s4, exec_lo
; %bb.69:                               ;   in Loop: Header=BB24_10 Depth=1
	s_or_b32 exec_lo, exec_lo, s7
	s_delay_alu instid0(SALU_CYCLE_1)
	s_and_b32 exec_lo, exec_lo, s5
	s_cbranch_execz .LBB24_142
; %bb.70:                               ;   in Loop: Header=BB24_10 Depth=1
	scratch_load_b32 v0, off, off offset:252 ; 4-byte Folded Reload
	s_waitcnt vmcnt(0)
	v_add_nc_u32_e32 v2, s103, v0
	scratch_load_b64 v[0:1], off, off offset:232 ; 8-byte Folded Reload
	s_waitcnt vmcnt(0)
	v_mov_b32_e32 v1, 0x47
	v_cmp_gt_i32_e64 s4, s8, v2
	v_or_b32_e32 v0, s86, v0
	s_delay_alu instid0(VALU_DEP_1) | instskip(NEXT) | instid1(VALU_DEP_1)
	v_cmp_gt_i32_e64 s5, s33, v0
	s_and_b32 s4, s4, s5
	s_delay_alu instid0(SALU_CYCLE_1)
	s_and_saveexec_b32 s5, s4
	s_cbranch_execz .LBB24_72
; %bb.71:                               ;   in Loop: Header=BB24_10 Depth=1
	s_clause 0x1
	scratch_load_b32 v0, off, off offset:408
	scratch_load_b32 v7, off, off offset:412
	s_waitcnt vmcnt(1)
	v_add_nc_u32_e32 v3, 0, v0
	s_waitcnt vmcnt(0)
	ds_load_2addr_b32 v[0:1], v7 offset1:32
	ds_load_2addr_stride64_b32 v[3:4], v3 offset0:1 offset1:18
	scratch_load_b64 v[8:9], off, off offset:232 ; 8-byte Folded Reload
	ds_load_b32 v7, v7 offset:4352
	s_waitcnt lgkmcnt(1)
	v_fma_mix_f32 v10, v3, v1, 0 op_sel_hi:[0,1,0]
	v_fma_mix_f32 v1, v3, v1, 0 op_sel:[0,1,0] op_sel_hi:[0,1,0]
	s_waitcnt vmcnt(0)
	v_mad_u64_u32 v[5:6], null, v2, s9, v[8:9]
	scratch_load_b32 v2, off, off offset:76 ; 4-byte Folded Reload
	v_fma_mix_f32 v9, v3, v0, 0 op_sel_hi:[0,1,0]
	v_fma_mix_f32 v0, v3, v0, 0 op_sel:[0,1,0] op_sel_hi:[0,1,0]
	s_waitcnt vmcnt(0)
	v_lshl_add_u32 v5, v5, 6, v2
	scratch_load_b32 v2, off, off offset:416 ; 4-byte Folded Reload
	v_ashrrev_i32_e32 v6, 31, v5
	s_delay_alu instid0(VALU_DEP_1) | instskip(SKIP_3) | instid1(VALU_DEP_1)
	v_lshlrev_b64 v[5:6], 3, v[5:6]
	s_waitcnt vmcnt(0)
	ds_load_b32 v8, v2 offset:4352
	v_add_co_u32 v2, s4, s41, v5
	v_add_co_ci_u32_e64 v3, s4, s59, v6, s4
	s_waitcnt lgkmcnt(1)
	v_fma_mix_f32 v5, v4, v7, v9 op_sel_hi:[0,1,0]
	v_fma_mix_f32 v6, v4, v7, v0 op_sel:[0,1,0] op_sel_hi:[0,1,0]
	s_waitcnt lgkmcnt(0)
	v_fma_mix_f32 v7, v4, v8, v10 op_sel_hi:[0,1,0]
	v_fma_mix_f32 v8, v4, v8, v1 op_sel:[0,1,0] op_sel_hi:[0,1,0]
	v_mov_b32_e32 v1, 0
	s_clause 0x1
	global_store_b64 v[2:3], v[5:6], off
	global_store_b64 v[2:3], v[7:8], off offset:256
.LBB24_72:                              ;   in Loop: Header=BB24_10 Depth=1
	s_or_b32 exec_lo, exec_lo, s5
	s_mov_b32 s5, -1
	s_mov_b32 s7, exec_lo
	v_cmpx_gt_i32_e32 0x47, v1
; %bb.73:                               ;   in Loop: Header=BB24_10 Depth=1
	v_cmp_eq_u32_e64 s4, 0, v1
	s_delay_alu instid0(VALU_DEP_1)
	s_or_not1_b32 s5, s4, exec_lo
; %bb.74:                               ;   in Loop: Header=BB24_10 Depth=1
	s_or_b32 exec_lo, exec_lo, s7
	s_delay_alu instid0(SALU_CYCLE_1)
	s_and_b32 exec_lo, exec_lo, s5
	s_cbranch_execz .LBB24_142
; %bb.75:                               ;   in Loop: Header=BB24_10 Depth=1
	scratch_load_b32 v0, off, off offset:420 ; 4-byte Folded Reload
	s_waitcnt vmcnt(0)
	v_add_nc_u32_e32 v2, s103, v0
	scratch_load_b64 v[0:1], off, off offset:392 ; 8-byte Folded Reload
	s_waitcnt vmcnt(0)
	v_mov_b32_e32 v1, 0x47
	v_cmp_gt_i32_e64 s4, s8, v2
	v_or_b32_e32 v0, s86, v0
	s_delay_alu instid0(VALU_DEP_1) | instskip(NEXT) | instid1(VALU_DEP_1)
	v_cmp_gt_i32_e64 s5, s33, v0
	s_and_b32 s4, s4, s5
	s_delay_alu instid0(SALU_CYCLE_1)
	s_and_saveexec_b32 s5, s4
	s_cbranch_execz .LBB24_77
; %bb.76:                               ;   in Loop: Header=BB24_10 Depth=1
	s_clause 0x1
	scratch_load_b32 v0, off, off offset:432
	scratch_load_b32 v7, off, off offset:436
	s_waitcnt vmcnt(1)
	v_add_nc_u32_e32 v3, 0, v0
	s_waitcnt vmcnt(0)
	ds_load_2addr_b32 v[0:1], v7 offset1:32
	ds_load_2addr_stride64_b32 v[3:4], v3 offset0:1 offset1:18
	scratch_load_b64 v[8:9], off, off offset:392 ; 8-byte Folded Reload
	ds_load_b32 v7, v7 offset:4352
	s_waitcnt lgkmcnt(1)
	v_fma_mix_f32 v10, v3, v1, 0 op_sel_hi:[0,1,0]
	v_fma_mix_f32 v1, v3, v1, 0 op_sel:[0,1,0] op_sel_hi:[0,1,0]
	s_waitcnt vmcnt(0)
	v_mad_u64_u32 v[5:6], null, v2, s9, v[8:9]
	scratch_load_b32 v2, off, off offset:76 ; 4-byte Folded Reload
	v_fma_mix_f32 v9, v3, v0, 0 op_sel_hi:[0,1,0]
	v_fma_mix_f32 v0, v3, v0, 0 op_sel:[0,1,0] op_sel_hi:[0,1,0]
	s_waitcnt vmcnt(0)
	v_lshl_add_u32 v5, v5, 6, v2
	scratch_load_b32 v2, off, off offset:440 ; 4-byte Folded Reload
	v_ashrrev_i32_e32 v6, 31, v5
	s_delay_alu instid0(VALU_DEP_1) | instskip(SKIP_3) | instid1(VALU_DEP_1)
	v_lshlrev_b64 v[5:6], 3, v[5:6]
	s_waitcnt vmcnt(0)
	ds_load_b32 v8, v2 offset:4352
	v_add_co_u32 v2, s4, s41, v5
	v_add_co_ci_u32_e64 v3, s4, s59, v6, s4
	s_waitcnt lgkmcnt(1)
	v_fma_mix_f32 v5, v4, v7, v9 op_sel_hi:[0,1,0]
	v_fma_mix_f32 v6, v4, v7, v0 op_sel:[0,1,0] op_sel_hi:[0,1,0]
	s_waitcnt lgkmcnt(0)
	v_fma_mix_f32 v7, v4, v8, v10 op_sel_hi:[0,1,0]
	v_fma_mix_f32 v8, v4, v8, v1 op_sel:[0,1,0] op_sel_hi:[0,1,0]
	v_mov_b32_e32 v1, 0
	s_clause 0x1
	global_store_b64 v[2:3], v[5:6], off
	global_store_b64 v[2:3], v[7:8], off offset:256
.LBB24_77:                              ;   in Loop: Header=BB24_10 Depth=1
	s_or_b32 exec_lo, exec_lo, s5
	s_mov_b32 s5, -1
	s_mov_b32 s7, exec_lo
	v_cmpx_gt_i32_e32 0x47, v1
; %bb.78:                               ;   in Loop: Header=BB24_10 Depth=1
	v_cmp_eq_u32_e64 s4, 0, v1
	s_delay_alu instid0(VALU_DEP_1)
	s_or_not1_b32 s5, s4, exec_lo
; %bb.79:                               ;   in Loop: Header=BB24_10 Depth=1
	s_or_b32 exec_lo, exec_lo, s7
	s_delay_alu instid0(SALU_CYCLE_1)
	s_and_b32 exec_lo, exec_lo, s5
	s_cbranch_execz .LBB24_142
; %bb.80:                               ;   in Loop: Header=BB24_10 Depth=1
	scratch_load_b32 v0, off, off offset:444 ; 4-byte Folded Reload
	s_waitcnt vmcnt(0)
	v_add_nc_u32_e32 v2, s103, v0
	scratch_load_b64 v[0:1], off, off offset:424 ; 8-byte Folded Reload
	s_waitcnt vmcnt(0)
	v_mov_b32_e32 v1, 0x47
	v_cmp_gt_i32_e64 s4, s8, v2
	v_or_b32_e32 v0, s86, v0
	s_delay_alu instid0(VALU_DEP_1) | instskip(NEXT) | instid1(VALU_DEP_1)
	v_cmp_gt_i32_e64 s5, s33, v0
	s_and_b32 s4, s4, s5
	s_delay_alu instid0(SALU_CYCLE_1)
	s_and_saveexec_b32 s5, s4
	s_cbranch_execz .LBB24_82
; %bb.81:                               ;   in Loop: Header=BB24_10 Depth=1
	s_clause 0x1
	scratch_load_b32 v0, off, off offset:460
	scratch_load_b32 v7, off, off offset:464
	s_waitcnt vmcnt(1)
	v_add_nc_u32_e32 v3, 0, v0
	s_waitcnt vmcnt(0)
	ds_load_2addr_b32 v[0:1], v7 offset1:32
	ds_load_2addr_stride64_b32 v[3:4], v3 offset0:1 offset1:18
	scratch_load_b64 v[8:9], off, off offset:424 ; 8-byte Folded Reload
	ds_load_b32 v7, v7 offset:4352
	s_waitcnt lgkmcnt(1)
	v_fma_mix_f32 v10, v3, v1, 0 op_sel_hi:[0,1,0]
	v_fma_mix_f32 v1, v3, v1, 0 op_sel:[0,1,0] op_sel_hi:[0,1,0]
	s_waitcnt vmcnt(0)
	v_mad_u64_u32 v[5:6], null, v2, s9, v[8:9]
	scratch_load_b32 v2, off, off offset:76 ; 4-byte Folded Reload
	v_fma_mix_f32 v9, v3, v0, 0 op_sel_hi:[0,1,0]
	v_fma_mix_f32 v0, v3, v0, 0 op_sel:[0,1,0] op_sel_hi:[0,1,0]
	s_waitcnt vmcnt(0)
	v_lshl_add_u32 v5, v5, 6, v2
	scratch_load_b32 v2, off, off offset:468 ; 4-byte Folded Reload
	v_ashrrev_i32_e32 v6, 31, v5
	s_delay_alu instid0(VALU_DEP_1) | instskip(SKIP_3) | instid1(VALU_DEP_1)
	v_lshlrev_b64 v[5:6], 3, v[5:6]
	s_waitcnt vmcnt(0)
	ds_load_b32 v8, v2 offset:4352
	v_add_co_u32 v2, s4, s41, v5
	v_add_co_ci_u32_e64 v3, s4, s59, v6, s4
	s_waitcnt lgkmcnt(1)
	v_fma_mix_f32 v5, v4, v7, v9 op_sel_hi:[0,1,0]
	v_fma_mix_f32 v6, v4, v7, v0 op_sel:[0,1,0] op_sel_hi:[0,1,0]
	s_waitcnt lgkmcnt(0)
	v_fma_mix_f32 v7, v4, v8, v10 op_sel_hi:[0,1,0]
	v_fma_mix_f32 v8, v4, v8, v1 op_sel:[0,1,0] op_sel_hi:[0,1,0]
	v_mov_b32_e32 v1, 0
	s_clause 0x1
	global_store_b64 v[2:3], v[5:6], off
	global_store_b64 v[2:3], v[7:8], off offset:256
.LBB24_82:                              ;   in Loop: Header=BB24_10 Depth=1
	s_or_b32 exec_lo, exec_lo, s5
	s_mov_b32 s5, -1
	s_mov_b32 s7, exec_lo
	v_cmpx_gt_i32_e32 0x47, v1
; %bb.83:                               ;   in Loop: Header=BB24_10 Depth=1
	v_cmp_eq_u32_e64 s4, 0, v1
	s_delay_alu instid0(VALU_DEP_1)
	s_or_not1_b32 s5, s4, exec_lo
; %bb.84:                               ;   in Loop: Header=BB24_10 Depth=1
	s_or_b32 exec_lo, exec_lo, s7
	s_delay_alu instid0(SALU_CYCLE_1)
	s_and_b32 exec_lo, exec_lo, s5
	s_cbranch_execz .LBB24_142
; %bb.85:                               ;   in Loop: Header=BB24_10 Depth=1
	scratch_load_b32 v0, off, off offset:472 ; 4-byte Folded Reload
	s_waitcnt vmcnt(0)
	v_add_nc_u32_e32 v2, s103, v0
	scratch_load_b64 v[0:1], off, off offset:452 ; 8-byte Folded Reload
	s_waitcnt vmcnt(0)
	v_mov_b32_e32 v1, 0x47
	v_cmp_gt_i32_e64 s4, s8, v2
	v_or_b32_e32 v0, s86, v0
	s_delay_alu instid0(VALU_DEP_1) | instskip(NEXT) | instid1(VALU_DEP_1)
	v_cmp_gt_i32_e64 s5, s33, v0
	s_and_b32 s4, s4, s5
	s_delay_alu instid0(SALU_CYCLE_1)
	s_and_saveexec_b32 s5, s4
	s_cbranch_execz .LBB24_87
; %bb.86:                               ;   in Loop: Header=BB24_10 Depth=1
	s_clause 0x1
	scratch_load_b32 v0, off, off offset:520
	scratch_load_b32 v7, off, off offset:524
	s_waitcnt vmcnt(1)
	v_add_nc_u32_e32 v3, 0, v0
	s_waitcnt vmcnt(0)
	ds_load_2addr_b32 v[0:1], v7 offset1:32
	ds_load_2addr_stride64_b32 v[3:4], v3 offset0:1 offset1:18
	scratch_load_b64 v[8:9], off, off offset:452 ; 8-byte Folded Reload
	ds_load_b32 v7, v7 offset:4352
	s_waitcnt lgkmcnt(1)
	v_fma_mix_f32 v10, v3, v1, 0 op_sel_hi:[0,1,0]
	v_fma_mix_f32 v1, v3, v1, 0 op_sel:[0,1,0] op_sel_hi:[0,1,0]
	s_waitcnt vmcnt(0)
	v_mad_u64_u32 v[5:6], null, v2, s9, v[8:9]
	scratch_load_b32 v2, off, off offset:76 ; 4-byte Folded Reload
	v_fma_mix_f32 v9, v3, v0, 0 op_sel_hi:[0,1,0]
	v_fma_mix_f32 v0, v3, v0, 0 op_sel:[0,1,0] op_sel_hi:[0,1,0]
	s_waitcnt vmcnt(0)
	v_lshl_add_u32 v5, v5, 6, v2
	scratch_load_b32 v2, off, off offset:528 ; 4-byte Folded Reload
	v_ashrrev_i32_e32 v6, 31, v5
	s_delay_alu instid0(VALU_DEP_1) | instskip(SKIP_3) | instid1(VALU_DEP_1)
	v_lshlrev_b64 v[5:6], 3, v[5:6]
	s_waitcnt vmcnt(0)
	ds_load_b32 v8, v2 offset:4352
	v_add_co_u32 v2, s4, s41, v5
	v_add_co_ci_u32_e64 v3, s4, s59, v6, s4
	s_waitcnt lgkmcnt(1)
	v_fma_mix_f32 v5, v4, v7, v9 op_sel_hi:[0,1,0]
	v_fma_mix_f32 v6, v4, v7, v0 op_sel:[0,1,0] op_sel_hi:[0,1,0]
	s_waitcnt lgkmcnt(0)
	v_fma_mix_f32 v7, v4, v8, v10 op_sel_hi:[0,1,0]
	v_fma_mix_f32 v8, v4, v8, v1 op_sel:[0,1,0] op_sel_hi:[0,1,0]
	v_mov_b32_e32 v1, 0
	s_clause 0x1
	global_store_b64 v[2:3], v[5:6], off
	global_store_b64 v[2:3], v[7:8], off offset:256
.LBB24_87:                              ;   in Loop: Header=BB24_10 Depth=1
	s_or_b32 exec_lo, exec_lo, s5
	s_mov_b32 s5, -1
	s_mov_b32 s7, exec_lo
	v_cmpx_gt_i32_e32 0x47, v1
; %bb.88:                               ;   in Loop: Header=BB24_10 Depth=1
	v_cmp_eq_u32_e64 s4, 0, v1
	s_delay_alu instid0(VALU_DEP_1)
	s_or_not1_b32 s5, s4, exec_lo
; %bb.89:                               ;   in Loop: Header=BB24_10 Depth=1
	s_or_b32 exec_lo, exec_lo, s7
	s_delay_alu instid0(SALU_CYCLE_1)
	s_and_b32 exec_lo, exec_lo, s5
	s_cbranch_execz .LBB24_142
; %bb.90:                               ;   in Loop: Header=BB24_10 Depth=1
	scratch_load_b32 v0, off, off offset:532 ; 4-byte Folded Reload
	s_waitcnt vmcnt(0)
	v_add_nc_u32_e32 v2, s103, v0
	scratch_load_b64 v[0:1], off, off offset:512 ; 8-byte Folded Reload
	s_waitcnt vmcnt(0)
	v_mov_b32_e32 v1, 0x47
	v_cmp_gt_i32_e64 s4, s8, v2
	v_or_b32_e32 v0, s86, v0
	s_delay_alu instid0(VALU_DEP_1) | instskip(NEXT) | instid1(VALU_DEP_1)
	v_cmp_gt_i32_e64 s5, s33, v0
	s_and_b32 s4, s4, s5
	s_delay_alu instid0(SALU_CYCLE_1)
	s_and_saveexec_b32 s5, s4
	s_cbranch_execz .LBB24_92
; %bb.91:                               ;   in Loop: Header=BB24_10 Depth=1
	s_clause 0x1
	scratch_load_b32 v0, off, off offset:544
	scratch_load_b32 v7, off, off offset:548
	s_waitcnt vmcnt(1)
	v_add_nc_u32_e32 v3, 0, v0
	s_waitcnt vmcnt(0)
	ds_load_2addr_b32 v[0:1], v7 offset1:32
	ds_load_2addr_stride64_b32 v[3:4], v3 offset0:1 offset1:18
	scratch_load_b64 v[8:9], off, off offset:512 ; 8-byte Folded Reload
	ds_load_b32 v7, v7 offset:4352
	s_waitcnt lgkmcnt(1)
	v_fma_mix_f32 v10, v3, v1, 0 op_sel_hi:[0,1,0]
	v_fma_mix_f32 v1, v3, v1, 0 op_sel:[0,1,0] op_sel_hi:[0,1,0]
	s_waitcnt vmcnt(0)
	v_mad_u64_u32 v[5:6], null, v2, s9, v[8:9]
	scratch_load_b32 v2, off, off offset:76 ; 4-byte Folded Reload
	v_fma_mix_f32 v9, v3, v0, 0 op_sel_hi:[0,1,0]
	v_fma_mix_f32 v0, v3, v0, 0 op_sel:[0,1,0] op_sel_hi:[0,1,0]
	s_waitcnt vmcnt(0)
	v_lshl_add_u32 v5, v5, 6, v2
	scratch_load_b32 v2, off, off offset:552 ; 4-byte Folded Reload
	v_ashrrev_i32_e32 v6, 31, v5
	s_delay_alu instid0(VALU_DEP_1) | instskip(SKIP_3) | instid1(VALU_DEP_1)
	v_lshlrev_b64 v[5:6], 3, v[5:6]
	s_waitcnt vmcnt(0)
	ds_load_b32 v8, v2 offset:4352
	v_add_co_u32 v2, s4, s41, v5
	v_add_co_ci_u32_e64 v3, s4, s59, v6, s4
	s_waitcnt lgkmcnt(1)
	v_fma_mix_f32 v5, v4, v7, v9 op_sel_hi:[0,1,0]
	v_fma_mix_f32 v6, v4, v7, v0 op_sel:[0,1,0] op_sel_hi:[0,1,0]
	s_waitcnt lgkmcnt(0)
	v_fma_mix_f32 v7, v4, v8, v10 op_sel_hi:[0,1,0]
	v_fma_mix_f32 v8, v4, v8, v1 op_sel:[0,1,0] op_sel_hi:[0,1,0]
	v_mov_b32_e32 v1, 0
	s_clause 0x1
	global_store_b64 v[2:3], v[5:6], off
	global_store_b64 v[2:3], v[7:8], off offset:256
.LBB24_92:                              ;   in Loop: Header=BB24_10 Depth=1
	s_or_b32 exec_lo, exec_lo, s5
	s_mov_b32 s5, -1
	s_mov_b32 s7, exec_lo
	v_cmpx_gt_i32_e32 0x47, v1
; %bb.93:                               ;   in Loop: Header=BB24_10 Depth=1
	v_cmp_eq_u32_e64 s4, 0, v1
	s_delay_alu instid0(VALU_DEP_1)
	s_or_not1_b32 s5, s4, exec_lo
; %bb.94:                               ;   in Loop: Header=BB24_10 Depth=1
	s_or_b32 exec_lo, exec_lo, s7
	s_delay_alu instid0(SALU_CYCLE_1)
	s_and_b32 exec_lo, exec_lo, s5
	s_cbranch_execz .LBB24_142
; %bb.95:                               ;   in Loop: Header=BB24_10 Depth=1
	scratch_load_b32 v0, off, off offset:556 ; 4-byte Folded Reload
	s_waitcnt vmcnt(0)
	v_add_nc_u32_e32 v2, s103, v0
	scratch_load_b64 v[0:1], off, off offset:536 ; 8-byte Folded Reload
	s_waitcnt vmcnt(0)
	v_mov_b32_e32 v1, 0x47
	v_cmp_gt_i32_e64 s4, s8, v2
	v_or_b32_e32 v0, s86, v0
	s_delay_alu instid0(VALU_DEP_1) | instskip(NEXT) | instid1(VALU_DEP_1)
	v_cmp_gt_i32_e64 s5, s33, v0
	s_and_b32 s4, s4, s5
	s_delay_alu instid0(SALU_CYCLE_1)
	s_and_saveexec_b32 s5, s4
	s_cbranch_execz .LBB24_97
; %bb.96:                               ;   in Loop: Header=BB24_10 Depth=1
	s_clause 0x1
	scratch_load_b32 v0, off, off offset:568
	scratch_load_b32 v7, off, off offset:572
	s_waitcnt vmcnt(1)
	v_add_nc_u32_e32 v3, 0, v0
	s_waitcnt vmcnt(0)
	ds_load_2addr_b32 v[0:1], v7 offset1:32
	ds_load_2addr_stride64_b32 v[3:4], v3 offset0:1 offset1:18
	scratch_load_b64 v[8:9], off, off offset:536 ; 8-byte Folded Reload
	ds_load_b32 v7, v7 offset:4352
	s_waitcnt lgkmcnt(1)
	v_fma_mix_f32 v10, v3, v1, 0 op_sel_hi:[0,1,0]
	v_fma_mix_f32 v1, v3, v1, 0 op_sel:[0,1,0] op_sel_hi:[0,1,0]
	s_waitcnt vmcnt(0)
	v_mad_u64_u32 v[5:6], null, v2, s9, v[8:9]
	scratch_load_b32 v2, off, off offset:76 ; 4-byte Folded Reload
	v_fma_mix_f32 v9, v3, v0, 0 op_sel_hi:[0,1,0]
	v_fma_mix_f32 v0, v3, v0, 0 op_sel:[0,1,0] op_sel_hi:[0,1,0]
	s_waitcnt vmcnt(0)
	v_lshl_add_u32 v5, v5, 6, v2
	scratch_load_b32 v2, off, off offset:576 ; 4-byte Folded Reload
	v_ashrrev_i32_e32 v6, 31, v5
	s_delay_alu instid0(VALU_DEP_1) | instskip(SKIP_3) | instid1(VALU_DEP_1)
	v_lshlrev_b64 v[5:6], 3, v[5:6]
	s_waitcnt vmcnt(0)
	ds_load_b32 v8, v2 offset:4352
	v_add_co_u32 v2, s4, s41, v5
	v_add_co_ci_u32_e64 v3, s4, s59, v6, s4
	s_waitcnt lgkmcnt(1)
	v_fma_mix_f32 v5, v4, v7, v9 op_sel_hi:[0,1,0]
	v_fma_mix_f32 v6, v4, v7, v0 op_sel:[0,1,0] op_sel_hi:[0,1,0]
	s_waitcnt lgkmcnt(0)
	v_fma_mix_f32 v7, v4, v8, v10 op_sel_hi:[0,1,0]
	v_fma_mix_f32 v8, v4, v8, v1 op_sel:[0,1,0] op_sel_hi:[0,1,0]
	v_mov_b32_e32 v1, 0
	s_clause 0x1
	global_store_b64 v[2:3], v[5:6], off
	global_store_b64 v[2:3], v[7:8], off offset:256
.LBB24_97:                              ;   in Loop: Header=BB24_10 Depth=1
	s_or_b32 exec_lo, exec_lo, s5
	s_mov_b32 s5, -1
	s_mov_b32 s7, exec_lo
	v_cmpx_gt_i32_e32 0x47, v1
; %bb.98:                               ;   in Loop: Header=BB24_10 Depth=1
	v_cmp_eq_u32_e64 s4, 0, v1
	s_delay_alu instid0(VALU_DEP_1)
	s_or_not1_b32 s5, s4, exec_lo
; %bb.99:                               ;   in Loop: Header=BB24_10 Depth=1
	s_or_b32 exec_lo, exec_lo, s7
	s_delay_alu instid0(SALU_CYCLE_1)
	s_and_b32 exec_lo, exec_lo, s5
	s_cbranch_execz .LBB24_142
; %bb.100:                              ;   in Loop: Header=BB24_10 Depth=1
	scratch_load_b32 v0, off, off offset:580 ; 4-byte Folded Reload
	s_waitcnt vmcnt(0)
	v_add_nc_u32_e32 v2, s103, v0
	scratch_load_b64 v[0:1], off, off offset:560 ; 8-byte Folded Reload
	s_waitcnt vmcnt(0)
	v_mov_b32_e32 v1, 0x47
	v_cmp_gt_i32_e64 s4, s8, v2
	v_or_b32_e32 v0, s86, v0
	s_delay_alu instid0(VALU_DEP_1) | instskip(NEXT) | instid1(VALU_DEP_1)
	v_cmp_gt_i32_e64 s5, s33, v0
	s_and_b32 s4, s4, s5
	s_delay_alu instid0(SALU_CYCLE_1)
	s_and_saveexec_b32 s5, s4
	s_cbranch_execz .LBB24_102
; %bb.101:                              ;   in Loop: Header=BB24_10 Depth=1
	s_clause 0x1
	scratch_load_b32 v0, off, off offset:584
	scratch_load_b32 v7, off, off offset:588
	s_waitcnt vmcnt(1)
	v_add_nc_u32_e32 v3, 0, v0
	s_waitcnt vmcnt(0)
	ds_load_2addr_b32 v[0:1], v7 offset1:32
	ds_load_2addr_stride64_b32 v[3:4], v3 offset0:1 offset1:18
	scratch_load_b64 v[8:9], off, off offset:560 ; 8-byte Folded Reload
	ds_load_b32 v7, v7 offset:4352
	s_waitcnt lgkmcnt(1)
	v_fma_mix_f32 v10, v3, v1, 0 op_sel_hi:[0,1,0]
	v_fma_mix_f32 v1, v3, v1, 0 op_sel:[0,1,0] op_sel_hi:[0,1,0]
	s_waitcnt vmcnt(0)
	v_mad_u64_u32 v[5:6], null, v2, s9, v[8:9]
	scratch_load_b32 v2, off, off offset:76 ; 4-byte Folded Reload
	v_fma_mix_f32 v9, v3, v0, 0 op_sel_hi:[0,1,0]
	v_fma_mix_f32 v0, v3, v0, 0 op_sel:[0,1,0] op_sel_hi:[0,1,0]
	s_waitcnt vmcnt(0)
	v_lshl_add_u32 v5, v5, 6, v2
	scratch_load_b32 v2, off, off offset:592 ; 4-byte Folded Reload
	v_ashrrev_i32_e32 v6, 31, v5
	s_delay_alu instid0(VALU_DEP_1) | instskip(SKIP_3) | instid1(VALU_DEP_1)
	v_lshlrev_b64 v[5:6], 3, v[5:6]
	s_waitcnt vmcnt(0)
	ds_load_b32 v8, v2 offset:4352
	v_add_co_u32 v2, s4, s41, v5
	v_add_co_ci_u32_e64 v3, s4, s59, v6, s4
	s_waitcnt lgkmcnt(1)
	v_fma_mix_f32 v5, v4, v7, v9 op_sel_hi:[0,1,0]
	v_fma_mix_f32 v6, v4, v7, v0 op_sel:[0,1,0] op_sel_hi:[0,1,0]
	s_waitcnt lgkmcnt(0)
	v_fma_mix_f32 v7, v4, v8, v10 op_sel_hi:[0,1,0]
	v_fma_mix_f32 v8, v4, v8, v1 op_sel:[0,1,0] op_sel_hi:[0,1,0]
	v_mov_b32_e32 v1, 0
	s_clause 0x1
	global_store_b64 v[2:3], v[5:6], off
	global_store_b64 v[2:3], v[7:8], off offset:256
.LBB24_102:                             ;   in Loop: Header=BB24_10 Depth=1
	s_or_b32 exec_lo, exec_lo, s5
	s_mov_b32 s5, -1
	s_mov_b32 s7, exec_lo
	v_cmpx_gt_i32_e32 0x47, v1
; %bb.103:                              ;   in Loop: Header=BB24_10 Depth=1
	v_cmp_eq_u32_e64 s4, 0, v1
	s_delay_alu instid0(VALU_DEP_1)
	s_or_not1_b32 s5, s4, exec_lo
; %bb.104:                              ;   in Loop: Header=BB24_10 Depth=1
	s_or_b32 exec_lo, exec_lo, s7
	s_delay_alu instid0(SALU_CYCLE_1)
	s_and_b32 exec_lo, exec_lo, s5
	s_cbranch_execz .LBB24_142
; %bb.105:                              ;   in Loop: Header=BB24_10 Depth=1
	scratch_load_b32 v0, off, off offset:596 ; 4-byte Folded Reload
	s_waitcnt vmcnt(0)
	v_dual_mov_b32 v1, 0x47 :: v_dual_add_nc_u32 v2, s103, v0
	s_delay_alu instid0(VALU_DEP_1) | instskip(NEXT) | instid1(VALU_DEP_1)
	v_cmp_gt_i32_e64 s4, s8, v2
	s_and_b32 s5, s4, vcc_lo
	s_delay_alu instid0(SALU_CYCLE_1)
	s_and_saveexec_b32 s4, s5
	s_cbranch_execz .LBB24_107
; %bb.106:                              ;   in Loop: Header=BB24_10 Depth=1
	s_clause 0x1
	scratch_load_b32 v0, off, off offset:608
	scratch_load_b32 v7, off, off offset:612
	s_waitcnt vmcnt(1)
	v_add_nc_u32_e32 v3, 0, v0
	s_waitcnt vmcnt(0)
	ds_load_2addr_b32 v[0:1], v7 offset1:32
	ds_load_2addr_stride64_b32 v[3:4], v3 offset0:1 offset1:18
	scratch_load_b64 v[8:9], off, off offset:192 ; 8-byte Folded Reload
	ds_load_b32 v7, v7 offset:4352
	s_waitcnt lgkmcnt(1)
	v_fma_mix_f32 v10, v3, v1, 0 op_sel_hi:[0,1,0]
	v_fma_mix_f32 v1, v3, v1, 0 op_sel:[0,1,0] op_sel_hi:[0,1,0]
	s_waitcnt vmcnt(0)
	v_mad_u64_u32 v[5:6], null, v2, s9, v[8:9]
	scratch_load_b32 v2, off, off offset:76 ; 4-byte Folded Reload
	v_fma_mix_f32 v9, v3, v0, 0 op_sel_hi:[0,1,0]
	v_fma_mix_f32 v0, v3, v0, 0 op_sel:[0,1,0] op_sel_hi:[0,1,0]
	s_waitcnt vmcnt(0)
	v_lshl_add_u32 v5, v5, 6, v2
	scratch_load_b32 v2, off, off offset:616 ; 4-byte Folded Reload
	v_ashrrev_i32_e32 v6, 31, v5
	s_delay_alu instid0(VALU_DEP_1)
	v_lshlrev_b64 v[5:6], 3, v[5:6]
	s_waitcnt vmcnt(0)
	ds_load_b32 v8, v2 offset:4352
	v_add_co_u32 v2, vcc_lo, s41, v5
	v_add_co_ci_u32_e32 v3, vcc_lo, s59, v6, vcc_lo
	s_waitcnt lgkmcnt(1)
	v_fma_mix_f32 v5, v4, v7, v9 op_sel_hi:[0,1,0]
	v_fma_mix_f32 v6, v4, v7, v0 op_sel:[0,1,0] op_sel_hi:[0,1,0]
	s_waitcnt lgkmcnt(0)
	v_fma_mix_f32 v7, v4, v8, v10 op_sel_hi:[0,1,0]
	v_fma_mix_f32 v8, v4, v8, v1 op_sel:[0,1,0] op_sel_hi:[0,1,0]
	v_mov_b32_e32 v1, 0
	s_clause 0x1
	global_store_b64 v[2:3], v[5:6], off
	global_store_b64 v[2:3], v[7:8], off offset:256
.LBB24_107:                             ;   in Loop: Header=BB24_10 Depth=1
	s_or_b32 exec_lo, exec_lo, s4
	s_mov_b32 s4, -1
	s_mov_b32 s5, exec_lo
	v_cmpx_gt_i32_e32 0x47, v1
; %bb.108:                              ;   in Loop: Header=BB24_10 Depth=1
	v_cmp_eq_u32_e32 vcc_lo, 0, v1
	s_or_not1_b32 s4, vcc_lo, exec_lo
; %bb.109:                              ;   in Loop: Header=BB24_10 Depth=1
	s_or_b32 exec_lo, exec_lo, s5
	s_delay_alu instid0(SALU_CYCLE_1)
	s_and_b32 exec_lo, exec_lo, s4
	s_cbranch_execz .LBB24_142
; %bb.110:                              ;   in Loop: Header=BB24_10 Depth=1
	scratch_load_b32 v0, off, off offset:620 ; 4-byte Folded Reload
	s_waitcnt vmcnt(0)
	v_add_nc_u32_e32 v2, s103, v0
	scratch_load_b64 v[0:1], off, off offset:600 ; 8-byte Folded Reload
	s_waitcnt vmcnt(0)
	v_mov_b32_e32 v1, 0x47
	v_cmp_gt_i32_e32 vcc_lo, s8, v2
	v_or_b32_e32 v0, s86, v0
	s_delay_alu instid0(VALU_DEP_1) | instskip(NEXT) | instid1(VALU_DEP_1)
	v_cmp_gt_i32_e64 s4, s33, v0
	s_and_b32 s5, vcc_lo, s4
	s_delay_alu instid0(SALU_CYCLE_1)
	s_and_saveexec_b32 s4, s5
	s_cbranch_execz .LBB24_112
; %bb.111:                              ;   in Loop: Header=BB24_10 Depth=1
	s_clause 0x1
	scratch_load_b32 v0, off, off offset:632
	scratch_load_b32 v7, off, off offset:636
	s_waitcnt vmcnt(1)
	v_add_nc_u32_e32 v3, 0, v0
	s_waitcnt vmcnt(0)
	ds_load_2addr_b32 v[0:1], v7 offset1:32
	ds_load_2addr_stride64_b32 v[3:4], v3 offset0:1 offset1:18
	scratch_load_b64 v[8:9], off, off offset:600 ; 8-byte Folded Reload
	ds_load_b32 v7, v7 offset:4352
	s_waitcnt lgkmcnt(1)
	v_fma_mix_f32 v10, v3, v1, 0 op_sel_hi:[0,1,0]
	v_fma_mix_f32 v1, v3, v1, 0 op_sel:[0,1,0] op_sel_hi:[0,1,0]
	s_waitcnt vmcnt(0)
	v_mad_u64_u32 v[5:6], null, v2, s9, v[8:9]
	scratch_load_b32 v2, off, off offset:76 ; 4-byte Folded Reload
	v_fma_mix_f32 v9, v3, v0, 0 op_sel_hi:[0,1,0]
	v_fma_mix_f32 v0, v3, v0, 0 op_sel:[0,1,0] op_sel_hi:[0,1,0]
	s_waitcnt vmcnt(0)
	v_lshl_add_u32 v5, v5, 6, v2
	scratch_load_b32 v2, off, off offset:640 ; 4-byte Folded Reload
	v_ashrrev_i32_e32 v6, 31, v5
	s_delay_alu instid0(VALU_DEP_1)
	v_lshlrev_b64 v[5:6], 3, v[5:6]
	s_waitcnt vmcnt(0)
	ds_load_b32 v8, v2 offset:4352
	v_add_co_u32 v2, vcc_lo, s41, v5
	v_add_co_ci_u32_e32 v3, vcc_lo, s59, v6, vcc_lo
	s_waitcnt lgkmcnt(1)
	v_fma_mix_f32 v5, v4, v7, v9 op_sel_hi:[0,1,0]
	v_fma_mix_f32 v6, v4, v7, v0 op_sel:[0,1,0] op_sel_hi:[0,1,0]
	s_waitcnt lgkmcnt(0)
	v_fma_mix_f32 v7, v4, v8, v10 op_sel_hi:[0,1,0]
	v_fma_mix_f32 v8, v4, v8, v1 op_sel:[0,1,0] op_sel_hi:[0,1,0]
	v_mov_b32_e32 v1, 0
	s_clause 0x1
	global_store_b64 v[2:3], v[5:6], off
	global_store_b64 v[2:3], v[7:8], off offset:256
.LBB24_112:                             ;   in Loop: Header=BB24_10 Depth=1
	s_or_b32 exec_lo, exec_lo, s4
	s_mov_b32 s4, -1
	s_mov_b32 s5, exec_lo
	v_cmpx_gt_i32_e32 0x47, v1
; %bb.113:                              ;   in Loop: Header=BB24_10 Depth=1
	v_cmp_eq_u32_e32 vcc_lo, 0, v1
	s_or_not1_b32 s4, vcc_lo, exec_lo
; %bb.114:                              ;   in Loop: Header=BB24_10 Depth=1
	s_or_b32 exec_lo, exec_lo, s5
	s_delay_alu instid0(SALU_CYCLE_1)
	s_and_b32 exec_lo, exec_lo, s4
	s_cbranch_execz .LBB24_142
; %bb.115:                              ;   in Loop: Header=BB24_10 Depth=1
	scratch_load_b32 v0, off, off offset:644 ; 4-byte Folded Reload
	s_waitcnt vmcnt(0)
	v_add_nc_u32_e32 v2, s103, v0
	scratch_load_b64 v[0:1], off, off offset:624 ; 8-byte Folded Reload
	s_waitcnt vmcnt(0)
	v_mov_b32_e32 v1, 0x47
	v_cmp_gt_i32_e32 vcc_lo, s8, v2
	v_or_b32_e32 v0, s86, v0
	s_delay_alu instid0(VALU_DEP_1) | instskip(NEXT) | instid1(VALU_DEP_1)
	v_cmp_gt_i32_e64 s4, s33, v0
	s_and_b32 s5, vcc_lo, s4
	s_delay_alu instid0(SALU_CYCLE_1)
	s_and_saveexec_b32 s4, s5
	s_cbranch_execz .LBB24_117
; %bb.116:                              ;   in Loop: Header=BB24_10 Depth=1
	s_clause 0x1
	scratch_load_b32 v0, off, off offset:656
	scratch_load_b32 v7, off, off offset:660
	s_waitcnt vmcnt(1)
	v_add_nc_u32_e32 v3, 0, v0
	s_waitcnt vmcnt(0)
	ds_load_2addr_b32 v[0:1], v7 offset1:32
	ds_load_2addr_stride64_b32 v[3:4], v3 offset0:1 offset1:18
	scratch_load_b64 v[8:9], off, off offset:624 ; 8-byte Folded Reload
	ds_load_b32 v7, v7 offset:4352
	s_waitcnt lgkmcnt(1)
	v_fma_mix_f32 v10, v3, v1, 0 op_sel_hi:[0,1,0]
	v_fma_mix_f32 v1, v3, v1, 0 op_sel:[0,1,0] op_sel_hi:[0,1,0]
	s_waitcnt vmcnt(0)
	v_mad_u64_u32 v[5:6], null, v2, s9, v[8:9]
	scratch_load_b32 v2, off, off offset:76 ; 4-byte Folded Reload
	v_fma_mix_f32 v9, v3, v0, 0 op_sel_hi:[0,1,0]
	v_fma_mix_f32 v0, v3, v0, 0 op_sel:[0,1,0] op_sel_hi:[0,1,0]
	s_waitcnt vmcnt(0)
	v_lshl_add_u32 v5, v5, 6, v2
	scratch_load_b32 v2, off, off offset:664 ; 4-byte Folded Reload
	v_ashrrev_i32_e32 v6, 31, v5
	s_delay_alu instid0(VALU_DEP_1)
	v_lshlrev_b64 v[5:6], 3, v[5:6]
	s_waitcnt vmcnt(0)
	ds_load_b32 v8, v2 offset:4352
	v_add_co_u32 v2, vcc_lo, s41, v5
	v_add_co_ci_u32_e32 v3, vcc_lo, s59, v6, vcc_lo
	s_waitcnt lgkmcnt(1)
	v_fma_mix_f32 v5, v4, v7, v9 op_sel_hi:[0,1,0]
	v_fma_mix_f32 v6, v4, v7, v0 op_sel:[0,1,0] op_sel_hi:[0,1,0]
	s_waitcnt lgkmcnt(0)
	v_fma_mix_f32 v7, v4, v8, v10 op_sel_hi:[0,1,0]
	v_fma_mix_f32 v8, v4, v8, v1 op_sel:[0,1,0] op_sel_hi:[0,1,0]
	v_mov_b32_e32 v1, 0
	s_clause 0x1
	global_store_b64 v[2:3], v[5:6], off
	global_store_b64 v[2:3], v[7:8], off offset:256
.LBB24_117:                             ;   in Loop: Header=BB24_10 Depth=1
	s_or_b32 exec_lo, exec_lo, s4
	s_mov_b32 s4, -1
	s_mov_b32 s5, exec_lo
	v_cmpx_gt_i32_e32 0x47, v1
; %bb.118:                              ;   in Loop: Header=BB24_10 Depth=1
	v_cmp_eq_u32_e32 vcc_lo, 0, v1
	s_or_not1_b32 s4, vcc_lo, exec_lo
; %bb.119:                              ;   in Loop: Header=BB24_10 Depth=1
	s_or_b32 exec_lo, exec_lo, s5
	s_delay_alu instid0(SALU_CYCLE_1)
	s_and_b32 exec_lo, exec_lo, s4
	s_cbranch_execz .LBB24_142
; %bb.120:                              ;   in Loop: Header=BB24_10 Depth=1
	scratch_load_b32 v0, off, off offset:668 ; 4-byte Folded Reload
	s_waitcnt vmcnt(0)
	v_add_nc_u32_e32 v2, s103, v0
	scratch_load_b64 v[0:1], off, off offset:648 ; 8-byte Folded Reload
	s_waitcnt vmcnt(0)
	v_mov_b32_e32 v1, 0x47
	v_cmp_gt_i32_e32 vcc_lo, s8, v2
	v_or_b32_e32 v0, s86, v0
	s_delay_alu instid0(VALU_DEP_1) | instskip(NEXT) | instid1(VALU_DEP_1)
	v_cmp_gt_i32_e64 s4, s33, v0
	s_and_b32 s5, vcc_lo, s4
	s_delay_alu instid0(SALU_CYCLE_1)
	s_and_saveexec_b32 s4, s5
	s_cbranch_execz .LBB24_122
; %bb.121:                              ;   in Loop: Header=BB24_10 Depth=1
	s_clause 0x1
	scratch_load_b32 v0, off, off offset:680
	scratch_load_b32 v7, off, off offset:684
	s_waitcnt vmcnt(1)
	v_add_nc_u32_e32 v3, 0, v0
	s_waitcnt vmcnt(0)
	ds_load_2addr_b32 v[0:1], v7 offset1:32
	ds_load_2addr_stride64_b32 v[3:4], v3 offset0:1 offset1:18
	scratch_load_b64 v[8:9], off, off offset:648 ; 8-byte Folded Reload
	ds_load_b32 v7, v7 offset:4352
	s_waitcnt lgkmcnt(1)
	v_fma_mix_f32 v10, v3, v1, 0 op_sel_hi:[0,1,0]
	v_fma_mix_f32 v1, v3, v1, 0 op_sel:[0,1,0] op_sel_hi:[0,1,0]
	s_waitcnt vmcnt(0)
	v_mad_u64_u32 v[5:6], null, v2, s9, v[8:9]
	scratch_load_b32 v2, off, off offset:76 ; 4-byte Folded Reload
	v_fma_mix_f32 v9, v3, v0, 0 op_sel_hi:[0,1,0]
	v_fma_mix_f32 v0, v3, v0, 0 op_sel:[0,1,0] op_sel_hi:[0,1,0]
	s_waitcnt vmcnt(0)
	v_lshl_add_u32 v5, v5, 6, v2
	scratch_load_b32 v2, off, off offset:688 ; 4-byte Folded Reload
	v_ashrrev_i32_e32 v6, 31, v5
	s_delay_alu instid0(VALU_DEP_1)
	v_lshlrev_b64 v[5:6], 3, v[5:6]
	s_waitcnt vmcnt(0)
	ds_load_b32 v8, v2 offset:4352
	v_add_co_u32 v2, vcc_lo, s41, v5
	v_add_co_ci_u32_e32 v3, vcc_lo, s59, v6, vcc_lo
	s_waitcnt lgkmcnt(1)
	v_fma_mix_f32 v5, v4, v7, v9 op_sel_hi:[0,1,0]
	v_fma_mix_f32 v6, v4, v7, v0 op_sel:[0,1,0] op_sel_hi:[0,1,0]
	s_waitcnt lgkmcnt(0)
	v_fma_mix_f32 v7, v4, v8, v10 op_sel_hi:[0,1,0]
	v_fma_mix_f32 v8, v4, v8, v1 op_sel:[0,1,0] op_sel_hi:[0,1,0]
	v_mov_b32_e32 v1, 0
	s_clause 0x1
	global_store_b64 v[2:3], v[5:6], off
	global_store_b64 v[2:3], v[7:8], off offset:256
.LBB24_122:                             ;   in Loop: Header=BB24_10 Depth=1
	s_or_b32 exec_lo, exec_lo, s4
	s_mov_b32 s4, -1
	s_mov_b32 s5, exec_lo
	v_cmpx_gt_i32_e32 0x47, v1
; %bb.123:                              ;   in Loop: Header=BB24_10 Depth=1
	v_cmp_eq_u32_e32 vcc_lo, 0, v1
	s_or_not1_b32 s4, vcc_lo, exec_lo
; %bb.124:                              ;   in Loop: Header=BB24_10 Depth=1
	s_or_b32 exec_lo, exec_lo, s5
	s_delay_alu instid0(SALU_CYCLE_1)
	s_and_b32 exec_lo, exec_lo, s4
	s_cbranch_execz .LBB24_142
; %bb.125:                              ;   in Loop: Header=BB24_10 Depth=1
	scratch_load_b32 v0, off, off offset:692 ; 4-byte Folded Reload
	s_waitcnt vmcnt(0)
	v_add_nc_u32_e32 v2, s103, v0
	scratch_load_b64 v[0:1], off, off offset:672 ; 8-byte Folded Reload
	s_waitcnt vmcnt(0)
	v_mov_b32_e32 v1, 0x47
	v_cmp_gt_i32_e32 vcc_lo, s8, v2
	v_or_b32_e32 v0, s86, v0
	s_delay_alu instid0(VALU_DEP_1) | instskip(NEXT) | instid1(VALU_DEP_1)
	v_cmp_gt_i32_e64 s4, s33, v0
	s_and_b32 s5, vcc_lo, s4
	s_delay_alu instid0(SALU_CYCLE_1)
	s_and_saveexec_b32 s4, s5
	s_cbranch_execz .LBB24_127
; %bb.126:                              ;   in Loop: Header=BB24_10 Depth=1
	s_clause 0x1
	scratch_load_b32 v0, off, off offset:704
	scratch_load_b32 v7, off, off offset:708
	s_waitcnt vmcnt(1)
	v_add_nc_u32_e32 v3, 0, v0
	s_waitcnt vmcnt(0)
	ds_load_2addr_b32 v[0:1], v7 offset1:32
	ds_load_2addr_stride64_b32 v[3:4], v3 offset0:1 offset1:18
	scratch_load_b64 v[8:9], off, off offset:672 ; 8-byte Folded Reload
	ds_load_b32 v7, v7 offset:4352
	s_waitcnt lgkmcnt(1)
	v_fma_mix_f32 v10, v3, v1, 0 op_sel_hi:[0,1,0]
	v_fma_mix_f32 v1, v3, v1, 0 op_sel:[0,1,0] op_sel_hi:[0,1,0]
	s_waitcnt vmcnt(0)
	v_mad_u64_u32 v[5:6], null, v2, s9, v[8:9]
	scratch_load_b32 v2, off, off offset:76 ; 4-byte Folded Reload
	v_fma_mix_f32 v9, v3, v0, 0 op_sel_hi:[0,1,0]
	v_fma_mix_f32 v0, v3, v0, 0 op_sel:[0,1,0] op_sel_hi:[0,1,0]
	s_waitcnt vmcnt(0)
	v_lshl_add_u32 v5, v5, 6, v2
	scratch_load_b32 v2, off, off offset:712 ; 4-byte Folded Reload
	v_ashrrev_i32_e32 v6, 31, v5
	s_delay_alu instid0(VALU_DEP_1)
	v_lshlrev_b64 v[5:6], 3, v[5:6]
	s_waitcnt vmcnt(0)
	ds_load_b32 v8, v2 offset:4352
	v_add_co_u32 v2, vcc_lo, s41, v5
	v_add_co_ci_u32_e32 v3, vcc_lo, s59, v6, vcc_lo
	s_waitcnt lgkmcnt(1)
	v_fma_mix_f32 v5, v4, v7, v9 op_sel_hi:[0,1,0]
	v_fma_mix_f32 v6, v4, v7, v0 op_sel:[0,1,0] op_sel_hi:[0,1,0]
	s_waitcnt lgkmcnt(0)
	v_fma_mix_f32 v7, v4, v8, v10 op_sel_hi:[0,1,0]
	v_fma_mix_f32 v8, v4, v8, v1 op_sel:[0,1,0] op_sel_hi:[0,1,0]
	v_mov_b32_e32 v1, 0
	s_clause 0x1
	global_store_b64 v[2:3], v[5:6], off
	global_store_b64 v[2:3], v[7:8], off offset:256
.LBB24_127:                             ;   in Loop: Header=BB24_10 Depth=1
	s_or_b32 exec_lo, exec_lo, s4
	s_mov_b32 s4, -1
	s_mov_b32 s5, exec_lo
	v_cmpx_gt_i32_e32 0x47, v1
; %bb.128:                              ;   in Loop: Header=BB24_10 Depth=1
	v_cmp_eq_u32_e32 vcc_lo, 0, v1
	s_or_not1_b32 s4, vcc_lo, exec_lo
; %bb.129:                              ;   in Loop: Header=BB24_10 Depth=1
	s_or_b32 exec_lo, exec_lo, s5
	s_delay_alu instid0(SALU_CYCLE_1)
	s_and_b32 exec_lo, exec_lo, s4
	s_cbranch_execz .LBB24_142
; %bb.130:                              ;   in Loop: Header=BB24_10 Depth=1
	scratch_load_b32 v0, off, off offset:716 ; 4-byte Folded Reload
	s_waitcnt vmcnt(0)
	v_add_nc_u32_e32 v2, s103, v0
	scratch_load_b64 v[0:1], off, off offset:696 ; 8-byte Folded Reload
	s_waitcnt vmcnt(0)
	v_mov_b32_e32 v1, 0x47
	v_cmp_gt_i32_e32 vcc_lo, s8, v2
	v_or_b32_e32 v0, s86, v0
	s_delay_alu instid0(VALU_DEP_1) | instskip(NEXT) | instid1(VALU_DEP_1)
	v_cmp_gt_i32_e64 s4, s33, v0
	s_and_b32 s5, vcc_lo, s4
	s_delay_alu instid0(SALU_CYCLE_1)
	s_and_saveexec_b32 s4, s5
	s_cbranch_execz .LBB24_132
; %bb.131:                              ;   in Loop: Header=BB24_10 Depth=1
	s_clause 0x1
	scratch_load_b32 v0, off, off offset:728
	scratch_load_b32 v7, off, off offset:732
	s_waitcnt vmcnt(1)
	v_add_nc_u32_e32 v3, 0, v0
	s_waitcnt vmcnt(0)
	ds_load_2addr_b32 v[0:1], v7 offset1:32
	ds_load_2addr_stride64_b32 v[3:4], v3 offset0:1 offset1:18
	scratch_load_b64 v[8:9], off, off offset:696 ; 8-byte Folded Reload
	ds_load_b32 v7, v7 offset:4352
	s_waitcnt lgkmcnt(1)
	v_fma_mix_f32 v10, v3, v1, 0 op_sel_hi:[0,1,0]
	v_fma_mix_f32 v1, v3, v1, 0 op_sel:[0,1,0] op_sel_hi:[0,1,0]
	s_waitcnt vmcnt(0)
	v_mad_u64_u32 v[5:6], null, v2, s9, v[8:9]
	scratch_load_b32 v2, off, off offset:76 ; 4-byte Folded Reload
	v_fma_mix_f32 v9, v3, v0, 0 op_sel_hi:[0,1,0]
	v_fma_mix_f32 v0, v3, v0, 0 op_sel:[0,1,0] op_sel_hi:[0,1,0]
	s_waitcnt vmcnt(0)
	v_lshl_add_u32 v5, v5, 6, v2
	scratch_load_b32 v2, off, off offset:736 ; 4-byte Folded Reload
	v_ashrrev_i32_e32 v6, 31, v5
	s_delay_alu instid0(VALU_DEP_1)
	v_lshlrev_b64 v[5:6], 3, v[5:6]
	s_waitcnt vmcnt(0)
	ds_load_b32 v8, v2 offset:4352
	v_add_co_u32 v2, vcc_lo, s41, v5
	v_add_co_ci_u32_e32 v3, vcc_lo, s59, v6, vcc_lo
	s_waitcnt lgkmcnt(1)
	v_fma_mix_f32 v5, v4, v7, v9 op_sel_hi:[0,1,0]
	v_fma_mix_f32 v6, v4, v7, v0 op_sel:[0,1,0] op_sel_hi:[0,1,0]
	s_waitcnt lgkmcnt(0)
	v_fma_mix_f32 v7, v4, v8, v10 op_sel_hi:[0,1,0]
	v_fma_mix_f32 v8, v4, v8, v1 op_sel:[0,1,0] op_sel_hi:[0,1,0]
	v_mov_b32_e32 v1, 0
	s_clause 0x1
	global_store_b64 v[2:3], v[5:6], off
	global_store_b64 v[2:3], v[7:8], off offset:256
.LBB24_132:                             ;   in Loop: Header=BB24_10 Depth=1
	s_or_b32 exec_lo, exec_lo, s4
	s_mov_b32 s4, -1
	s_mov_b32 s5, exec_lo
	v_cmpx_gt_i32_e32 0x47, v1
; %bb.133:                              ;   in Loop: Header=BB24_10 Depth=1
	v_cmp_eq_u32_e32 vcc_lo, 0, v1
	s_or_not1_b32 s4, vcc_lo, exec_lo
; %bb.134:                              ;   in Loop: Header=BB24_10 Depth=1
	s_or_b32 exec_lo, exec_lo, s5
	s_delay_alu instid0(SALU_CYCLE_1)
	s_and_b32 exec_lo, exec_lo, s4
	s_cbranch_execz .LBB24_142
; %bb.135:                              ;   in Loop: Header=BB24_10 Depth=1
	scratch_load_b32 v0, off, off offset:740 ; 4-byte Folded Reload
	s_waitcnt vmcnt(0)
	v_add_nc_u32_e32 v2, s103, v0
	scratch_load_b64 v[0:1], off, off offset:720 ; 8-byte Folded Reload
	s_waitcnt vmcnt(0)
	v_mov_b32_e32 v1, 0x47
	v_cmp_gt_i32_e32 vcc_lo, s8, v2
	v_or_b32_e32 v0, s86, v0
	s_delay_alu instid0(VALU_DEP_1) | instskip(NEXT) | instid1(VALU_DEP_1)
	v_cmp_gt_i32_e64 s4, s33, v0
	s_and_b32 s5, vcc_lo, s4
	s_delay_alu instid0(SALU_CYCLE_1)
	s_and_saveexec_b32 s4, s5
	s_cbranch_execz .LBB24_137
; %bb.136:                              ;   in Loop: Header=BB24_10 Depth=1
	s_clause 0x1
	scratch_load_b32 v0, off, off offset:752
	scratch_load_b32 v7, off, off offset:756
	s_waitcnt vmcnt(1)
	v_add_nc_u32_e32 v3, 0, v0
	s_waitcnt vmcnt(0)
	ds_load_2addr_b32 v[0:1], v7 offset1:32
	ds_load_2addr_stride64_b32 v[3:4], v3 offset0:1 offset1:18
	scratch_load_b64 v[8:9], off, off offset:720 ; 8-byte Folded Reload
	ds_load_b32 v7, v7 offset:4352
	s_waitcnt lgkmcnt(1)
	v_fma_mix_f32 v10, v3, v1, 0 op_sel_hi:[0,1,0]
	v_fma_mix_f32 v1, v3, v1, 0 op_sel:[0,1,0] op_sel_hi:[0,1,0]
	s_waitcnt vmcnt(0)
	v_mad_u64_u32 v[5:6], null, v2, s9, v[8:9]
	scratch_load_b32 v2, off, off offset:76 ; 4-byte Folded Reload
	v_fma_mix_f32 v9, v3, v0, 0 op_sel_hi:[0,1,0]
	v_fma_mix_f32 v0, v3, v0, 0 op_sel:[0,1,0] op_sel_hi:[0,1,0]
	s_waitcnt vmcnt(0)
	v_lshl_add_u32 v5, v5, 6, v2
	scratch_load_b32 v2, off, off offset:760 ; 4-byte Folded Reload
	v_ashrrev_i32_e32 v6, 31, v5
	s_delay_alu instid0(VALU_DEP_1)
	v_lshlrev_b64 v[5:6], 3, v[5:6]
	s_waitcnt vmcnt(0)
	ds_load_b32 v8, v2 offset:4352
	v_add_co_u32 v2, vcc_lo, s41, v5
	v_add_co_ci_u32_e32 v3, vcc_lo, s59, v6, vcc_lo
	s_waitcnt lgkmcnt(1)
	v_fma_mix_f32 v5, v4, v7, v9 op_sel_hi:[0,1,0]
	v_fma_mix_f32 v6, v4, v7, v0 op_sel:[0,1,0] op_sel_hi:[0,1,0]
	s_waitcnt lgkmcnt(0)
	v_fma_mix_f32 v7, v4, v8, v10 op_sel_hi:[0,1,0]
	v_fma_mix_f32 v8, v4, v8, v1 op_sel:[0,1,0] op_sel_hi:[0,1,0]
	v_mov_b32_e32 v1, 0
	s_clause 0x1
	global_store_b64 v[2:3], v[5:6], off
	global_store_b64 v[2:3], v[7:8], off offset:256
.LBB24_137:                             ;   in Loop: Header=BB24_10 Depth=1
	s_or_b32 exec_lo, exec_lo, s4
	s_mov_b32 s4, -1
	s_mov_b32 s5, exec_lo
	v_cmpx_gt_i32_e32 0x47, v1
; %bb.138:                              ;   in Loop: Header=BB24_10 Depth=1
	v_cmp_eq_u32_e32 vcc_lo, 0, v1
	s_or_not1_b32 s4, vcc_lo, exec_lo
; %bb.139:                              ;   in Loop: Header=BB24_10 Depth=1
	s_or_b32 exec_lo, exec_lo, s5
	s_delay_alu instid0(SALU_CYCLE_1)
	s_and_b32 exec_lo, exec_lo, s4
	s_cbranch_execz .LBB24_142
; %bb.140:                              ;   in Loop: Header=BB24_10 Depth=1
	s_clause 0x1
	scratch_load_b32 v0, off, off offset:764
	scratch_load_b64 v[2:3], off, off offset:744
	s_waitcnt vmcnt(1)
	v_add_nc_u32_e32 v1, s103, v0
	s_waitcnt vmcnt(0)
	v_or_b32_e32 v0, s86, v2
	s_delay_alu instid0(VALU_DEP_2) | instskip(NEXT) | instid1(VALU_DEP_2)
	v_cmp_gt_i32_e32 vcc_lo, s8, v1
	v_cmp_gt_i32_e64 s4, s33, v0
	s_delay_alu instid0(VALU_DEP_1) | instskip(NEXT) | instid1(SALU_CYCLE_1)
	s_and_b32 s4, vcc_lo, s4
	s_and_b32 exec_lo, exec_lo, s4
	s_cbranch_execz .LBB24_142
; %bb.141:                              ;   in Loop: Header=BB24_10 Depth=1
	s_clause 0x1
	scratch_load_b32 v0, off, off offset:768
	scratch_load_b32 v8, off, off offset:772
	s_waitcnt vmcnt(1)
	v_add_nc_u32_e32 v0, 0, v0
	s_waitcnt vmcnt(0)
	ds_load_2addr_b32 v[2:3], v8 offset1:32
	ds_load_2addr_stride64_b32 v[4:5], v0 offset0:1 offset1:18
	s_clause 0x1
	scratch_load_b64 v[9:10], off, off offset:744
	scratch_load_b32 v0, off, off offset:76
	s_waitcnt lgkmcnt(0)
	v_fma_mix_f32 v11, v4, v3, 0 op_sel:[0,1,0] op_sel_hi:[0,1,0]
	s_waitcnt vmcnt(1)
	v_mad_u64_u32 v[6:7], null, v1, s9, v[9:10]
	scratch_load_b32 v1, off, off offset:776 ; 4-byte Folded Reload
	ds_load_b32 v7, v8 offset:4352
	v_fma_mix_f32 v9, v4, v2, 0 op_sel:[0,1,0] op_sel_hi:[0,1,0]
	v_fma_mix_f32 v10, v4, v3, 0 op_sel_hi:[0,1,0]
	s_waitcnt vmcnt(1)
	v_lshl_add_u32 v0, v6, 6, v0
	s_waitcnt vmcnt(0)
	ds_load_b32 v6, v1 offset:4352
	v_ashrrev_i32_e32 v1, 31, v0
	v_fma_mix_f32 v8, v4, v2, 0 op_sel_hi:[0,1,0]
	s_waitcnt lgkmcnt(1)
	v_fma_mix_f32 v3, v5, v7, v9 op_sel:[0,1,0] op_sel_hi:[0,1,0]
	s_delay_alu instid0(VALU_DEP_3) | instskip(NEXT) | instid1(VALU_DEP_3)
	v_lshlrev_b64 v[0:1], 3, v[0:1]
	v_fma_mix_f32 v2, v5, v7, v8 op_sel_hi:[0,1,0]
	s_delay_alu instid0(VALU_DEP_2) | instskip(NEXT) | instid1(VALU_DEP_3)
	v_add_co_u32 v0, vcc_lo, s41, v0
	v_add_co_ci_u32_e32 v1, vcc_lo, s59, v1, vcc_lo
	s_waitcnt lgkmcnt(0)
	v_fma_mix_f32 v4, v5, v6, v10 op_sel_hi:[0,1,0]
	v_fma_mix_f32 v5, v5, v6, v11 op_sel:[0,1,0] op_sel_hi:[0,1,0]
	s_clause 0x1
	global_store_b64 v[0:1], v[2:3], off
	global_store_b64 v[0:1], v[4:5], off offset:256
.LBB24_142:                             ;   in Loop: Header=BB24_10 Depth=1
	s_or_b32 exec_lo, exec_lo, s6
	s_waitcnt_vscnt null, 0x0
	s_barrier
	s_branch .LBB24_270
.LBB24_143:                             ;   in Loop: Header=BB24_10 Depth=1
	scratch_load_b32 v0, off, off offset:92 ; 4-byte Folded Reload
	s_lshl_b32 s66, s89, 1
	v_cmp_gt_i32_e32 vcc_lo, s33, v165
	s_xor_b32 s5, vcc_lo, -1
	s_waitcnt vmcnt(0)
	v_add_nc_u32_e32 v1, s66, v0
	s_delay_alu instid0(VALU_DEP_1) | instskip(NEXT) | instid1(VALU_DEP_1)
	v_cmp_le_i32_e64 s4, s8, v1
	s_or_b32 s4, s4, s5
	s_delay_alu instid0(SALU_CYCLE_1) | instskip(NEXT) | instid1(SALU_CYCLE_1)
	s_and_saveexec_b32 s6, s4
	s_xor_b32 s4, exec_lo, s6
	s_cbranch_execz .LBB24_145
; %bb.144:                              ;   in Loop: Header=BB24_10 Depth=1
	scratch_load_b32 v0, off, off offset:112 ; 4-byte Folded Reload
                                        ; implicit-def: $vgpr1
	s_waitcnt vmcnt(0)
	ds_store_2addr_b32 v0, v231, v231 offset1:32
.LBB24_145:                             ;   in Loop: Header=BB24_10 Depth=1
	s_and_not1_saveexec_b32 s4, s4
	s_cbranch_execz .LBB24_147
; %bb.146:                              ;   in Loop: Header=BB24_10 Depth=1
	v_mul_lo_u32 v0, v1, s51
	s_clause 0x1
	scratch_load_b32 v1, off, off offset:76
	scratch_load_b32 v2, off, off offset:120
	s_waitcnt vmcnt(0)
	v_add3_u32 v0, v0, v2, v1
	s_delay_alu instid0(VALU_DEP_1) | instskip(NEXT) | instid1(VALU_DEP_1)
	v_ashrrev_i32_e32 v1, 31, v0
	v_lshlrev_b64 v[0:1], 3, v[0:1]
	s_delay_alu instid0(VALU_DEP_1) | instskip(NEXT) | instid1(VALU_DEP_2)
	v_add_co_u32 v0, vcc_lo, s101, v0
	v_add_co_ci_u32_e32 v1, vcc_lo, s102, v1, vcc_lo
	s_clause 0x1
	global_load_b64 v[2:3], v[0:1], off
	global_load_b64 v[0:1], v[0:1], off offset:256
	s_waitcnt vmcnt(1)
	v_cvt_f16_f32_e32 v2, v2
	v_cvt_f16_f32_e32 v3, v3
	s_waitcnt vmcnt(0)
	v_cvt_f16_f32_e32 v0, v0
	v_cvt_f16_f32_e32 v1, v1
	s_delay_alu instid0(VALU_DEP_3)
	v_pack_b32_f16 v2, v2, v3
	scratch_load_b32 v3, off, off offset:80 ; 4-byte Folded Reload
	v_pack_b32_f16 v0, v0, v1
	s_waitcnt vmcnt(0)
	v_pk_mul_f16 v1, v3, v2
	scratch_load_b32 v2, off, off offset:112 ; 4-byte Folded Reload
	v_pk_mul_f16 v0, v3, v0
	s_waitcnt vmcnt(0)
	ds_store_2addr_b32 v2, v1, v0 offset1:32
.LBB24_147:                             ;   in Loop: Header=BB24_10 Depth=1
	s_or_b32 exec_lo, exec_lo, s4
	scratch_load_b32 v0, off, off offset:128 ; 4-byte Folded Reload
	s_waitcnt vmcnt(0)
	v_add_nc_u32_e32 v1, s66, v0
	scratch_load_b32 v0, off, off offset:124 ; 4-byte Folded Reload
	v_cmp_le_i32_e32 vcc_lo, s8, v1
	s_waitcnt vmcnt(0)
	v_or_b32_e32 v0, s86, v0
	s_delay_alu instid0(VALU_DEP_1) | instskip(NEXT) | instid1(VALU_DEP_1)
	v_cmp_le_i32_e64 s4, s33, v0
	s_or_b32 s4, vcc_lo, s4
	s_delay_alu instid0(SALU_CYCLE_1) | instskip(NEXT) | instid1(SALU_CYCLE_1)
	s_and_saveexec_b32 s6, s4
	s_xor_b32 s4, exec_lo, s6
	s_cbranch_execz .LBB24_149
; %bb.148:                              ;   in Loop: Header=BB24_10 Depth=1
	scratch_load_b32 v0, off, off offset:72 ; 4-byte Folded Reload
                                        ; implicit-def: $vgpr1
	s_waitcnt vmcnt(0)
	ds_store_2addr_b32 v0, v231, v231 offset1:32
.LBB24_149:                             ;   in Loop: Header=BB24_10 Depth=1
	s_and_not1_saveexec_b32 s4, s4
	s_cbranch_execz .LBB24_151
; %bb.150:                              ;   in Loop: Header=BB24_10 Depth=1
	v_mul_lo_u32 v0, v1, s51
	s_clause 0x1
	scratch_load_b32 v1, off, off offset:76
	scratch_load_b32 v2, off, off offset:204
	s_waitcnt vmcnt(0)
	v_add3_u32 v0, v0, v2, v1
	s_delay_alu instid0(VALU_DEP_1) | instskip(NEXT) | instid1(VALU_DEP_1)
	v_ashrrev_i32_e32 v1, 31, v0
	v_lshlrev_b64 v[0:1], 3, v[0:1]
	s_delay_alu instid0(VALU_DEP_1) | instskip(NEXT) | instid1(VALU_DEP_2)
	v_add_co_u32 v0, vcc_lo, s101, v0
	v_add_co_ci_u32_e32 v1, vcc_lo, s102, v1, vcc_lo
	s_clause 0x1
	global_load_b64 v[2:3], v[0:1], off
	global_load_b64 v[0:1], v[0:1], off offset:256
	s_waitcnt vmcnt(1)
	v_cvt_f16_f32_e32 v2, v2
	v_cvt_f16_f32_e32 v3, v3
	s_waitcnt vmcnt(0)
	v_cvt_f16_f32_e32 v0, v0
	v_cvt_f16_f32_e32 v1, v1
	s_delay_alu instid0(VALU_DEP_3)
	v_pack_b32_f16 v2, v2, v3
	scratch_load_b32 v3, off, off offset:80 ; 4-byte Folded Reload
	v_pack_b32_f16 v0, v0, v1
	s_waitcnt vmcnt(0)
	v_pk_mul_f16 v1, v3, v2
	scratch_load_b32 v2, off, off offset:72 ; 4-byte Folded Reload
	v_pk_mul_f16 v0, v3, v0
	s_waitcnt vmcnt(0)
	ds_store_2addr_b32 v2, v1, v0 offset1:32
.LBB24_151:                             ;   in Loop: Header=BB24_10 Depth=1
	s_or_b32 exec_lo, exec_lo, s4
	scratch_load_b32 v0, off, off offset:140 ; 4-byte Folded Reload
	s_waitcnt vmcnt(0)
	v_add_nc_u32_e32 v1, s66, v0
	scratch_load_b32 v0, off, off offset:132 ; 4-byte Folded Reload
	v_cmp_le_i32_e32 vcc_lo, s8, v1
	s_waitcnt vmcnt(0)
	v_or_b32_e32 v0, s86, v0
	s_delay_alu instid0(VALU_DEP_1) | instskip(NEXT) | instid1(VALU_DEP_1)
	v_cmp_le_i32_e64 s4, s33, v0
	s_or_b32 s4, vcc_lo, s4
	s_delay_alu instid0(SALU_CYCLE_1) | instskip(NEXT) | instid1(SALU_CYCLE_1)
	s_and_saveexec_b32 s6, s4
	s_xor_b32 s4, exec_lo, s6
	s_cbranch_execz .LBB24_153
; %bb.152:                              ;   in Loop: Header=BB24_10 Depth=1
	scratch_load_b32 v0, off, off offset:72 ; 4-byte Folded Reload
                                        ; implicit-def: $vgpr1
	s_waitcnt vmcnt(0)
	ds_store_2addr_b32 v0, v231, v231 offset0:136 offset1:168
.LBB24_153:                             ;   in Loop: Header=BB24_10 Depth=1
	s_and_not1_saveexec_b32 s4, s4
	s_cbranch_execz .LBB24_155
; %bb.154:                              ;   in Loop: Header=BB24_10 Depth=1
	v_mul_lo_u32 v0, v1, s51
	s_clause 0x1
	scratch_load_b32 v1, off, off offset:76
	scratch_load_b32 v2, off, off offset:208
	s_waitcnt vmcnt(0)
	v_add3_u32 v0, v0, v2, v1
	s_delay_alu instid0(VALU_DEP_1) | instskip(NEXT) | instid1(VALU_DEP_1)
	v_ashrrev_i32_e32 v1, 31, v0
	v_lshlrev_b64 v[0:1], 3, v[0:1]
	s_delay_alu instid0(VALU_DEP_1) | instskip(NEXT) | instid1(VALU_DEP_2)
	v_add_co_u32 v0, vcc_lo, s101, v0
	v_add_co_ci_u32_e32 v1, vcc_lo, s102, v1, vcc_lo
	s_clause 0x1
	global_load_b64 v[2:3], v[0:1], off
	global_load_b64 v[0:1], v[0:1], off offset:256
	s_waitcnt vmcnt(1)
	v_cvt_f16_f32_e32 v2, v2
	v_cvt_f16_f32_e32 v3, v3
	s_waitcnt vmcnt(0)
	v_cvt_f16_f32_e32 v0, v0
	v_cvt_f16_f32_e32 v1, v1
	s_delay_alu instid0(VALU_DEP_3)
	v_pack_b32_f16 v2, v2, v3
	scratch_load_b32 v3, off, off offset:80 ; 4-byte Folded Reload
	v_pack_b32_f16 v0, v0, v1
	s_waitcnt vmcnt(0)
	v_pk_mul_f16 v1, v3, v2
	scratch_load_b32 v2, off, off offset:72 ; 4-byte Folded Reload
	v_pk_mul_f16 v0, v3, v0
	s_waitcnt vmcnt(0)
	ds_store_2addr_b32 v2, v1, v0 offset0:136 offset1:168
.LBB24_155:                             ;   in Loop: Header=BB24_10 Depth=1
	s_or_b32 exec_lo, exec_lo, s4
	scratch_load_b32 v0, off, off offset:144 ; 4-byte Folded Reload
	s_waitcnt vmcnt(0)
	v_add_nc_u32_e32 v1, s66, v0
	scratch_load_b32 v0, off, off offset:136 ; 4-byte Folded Reload
	v_cmp_le_i32_e32 vcc_lo, s8, v1
	s_waitcnt vmcnt(0)
	v_or_b32_e32 v0, s86, v0
	s_delay_alu instid0(VALU_DEP_1) | instskip(NEXT) | instid1(VALU_DEP_1)
	v_cmp_le_i32_e64 s4, s33, v0
	s_or_b32 s4, vcc_lo, s4
	s_delay_alu instid0(SALU_CYCLE_1) | instskip(NEXT) | instid1(SALU_CYCLE_1)
	s_and_saveexec_b32 s6, s4
	s_xor_b32 s4, exec_lo, s6
	s_cbranch_execz .LBB24_157
; %bb.156:                              ;   in Loop: Header=BB24_10 Depth=1
	scratch_load_b32 v0, off, off offset:72 ; 4-byte Folded Reload
                                        ; implicit-def: $vgpr1
	s_waitcnt vmcnt(0)
	v_add_nc_u32_e32 v0, 0x400, v0
	ds_store_2addr_b32 v0, v231, v231 offset0:16 offset1:48
.LBB24_157:                             ;   in Loop: Header=BB24_10 Depth=1
	s_and_not1_saveexec_b32 s4, s4
	s_cbranch_execz .LBB24_159
; %bb.158:                              ;   in Loop: Header=BB24_10 Depth=1
	v_mul_lo_u32 v0, v1, s51
	s_clause 0x1
	scratch_load_b32 v1, off, off offset:76
	scratch_load_b32 v2, off, off offset:212
	s_waitcnt vmcnt(0)
	v_add3_u32 v0, v0, v2, v1
	s_delay_alu instid0(VALU_DEP_1) | instskip(NEXT) | instid1(VALU_DEP_1)
	v_ashrrev_i32_e32 v1, 31, v0
	v_lshlrev_b64 v[0:1], 3, v[0:1]
	s_delay_alu instid0(VALU_DEP_1) | instskip(NEXT) | instid1(VALU_DEP_2)
	v_add_co_u32 v0, vcc_lo, s101, v0
	v_add_co_ci_u32_e32 v1, vcc_lo, s102, v1, vcc_lo
	s_clause 0x1
	global_load_b64 v[2:3], v[0:1], off
	global_load_b64 v[0:1], v[0:1], off offset:256
	s_waitcnt vmcnt(1)
	v_cvt_f16_f32_e32 v2, v2
	v_cvt_f16_f32_e32 v3, v3
	s_waitcnt vmcnt(0)
	v_cvt_f16_f32_e32 v0, v0
	v_cvt_f16_f32_e32 v1, v1
	s_delay_alu instid0(VALU_DEP_3)
	v_pack_b32_f16 v2, v2, v3
	scratch_load_b32 v3, off, off offset:80 ; 4-byte Folded Reload
	v_pack_b32_f16 v0, v0, v1
	s_waitcnt vmcnt(0)
	v_pk_mul_f16 v1, v3, v2
	scratch_load_b32 v2, off, off offset:72 ; 4-byte Folded Reload
	v_pk_mul_f16 v0, v3, v0
	s_waitcnt vmcnt(0)
	v_add_nc_u32_e32 v2, 0x400, v2
	ds_store_2addr_b32 v2, v1, v0 offset0:16 offset1:48
.LBB24_159:                             ;   in Loop: Header=BB24_10 Depth=1
	s_or_b32 exec_lo, exec_lo, s4
	scratch_load_b32 v0, off, off offset:152 ; 4-byte Folded Reload
	s_waitcnt vmcnt(0)
	v_add_nc_u32_e32 v1, s66, v0
	s_delay_alu instid0(VALU_DEP_1) | instskip(SKIP_1) | instid1(SALU_CYCLE_1)
	v_cmp_le_i32_e32 vcc_lo, s8, v1
	s_or_b32 s4, vcc_lo, s5
	s_and_saveexec_b32 s5, s4
	s_delay_alu instid0(SALU_CYCLE_1)
	s_xor_b32 s4, exec_lo, s5
	s_cbranch_execz .LBB24_161
; %bb.160:                              ;   in Loop: Header=BB24_10 Depth=1
	scratch_load_b32 v0, off, off offset:72 ; 4-byte Folded Reload
                                        ; implicit-def: $vgpr1
	s_waitcnt vmcnt(0)
	v_add_nc_u32_e32 v0, 0x400, v0
	ds_store_2addr_b32 v0, v231, v231 offset0:152 offset1:184
.LBB24_161:                             ;   in Loop: Header=BB24_10 Depth=1
	s_and_not1_saveexec_b32 s4, s4
	s_cbranch_execz .LBB24_163
; %bb.162:                              ;   in Loop: Header=BB24_10 Depth=1
	v_mul_lo_u32 v0, v1, s51
	s_clause 0x1
	scratch_load_b32 v1, off, off offset:76
	scratch_load_b32 v2, off, off offset:120
	s_waitcnt vmcnt(0)
	v_add3_u32 v0, v0, v2, v1
	s_delay_alu instid0(VALU_DEP_1) | instskip(NEXT) | instid1(VALU_DEP_1)
	v_ashrrev_i32_e32 v1, 31, v0
	v_lshlrev_b64 v[0:1], 3, v[0:1]
	s_delay_alu instid0(VALU_DEP_1) | instskip(NEXT) | instid1(VALU_DEP_2)
	v_add_co_u32 v0, vcc_lo, s101, v0
	v_add_co_ci_u32_e32 v1, vcc_lo, s102, v1, vcc_lo
	s_clause 0x1
	global_load_b64 v[2:3], v[0:1], off
	global_load_b64 v[0:1], v[0:1], off offset:256
	s_waitcnt vmcnt(1)
	v_cvt_f16_f32_e32 v2, v2
	v_cvt_f16_f32_e32 v3, v3
	s_waitcnt vmcnt(0)
	v_cvt_f16_f32_e32 v0, v0
	v_cvt_f16_f32_e32 v1, v1
	s_delay_alu instid0(VALU_DEP_3)
	v_pack_b32_f16 v2, v2, v3
	scratch_load_b32 v3, off, off offset:80 ; 4-byte Folded Reload
	v_pack_b32_f16 v0, v0, v1
	s_waitcnt vmcnt(0)
	v_pk_mul_f16 v1, v3, v2
	scratch_load_b32 v2, off, off offset:72 ; 4-byte Folded Reload
	v_pk_mul_f16 v0, v3, v0
	s_waitcnt vmcnt(0)
	v_add_nc_u32_e32 v2, 0x400, v2
	ds_store_2addr_b32 v2, v1, v0 offset0:152 offset1:184
.LBB24_163:                             ;   in Loop: Header=BB24_10 Depth=1
	s_or_b32 exec_lo, exec_lo, s4
	scratch_load_b32 v0, off, off offset:160 ; 4-byte Folded Reload
	s_waitcnt vmcnt(0)
	v_add_nc_u32_e32 v1, s66, v0
	scratch_load_b32 v0, off, off offset:148 ; 4-byte Folded Reload
	v_cmp_le_i32_e32 vcc_lo, s8, v1
	s_waitcnt vmcnt(0)
	v_or_b32_e32 v0, s86, v0
	s_delay_alu instid0(VALU_DEP_1) | instskip(NEXT) | instid1(VALU_DEP_1)
	v_cmp_le_i32_e64 s4, s33, v0
	s_or_b32 s4, vcc_lo, s4
	s_delay_alu instid0(SALU_CYCLE_1) | instskip(NEXT) | instid1(SALU_CYCLE_1)
	s_and_saveexec_b32 s5, s4
	s_xor_b32 s4, exec_lo, s5
	s_cbranch_execz .LBB24_165
; %bb.164:                              ;   in Loop: Header=BB24_10 Depth=1
	scratch_load_b32 v0, off, off offset:72 ; 4-byte Folded Reload
                                        ; implicit-def: $vgpr1
	s_waitcnt vmcnt(0)
	v_add_nc_u32_e32 v0, 0x800, v0
	ds_store_2addr_b32 v0, v231, v231 offset0:32 offset1:64
.LBB24_165:                             ;   in Loop: Header=BB24_10 Depth=1
	s_and_not1_saveexec_b32 s4, s4
	s_cbranch_execz .LBB24_167
; %bb.166:                              ;   in Loop: Header=BB24_10 Depth=1
	v_mul_lo_u32 v0, v1, s51
	s_clause 0x1
	scratch_load_b32 v1, off, off offset:76
	scratch_load_b32 v2, off, off offset:216
	s_waitcnt vmcnt(0)
	v_add3_u32 v0, v0, v2, v1
	s_delay_alu instid0(VALU_DEP_1) | instskip(NEXT) | instid1(VALU_DEP_1)
	v_ashrrev_i32_e32 v1, 31, v0
	v_lshlrev_b64 v[0:1], 3, v[0:1]
	s_delay_alu instid0(VALU_DEP_1) | instskip(NEXT) | instid1(VALU_DEP_2)
	v_add_co_u32 v0, vcc_lo, s101, v0
	v_add_co_ci_u32_e32 v1, vcc_lo, s102, v1, vcc_lo
	s_clause 0x1
	global_load_b64 v[2:3], v[0:1], off
	global_load_b64 v[0:1], v[0:1], off offset:256
	s_waitcnt vmcnt(1)
	v_cvt_f16_f32_e32 v2, v2
	v_cvt_f16_f32_e32 v3, v3
	s_waitcnt vmcnt(0)
	v_cvt_f16_f32_e32 v0, v0
	v_cvt_f16_f32_e32 v1, v1
	s_delay_alu instid0(VALU_DEP_3)
	v_pack_b32_f16 v2, v2, v3
	scratch_load_b32 v3, off, off offset:80 ; 4-byte Folded Reload
	v_pack_b32_f16 v0, v0, v1
	s_waitcnt vmcnt(0)
	v_pk_mul_f16 v1, v3, v2
	scratch_load_b32 v2, off, off offset:72 ; 4-byte Folded Reload
	v_pk_mul_f16 v0, v3, v0
	s_waitcnt vmcnt(0)
	v_add_nc_u32_e32 v2, 0x800, v2
	ds_store_2addr_b32 v2, v1, v0 offset0:32 offset1:64
.LBB24_167:                             ;   in Loop: Header=BB24_10 Depth=1
	s_or_b32 exec_lo, exec_lo, s4
	scratch_load_b32 v0, off, off offset:168 ; 4-byte Folded Reload
	s_waitcnt vmcnt(0)
	v_add_nc_u32_e32 v1, s66, v0
	scratch_load_b32 v0, off, off offset:156 ; 4-byte Folded Reload
	v_cmp_le_i32_e32 vcc_lo, s8, v1
	s_waitcnt vmcnt(0)
	v_or_b32_e32 v0, s86, v0
	s_delay_alu instid0(VALU_DEP_1) | instskip(NEXT) | instid1(VALU_DEP_1)
	v_cmp_le_i32_e64 s4, s33, v0
	s_or_b32 s4, vcc_lo, s4
	s_delay_alu instid0(SALU_CYCLE_1) | instskip(NEXT) | instid1(SALU_CYCLE_1)
	s_and_saveexec_b32 s5, s4
	;; [unrolled: 58-line block ×3, first 2 shown]
	s_xor_b32 s4, exec_lo, s5
	s_cbranch_execz .LBB24_173
; %bb.172:                              ;   in Loop: Header=BB24_10 Depth=1
	scratch_load_b32 v0, off, off offset:72 ; 4-byte Folded Reload
                                        ; implicit-def: $vgpr1
	s_waitcnt vmcnt(0)
	v_add_nc_u32_e32 v0, 0xc00, v0
	ds_store_2addr_b32 v0, v231, v231 offset0:48 offset1:80
.LBB24_173:                             ;   in Loop: Header=BB24_10 Depth=1
	s_and_not1_saveexec_b32 s4, s4
	s_cbranch_execz .LBB24_175
; %bb.174:                              ;   in Loop: Header=BB24_10 Depth=1
	v_mul_lo_u32 v0, v1, s51
	s_clause 0x1
	scratch_load_b32 v1, off, off offset:76
	scratch_load_b32 v2, off, off offset:224
	s_waitcnt vmcnt(0)
	v_add3_u32 v0, v0, v2, v1
	s_delay_alu instid0(VALU_DEP_1) | instskip(NEXT) | instid1(VALU_DEP_1)
	v_ashrrev_i32_e32 v1, 31, v0
	v_lshlrev_b64 v[0:1], 3, v[0:1]
	s_delay_alu instid0(VALU_DEP_1) | instskip(NEXT) | instid1(VALU_DEP_2)
	v_add_co_u32 v0, vcc_lo, s101, v0
	v_add_co_ci_u32_e32 v1, vcc_lo, s102, v1, vcc_lo
	s_clause 0x1
	global_load_b64 v[2:3], v[0:1], off
	global_load_b64 v[0:1], v[0:1], off offset:256
	s_waitcnt vmcnt(1)
	v_cvt_f16_f32_e32 v2, v2
	v_cvt_f16_f32_e32 v3, v3
	s_waitcnt vmcnt(0)
	v_cvt_f16_f32_e32 v0, v0
	v_cvt_f16_f32_e32 v1, v1
	s_delay_alu instid0(VALU_DEP_3)
	v_pack_b32_f16 v2, v2, v3
	scratch_load_b32 v3, off, off offset:80 ; 4-byte Folded Reload
	v_pack_b32_f16 v0, v0, v1
	s_waitcnt vmcnt(0)
	v_pk_mul_f16 v1, v3, v2
	scratch_load_b32 v2, off, off offset:72 ; 4-byte Folded Reload
	v_pk_mul_f16 v0, v3, v0
	s_waitcnt vmcnt(0)
	v_add_nc_u32_e32 v2, 0xc00, v2
	ds_store_2addr_b32 v2, v1, v0 offset0:48 offset1:80
.LBB24_175:                             ;   in Loop: Header=BB24_10 Depth=1
	s_or_b32 exec_lo, exec_lo, s4
	s_clause 0x1
	scratch_load_b32 v0, off, off offset:100
	scratch_load_b32 v1, off, off offset:116
	s_waitcnt vmcnt(0) lgkmcnt(0)
	s_waitcnt_vscnt null, 0x0
	s_barrier
	buffer_gl0_inv
	v_mbcnt_lo_u32_b32 v3, -1, 0
	s_cmp_lt_i32 s92, 2
	s_mov_b32 s67, 0
	v_mov_b32_e32 v39, 0
	s_delay_alu instid0(VALU_DEP_2)
	v_xor_b32_e32 v4, 16, v3
	v_add_nc_u32_e32 v0, v0, v1
	ds_load_b128 v[48:51], v0
	ds_load_b128 v[52:55], v0 offset:16
	ds_load_b128 v[40:43], v0 offset:32
	;; [unrolled: 1-line block ×15, first 2 shown]
	s_waitcnt lgkmcnt(0)
	s_barrier
	buffer_gl0_inv
	scratch_store_b32 off, v4, off offset:184 ; 4-byte Folded Spill
	s_cbranch_scc1 .LBB24_180
; %bb.176:                              ;   in Loop: Header=BB24_10 Depth=1
	scratch_load_b32 v0, off, off offset:96 ; 4-byte Folded Reload
	v_mov_b32_e32 v8, 0
	s_add_i32 s67, s92, -1
	s_add_u32 s4, s98, s56
	s_addc_u32 s5, s99, s100
	s_add_u32 s6, s94, s95
	s_addc_u32 s7, s93, s96
	s_mov_b32 s56, s67
	v_dual_mov_b32 v9, v8 :: v_dual_mov_b32 v152, 0
	v_mov_b32_e32 v194, 0xfeffffff
	s_waitcnt vmcnt(0)
	v_add_nc_u32_e32 v0, s89, v0
	s_delay_alu instid0(VALU_DEP_1) | instskip(NEXT) | instid1(VALU_DEP_1)
	v_lshl_add_u32 v0, v0, 1, v179
	v_mul_hi_u32 v1, s12, v0
	s_delay_alu instid0(VALU_DEP_1)
	v_add_nc_u32_e32 v1, v0, v1
	v_mov_b32_e32 v12, v8
	v_mov_b32_e32 v13, v8
	;; [unrolled: 1-line block ×4, first 2 shown]
	v_lshrrev_b32_e32 v1, s13, v1
	v_mov_b32_e32 v16, v8
	v_mov_b32_e32 v17, v8
	;; [unrolled: 1-line block ×4, first 2 shown]
	v_mul_lo_u32 v1, v1, s8
	v_mov_b32_e32 v20, v8
	v_mov_b32_e32 v21, v8
	;; [unrolled: 1-line block ×7, first 2 shown]
	v_sub_nc_u32_e32 v2, v0, v1
	v_mov_b32_e32 v27, v8
	v_mov_b32_e32 v28, v8
	;; [unrolled: 1-line block ×4, first 2 shown]
	v_mad_i64_i32 v[0:1], null, s58, v2, v[161:162]
	scratch_load_b32 v2, off, off offset:256 ; 4-byte Folded Reload
	v_mov_b32_e32 v31, v8
	v_mov_b32_e32 v32, v8
	;; [unrolled: 1-line block ×9, first 2 shown]
	s_waitcnt vmcnt(0)
	v_add_co_u32 v104, vcc_lo, v2, v0
	scratch_load_b32 v0, off, off offset:260 ; 4-byte Folded Reload
	s_waitcnt vmcnt(0)
	v_add_co_ci_u32_e32 v105, vcc_lo, v0, v1, vcc_lo
	v_cmp_gt_i32_e32 vcc_lo, 32, v4
	v_dual_mov_b32 v11, v8 :: v_dual_cndmask_b32 v0, v3, v4
	s_delay_alu instid0(VALU_DEP_1)
	v_dual_mov_b32 v10, v8 :: v_dual_lshlrev_b32 v107, 2, v0
	scratch_load_b32 v0, off, off offset:264 ; 4-byte Folded Reload
	s_waitcnt vmcnt(0)
	v_add_co_u32 v108, vcc_lo, v0, s4
	scratch_load_b32 v0, off, off offset:268 ; 4-byte Folded Reload
	s_waitcnt vmcnt(0)
	v_add_co_ci_u32_e32 v109, vcc_lo, s5, v0, vcc_lo
	scratch_load_b32 v0, off, off offset:272 ; 4-byte Folded Reload
	s_waitcnt vmcnt(0)
	v_add_co_u32 v110, vcc_lo, v0, s4
	scratch_load_b32 v0, off, off offset:276 ; 4-byte Folded Reload
	s_waitcnt vmcnt(0)
	v_add_co_ci_u32_e32 v111, vcc_lo, s5, v0, vcc_lo
	;; [unrolled: 6-line block ×16, first 2 shown]
	s_and_saveexec_b32 s4, s0
	s_cbranch_execz .LBB24_178
.LBB24_177:                             ;   in Loop: Header=BB24_10 Depth=1
	global_load_b32 v0, v[104:105], off
	scratch_load_b32 v1, off, off offset:68 ; 4-byte Folded Reload
	s_waitcnt vmcnt(0)
	ds_store_b32 v1, v0 offset:8704
.LBB24_178:                             ;   Parent Loop BB24_10 Depth=1
                                        ; =>  This Inner Loop Header: Depth=2
	s_or_b32 exec_lo, exec_lo, s4
	v_add_co_u32 v1, vcc_lo, v175, v245
	v_add_co_ci_u32_e32 v2, vcc_lo, 0, v176, vcc_lo
	v_add_co_u32 v4, vcc_lo, v177, v245
	v_add_co_ci_u32_e32 v5, vcc_lo, 0, v146, vcc_lo
	v_mov_b32_e32 v232, v231
	global_load_b128 v[0:3], v[1:2], off
	global_load_b128 v[4:7], v[4:5], off
	v_mov_b32_e32 v233, v231
	v_mov_b32_e32 v234, v231
	;; [unrolled: 1-line block ×6, first 2 shown]
	v_cmp_eq_u32_e64 s5, 0, v179
	v_cmp_eq_u32_e64 s6, 1, v179
	s_add_i32 s56, s56, -1
	s_waitcnt vmcnt(1)
	ds_store_b128 v185, v[0:3]
	s_waitcnt vmcnt(0)
	ds_store_b128 v246, v[4:7]
	v_add_co_u32 v0, vcc_lo, v112, v245
	v_add_co_ci_u32_e32 v1, vcc_lo, 0, v113, vcc_lo
	v_add_co_u32 v4, vcc_lo, v154, v245
	v_add_co_ci_u32_e32 v5, vcc_lo, 0, v153, vcc_lo
	global_load_b128 v[0:3], v[0:1], off
	global_load_b128 v[4:7], v[4:5], off
	s_cmp_lg_u32 s56, 0
	s_waitcnt vmcnt(1)
	ds_store_b128 v247, v[0:3]
	s_waitcnt vmcnt(0)
	ds_store_b128 v248, v[4:7]
	v_add_co_u32 v0, vcc_lo, v215, v245
	v_add_co_ci_u32_e32 v1, vcc_lo, 0, v217, vcc_lo
	global_load_b128 v[0:3], v[0:1], off
	s_waitcnt vmcnt(0)
	ds_store_b128 v249, v[0:3]
	v_add_co_u32 v0, vcc_lo, v218, v245
	v_add_co_ci_u32_e32 v1, vcc_lo, 0, v220, vcc_lo
	global_load_b128 v[0:3], v[0:1], off
	;; [unrolled: 5-line block ×4, first 2 shown]
	s_waitcnt vmcnt(0)
	ds_store_b128 v252, v[0:3]
	s_waitcnt lgkmcnt(0)
	s_waitcnt_vscnt null, 0x0
	s_barrier
	buffer_gl0_inv
	ds_load_b128 v[202:205], v183
	ds_load_b128 v[206:209], v183 offset:16
	v_dual_mov_b32 v0, v231 :: v_dual_mov_b32 v1, v232
	v_dual_mov_b32 v2, v233 :: v_dual_mov_b32 v3, v234
	;; [unrolled: 1-line block ×4, first 2 shown]
	s_waitcnt lgkmcnt(0)
	s_delay_alu instid0(VALU_DEP_1)
	v_wmma_f32_16x16x16_f16 v[0:7], v[202:209], v[48:55], v[0:7]
	ds_load_b128 v[202:205], v183 offset:32
	ds_load_b128 v[206:209], v183 offset:48
	s_waitcnt lgkmcnt(0)
	v_wmma_f32_16x16x16_f16 v[0:7], v[202:209], v[40:47], v[0:7]
	ds_load_b128 v[202:205], v183 offset:64
	ds_load_b128 v[206:209], v183 offset:80
	s_waitcnt lgkmcnt(0)
	;; [unrolled: 4-line block ×7, first 2 shown]
	s_barrier
	buffer_gl0_inv
	ds_load_u16 v114, v186 offset:8704
	ds_load_u16 v115, v186 offset:8708
	;; [unrolled: 1-line block ×8, first 2 shown]
	s_waitcnt lgkmcnt(7)
	v_cvt_f32_f16_e32 v114, v114
	s_waitcnt lgkmcnt(6)
	v_cvt_f32_f16_e32 v115, v115
	s_waitcnt lgkmcnt(5)
	v_cvt_f32_f16_e32 v116, v116
	v_wmma_f32_16x16x16_f16 v[0:7], v[202:209], v[96:103], v[0:7]
	s_waitcnt lgkmcnt(4)
	v_cvt_f32_f16_e32 v117, v117
	s_waitcnt lgkmcnt(3)
	v_cvt_f32_f16_e32 v118, v118
	;; [unrolled: 2-line block ×5, first 2 shown]
	v_add_f32_e32 v0, v0, v114
	v_dual_add_f32 v114, v1, v115 :: v_dual_add_f32 v115, v2, v116
	v_add_co_u32 v2, vcc_lo, v108, v245
	v_add_f32_e32 v116, v3, v117
	v_add_co_ci_u32_e32 v3, vcc_lo, 0, v109, vcc_lo
	v_dual_add_f32 v117, v4, v118 :: v_dual_add_f32 v118, v5, v119
	v_add_f32_e32 v119, v6, v120
	v_add_co_u32 v6, vcc_lo, v110, v245
	v_add_f32_e32 v1, v7, v121
	v_add_co_ci_u32_e32 v7, vcc_lo, 0, v111, vcc_lo
	global_load_b128 v[2:5], v[2:3], off
	global_load_b128 v[199:202], v[6:7], off
	v_add_nc_u32_e32 v120, 0xc00, v244
	s_waitcnt vmcnt(1)
	ds_store_b128 v185, v[2:5]
	s_waitcnt vmcnt(0)
	ds_store_b128 v246, v[199:202]
	v_add_co_u32 v2, vcc_lo, v161, v245
	v_add_co_ci_u32_e32 v3, vcc_lo, 0, v162, vcc_lo
	v_add_co_u32 v6, vcc_lo, v165, v245
	v_add_co_ci_u32_e32 v7, vcc_lo, 0, v166, vcc_lo
	global_load_b128 v[2:5], v[2:3], off
	global_load_b128 v[199:202], v[6:7], off
	s_waitcnt vmcnt(1)
	ds_store_b128 v247, v[2:5]
	s_waitcnt vmcnt(0)
	ds_store_b128 v248, v[199:202]
	v_add_co_u32 v2, vcc_lo, v147, v245
	v_add_co_ci_u32_e32 v3, vcc_lo, 0, v173, vcc_lo
	global_load_b128 v[2:5], v[2:3], off
	s_waitcnt vmcnt(0)
	ds_store_b128 v249, v[2:5]
	v_add_co_u32 v2, vcc_lo, v196, v245
	v_add_co_ci_u32_e32 v3, vcc_lo, 0, v198, vcc_lo
	global_load_b128 v[2:5], v[2:3], off
	;; [unrolled: 5-line block ×4, first 2 shown]
	s_waitcnt vmcnt(0)
	ds_store_b128 v252, v[2:5]
	v_dual_add_f32 v2, 0x40051340, v0 :: v_dual_add_f32 v3, 0x40051340, v114
	s_waitcnt lgkmcnt(0)
	s_barrier
	buffer_gl0_inv
	ds_load_2addr_b32 v[207:208], v244 offset1:16
	ds_load_2addr_b32 v[232:233], v244 offset0:68 offset1:84
	ds_load_2addr_b32 v[234:235], v244 offset0:136 offset1:152
	;; [unrolled: 1-line block ×3, first 2 shown]
	v_max3_f32 v2, v194, v2, v3
	v_dual_add_f32 v3, 0x40051340, v115 :: v_dual_add_f32 v4, 0x40051340, v116
	s_delay_alu instid0(VALU_DEP_1) | instskip(SKIP_1) | instid1(VALU_DEP_1)
	v_max3_f32 v2, v2, v3, v4
	v_dual_add_f32 v3, 0x40051340, v117 :: v_dual_add_f32 v4, 0x40051340, v118
	v_max3_f32 v2, v2, v3, v4
	v_dual_add_f32 v3, 0x40051340, v119 :: v_dual_add_f32 v4, 0x40051340, v1
	s_delay_alu instid0(VALU_DEP_1) | instskip(SKIP_3) | instid1(VALU_DEP_1)
	v_max3_f32 v2, v2, v3, v4
	ds_bpermute_b32 v3, v107, v2
	s_waitcnt lgkmcnt(0)
	v_max_f32_e32 v3, v3, v3
	v_max_f32_e32 v209, v2, v3
	s_delay_alu instid0(VALU_DEP_1) | instskip(SKIP_1) | instid1(VALU_DEP_2)
	v_sub_f32_e32 v2, v114, v209
	v_add_nc_u32_e32 v114, 0x400, v244
	v_mul_f32_e32 v3, 0x3fb8aa3b, v2
	s_delay_alu instid0(VALU_DEP_1) | instskip(NEXT) | instid1(VALU_DEP_1)
	v_fma_f32 v4, 0x3fb8aa3b, v2, -v3
	v_fmac_f32_e32 v4, 0x32a5705f, v2
	v_sub_f32_e32 v0, v0, v209
	v_rndne_f32_e32 v5, v3
	v_sub_f32_e32 v1, v1, v209
	s_delay_alu instid0(VALU_DEP_3) | instskip(NEXT) | instid1(VALU_DEP_3)
	v_cmp_ngt_f32_e64 s4, 0xc2ce8ed0, v0
	v_sub_f32_e32 v3, v3, v5
	v_cvt_i32_f32_e32 v5, v5
	s_delay_alu instid0(VALU_DEP_2) | instskip(SKIP_2) | instid1(VALU_DEP_3)
	v_add_f32_e32 v3, v3, v4
	v_mul_f32_e32 v4, 0x3fb8aa3b, v0
	v_cmp_ngt_f32_e32 vcc_lo, 0xc2ce8ed0, v2
	v_exp_f32_e32 v3, v3
	s_delay_alu instid0(VALU_DEP_2) | instskip(SKIP_1) | instid1(VALU_DEP_1)
	v_fma_f32 v6, 0x3fb8aa3b, v0, -v4
	v_rndne_f32_e32 v7, v4
	v_sub_f32_e32 v4, v4, v7
	s_waitcnt_depctr 0xfff
	v_ldexp_f32 v3, v3, v5
	v_fmac_f32_e32 v6, 0x32a5705f, v0
	v_cvt_i32_f32_e32 v5, v7
	s_delay_alu instid0(VALU_DEP_3) | instskip(SKIP_1) | instid1(VALU_DEP_2)
	v_cndmask_b32_e32 v3, 0, v3, vcc_lo
	v_cmp_nlt_f32_e32 vcc_lo, 0x42b17218, v2
	v_dual_add_f32 v4, v4, v6 :: v_dual_cndmask_b32 v197, 0x7f800000, v3
	s_delay_alu instid0(VALU_DEP_1) | instskip(SKIP_3) | instid1(VALU_DEP_1)
	v_exp_f32_e32 v4, v4
	v_cmp_eq_u32_e32 vcc_lo, 1, v253
	ds_bpermute_b32 v3, v107, v197
	v_ldexp_f32 v4, v4, v5
	v_cndmask_b32_e64 v2, 0, v4, s4
	v_cmp_nlt_f32_e64 s4, 0x42b17218, v0
	s_delay_alu instid0(VALU_DEP_1)
	v_cndmask_b32_e64 v174, 0x7f800000, v2, s4
	v_cmp_eq_u32_e64 s4, 0, v253
	ds_bpermute_b32 v0, v107, v174
	s_waitcnt lgkmcnt(0)
	v_cndmask_b32_e64 v2, v174, v0, s4
	v_cndmask_b32_e32 v0, v174, v0, vcc_lo
	s_delay_alu instid0(VALU_DEP_2) | instskip(NEXT) | instid1(VALU_DEP_2)
	v_cndmask_b32_e64 v4, v2, v197, s5
	v_cndmask_b32_e64 v5, v0, v197, s6
	v_cvt_f16_f32_e32 v2, v2
	s_delay_alu instid0(VALU_DEP_3) | instskip(NEXT) | instid1(VALU_DEP_3)
	v_cndmask_b32_e64 v4, v4, v3, s4
	v_cndmask_b32_e32 v3, v5, v3, vcc_lo
	v_cvt_f16_f32_e32 v0, v0
	s_delay_alu instid0(VALU_DEP_3) | instskip(NEXT) | instid1(VALU_DEP_3)
	v_cvt_f16_f32_e32 v5, v4
	v_cvt_f16_f32_e32 v6, v3
	s_delay_alu instid0(VALU_DEP_3) | instskip(SKIP_1) | instid1(VALU_DEP_3)
	v_pack_b32_f16 v199, v2, v0
	v_sub_f32_e32 v0, v115, v209
	v_pack_b32_f16 v200, v5, v6
	s_delay_alu instid0(VALU_DEP_2) | instskip(SKIP_1) | instid1(VALU_DEP_2)
	v_mul_f32_e32 v2, 0x3fb8aa3b, v0
	v_cmp_ngt_f32_e64 s7, 0xc2ce8ed0, v0
	v_fma_f32 v5, 0x3fb8aa3b, v0, -v2
	v_rndne_f32_e32 v6, v2
	s_delay_alu instid0(VALU_DEP_1) | instskip(NEXT) | instid1(VALU_DEP_1)
	v_dual_fmac_f32 v5, 0x32a5705f, v0 :: v_dual_sub_f32 v2, v2, v6
	v_add_f32_e32 v2, v2, v5
	v_cvt_i32_f32_e32 v5, v6
	s_delay_alu instid0(VALU_DEP_2) | instskip(SKIP_2) | instid1(VALU_DEP_1)
	v_exp_f32_e32 v2, v2
	s_waitcnt_depctr 0xfff
	v_ldexp_f32 v2, v2, v5
	v_cndmask_b32_e64 v2, 0, v2, s7
	v_cmp_nlt_f32_e64 s7, 0x42b17218, v0
	s_delay_alu instid0(VALU_DEP_1) | instskip(NEXT) | instid1(VALU_DEP_1)
	v_cndmask_b32_e64 v213, 0x7f800000, v2, s7
	v_cndmask_b32_e64 v2, v3, v213, s6
	ds_bpermute_b32 v3, v107, v213
	v_cndmask_b32_e64 v0, v4, v213, s5
	s_waitcnt lgkmcnt(0)
	s_delay_alu instid0(VALU_DEP_1) | instskip(SKIP_1) | instid1(VALU_DEP_2)
	v_cndmask_b32_e64 v0, v0, v3, s4
	v_cndmask_b32_e32 v2, v2, v3, vcc_lo
	v_cvt_f16_f32_e32 v3, v0
	s_delay_alu instid0(VALU_DEP_2) | instskip(NEXT) | instid1(VALU_DEP_1)
	v_cvt_f16_f32_e32 v4, v2
	v_pack_b32_f16 v201, v3, v4
	v_sub_f32_e32 v3, v116, v209
	s_delay_alu instid0(VALU_DEP_1) | instskip(SKIP_1) | instid1(VALU_DEP_2)
	v_mul_f32_e32 v4, 0x3fb8aa3b, v3
	v_cmp_ngt_f32_e64 s7, 0xc2ce8ed0, v3
	v_fma_f32 v5, 0x3fb8aa3b, v3, -v4
	v_rndne_f32_e32 v6, v4
	s_delay_alu instid0(VALU_DEP_1) | instskip(NEXT) | instid1(VALU_DEP_1)
	v_dual_fmac_f32 v5, 0x32a5705f, v3 :: v_dual_sub_f32 v4, v4, v6
	v_add_f32_e32 v4, v4, v5
	v_cvt_i32_f32_e32 v5, v6
	s_delay_alu instid0(VALU_DEP_2) | instskip(SKIP_2) | instid1(VALU_DEP_1)
	v_exp_f32_e32 v4, v4
	s_waitcnt_depctr 0xfff
	v_ldexp_f32 v4, v4, v5
	v_cndmask_b32_e64 v4, 0, v4, s7
	v_cmp_nlt_f32_e64 s7, 0x42b17218, v3
	s_delay_alu instid0(VALU_DEP_1) | instskip(SKIP_4) | instid1(VALU_DEP_2)
	v_cndmask_b32_e64 v178, 0x7f800000, v4, s7
	ds_bpermute_b32 v3, v107, v178
	v_cndmask_b32_e64 v0, v0, v178, s5
	v_cndmask_b32_e64 v2, v2, v178, s6
	s_waitcnt lgkmcnt(0)
	v_cndmask_b32_e64 v0, v0, v3, s4
	s_delay_alu instid0(VALU_DEP_2) | instskip(NEXT) | instid1(VALU_DEP_2)
	v_cndmask_b32_e32 v2, v2, v3, vcc_lo
	v_cvt_f16_f32_e32 v3, v0
	s_delay_alu instid0(VALU_DEP_2) | instskip(NEXT) | instid1(VALU_DEP_1)
	v_cvt_f16_f32_e32 v4, v2
	v_pack_b32_f16 v202, v3, v4
	v_sub_f32_e32 v3, v117, v209
	s_delay_alu instid0(VALU_DEP_1) | instskip(SKIP_1) | instid1(VALU_DEP_2)
	v_mul_f32_e32 v4, 0x3fb8aa3b, v3
	v_cmp_ngt_f32_e64 s7, 0xc2ce8ed0, v3
	v_fma_f32 v5, 0x3fb8aa3b, v3, -v4
	v_rndne_f32_e32 v6, v4
	s_delay_alu instid0(VALU_DEP_1) | instskip(NEXT) | instid1(VALU_DEP_1)
	v_dual_fmac_f32 v5, 0x32a5705f, v3 :: v_dual_sub_f32 v4, v4, v6
	v_add_f32_e32 v4, v4, v5
	v_cvt_i32_f32_e32 v5, v6
	s_delay_alu instid0(VALU_DEP_2) | instskip(SKIP_2) | instid1(VALU_DEP_1)
	v_exp_f32_e32 v4, v4
	s_waitcnt_depctr 0xfff
	v_ldexp_f32 v4, v4, v5
	v_cndmask_b32_e64 v4, 0, v4, s7
	v_cmp_nlt_f32_e64 s7, 0x42b17218, v3
	s_delay_alu instid0(VALU_DEP_1) | instskip(SKIP_4) | instid1(VALU_DEP_2)
	v_cndmask_b32_e64 v226, 0x7f800000, v4, s7
	ds_bpermute_b32 v3, v107, v226
	v_cndmask_b32_e64 v0, v0, v226, s5
	v_cndmask_b32_e64 v2, v2, v226, s6
	s_waitcnt lgkmcnt(0)
	v_cndmask_b32_e64 v0, v0, v3, s4
	s_delay_alu instid0(VALU_DEP_2) | instskip(NEXT) | instid1(VALU_DEP_2)
	v_cndmask_b32_e32 v2, v2, v3, vcc_lo
	v_cvt_f16_f32_e32 v3, v0
	s_delay_alu instid0(VALU_DEP_2) | instskip(NEXT) | instid1(VALU_DEP_1)
	v_cvt_f16_f32_e32 v4, v2
	v_pack_b32_f16 v203, v3, v4
	v_dual_sub_f32 v3, v118, v209 :: v_dual_add_nc_u32 v118, 0x800, v244
	s_delay_alu instid0(VALU_DEP_1) | instskip(SKIP_1) | instid1(VALU_DEP_2)
	v_mul_f32_e32 v4, 0x3fb8aa3b, v3
	v_cmp_ngt_f32_e64 s7, 0xc2ce8ed0, v3
	v_fma_f32 v5, 0x3fb8aa3b, v3, -v4
	v_rndne_f32_e32 v6, v4
	s_delay_alu instid0(VALU_DEP_1) | instskip(NEXT) | instid1(VALU_DEP_1)
	v_dual_fmac_f32 v5, 0x32a5705f, v3 :: v_dual_sub_f32 v4, v4, v6
	v_add_f32_e32 v4, v4, v5
	v_cvt_i32_f32_e32 v5, v6
	s_delay_alu instid0(VALU_DEP_2) | instskip(SKIP_2) | instid1(VALU_DEP_1)
	v_exp_f32_e32 v4, v4
	s_waitcnt_depctr 0xfff
	v_ldexp_f32 v4, v4, v5
	v_cndmask_b32_e64 v4, 0, v4, s7
	v_cmp_nlt_f32_e64 s7, 0x42b17218, v3
	s_delay_alu instid0(VALU_DEP_1) | instskip(SKIP_4) | instid1(VALU_DEP_2)
	v_cndmask_b32_e64 v219, 0x7f800000, v4, s7
	ds_bpermute_b32 v3, v107, v219
	v_cndmask_b32_e64 v0, v0, v219, s5
	v_cndmask_b32_e64 v2, v2, v219, s6
	s_waitcnt lgkmcnt(0)
	v_cndmask_b32_e64 v0, v0, v3, s4
	s_delay_alu instid0(VALU_DEP_2) | instskip(NEXT) | instid1(VALU_DEP_2)
	v_cndmask_b32_e32 v2, v2, v3, vcc_lo
	v_cvt_f16_f32_e32 v3, v0
	s_delay_alu instid0(VALU_DEP_2) | instskip(NEXT) | instid1(VALU_DEP_1)
	v_cvt_f16_f32_e32 v4, v2
	v_pack_b32_f16 v204, v3, v4
	v_sub_f32_e32 v3, v119, v209
	s_delay_alu instid0(VALU_DEP_1) | instskip(SKIP_1) | instid1(VALU_DEP_2)
	v_mul_f32_e32 v4, 0x3fb8aa3b, v3
	v_cmp_ngt_f32_e64 s7, 0xc2ce8ed0, v3
	v_fma_f32 v5, 0x3fb8aa3b, v3, -v4
	v_rndne_f32_e32 v6, v4
	s_delay_alu instid0(VALU_DEP_1) | instskip(NEXT) | instid1(VALU_DEP_1)
	v_dual_fmac_f32 v5, 0x32a5705f, v3 :: v_dual_sub_f32 v4, v4, v6
	v_add_f32_e32 v4, v4, v5
	v_cvt_i32_f32_e32 v5, v6
	s_delay_alu instid0(VALU_DEP_2) | instskip(SKIP_2) | instid1(VALU_DEP_1)
	v_exp_f32_e32 v4, v4
	s_waitcnt_depctr 0xfff
	v_ldexp_f32 v4, v4, v5
	v_cndmask_b32_e64 v4, 0, v4, s7
	v_cmp_nlt_f32_e64 s7, 0x42b17218, v3
	s_delay_alu instid0(VALU_DEP_1)
	v_cndmask_b32_e64 v106, 0x7f800000, v4, s7
	v_cmp_ngt_f32_e64 s7, 0xc2ce8ed0, v1
	ds_bpermute_b32 v3, v107, v106
	v_cndmask_b32_e64 v0, v0, v106, s5
	v_cndmask_b32_e64 v2, v2, v106, s6
	s_waitcnt lgkmcnt(0)
	s_delay_alu instid0(VALU_DEP_2) | instskip(NEXT) | instid1(VALU_DEP_2)
	v_cndmask_b32_e64 v0, v0, v3, s4
	v_cndmask_b32_e32 v2, v2, v3, vcc_lo
	s_delay_alu instid0(VALU_DEP_2) | instskip(NEXT) | instid1(VALU_DEP_2)
	v_cvt_f16_f32_e32 v3, v0
	v_cvt_f16_f32_e32 v4, v2
	s_delay_alu instid0(VALU_DEP_1) | instskip(SKIP_1) | instid1(VALU_DEP_1)
	v_pack_b32_f16 v205, v3, v4
	v_mul_f32_e32 v3, 0x3fb8aa3b, v1
	v_fma_f32 v4, 0x3fb8aa3b, v1, -v3
	v_rndne_f32_e32 v5, v3
	s_delay_alu instid0(VALU_DEP_2) | instskip(NEXT) | instid1(VALU_DEP_2)
	v_fmac_f32_e32 v4, 0x32a5705f, v1
	v_sub_f32_e32 v3, v3, v5
	s_delay_alu instid0(VALU_DEP_1) | instskip(SKIP_1) | instid1(VALU_DEP_2)
	v_add_f32_e32 v3, v3, v4
	v_cvt_i32_f32_e32 v4, v5
	v_exp_f32_e32 v3, v3
	s_waitcnt_depctr 0xfff
	v_ldexp_f32 v3, v3, v4
	s_delay_alu instid0(VALU_DEP_1) | instskip(SKIP_1) | instid1(VALU_DEP_1)
	v_cndmask_b32_e64 v3, 0, v3, s7
	v_cmp_nlt_f32_e64 s7, 0x42b17218, v1
	v_cndmask_b32_e64 v184, 0x7f800000, v3, s7
	s_delay_alu instid0(VALU_DEP_1) | instskip(SKIP_3) | instid1(VALU_DEP_1)
	v_cndmask_b32_e64 v1, v2, v184, s6
	ds_bpermute_b32 v2, v107, v184
	v_cndmask_b32_e64 v0, v0, v184, s5
	s_waitcnt lgkmcnt(0)
	v_cndmask_b32_e64 v0, v0, v2, s4
	v_cndmask_b32_e32 v1, v1, v2, vcc_lo
	s_delay_alu instid0(VALU_DEP_2) | instskip(NEXT) | instid1(VALU_DEP_2)
	v_cvt_f16_f32_e32 v0, v0
	v_cvt_f16_f32_e32 v1, v1
	s_delay_alu instid0(VALU_DEP_1)
	v_pack_b32_f16 v206, v0, v1
	v_sub_f32_e32 v0, v194, v209
	ds_load_2addr_b32 v[194:195], v118 offset0:168 offset1:184
	ds_load_2addr_b32 v[150:151], v118 offset0:236 offset1:252
	;; [unrolled: 1-line block ×6, first 2 shown]
	v_mul_f32_e32 v1, 0x3fb8aa3b, v0
	v_cmp_ngt_f32_e32 vcc_lo, 0xc2ce8ed0, v0
	ds_load_2addr_b32 v[254:255], v114 offset0:132 offset1:152
	ds_load_2addr_b32 v[227:228], v114 offset0:200 offset1:220
	;; [unrolled: 1-line block ×4, first 2 shown]
	ds_load_b32 v155, v188 offset:1088
	ds_load_b32 v122, v189 offset:1088
	;; [unrolled: 1-line block ×6, first 2 shown]
	ds_load_2addr_b32 v[240:241], v114 offset0:100 offset1:116
	v_fma_f32 v2, 0x3fb8aa3b, v0, -v1
	v_rndne_f32_e32 v3, v1
	ds_load_2addr_b32 v[242:243], v114 offset0:168 offset1:184
	ds_load_2addr_b32 v[148:149], v114 offset0:236 offset1:252
	ds_load_b32 v127, v187 offset:3264
	ds_load_2addr_b32 v[229:230], v120 offset0:132 offset1:148
	v_dual_fmac_f32 v2, 0x32a5705f, v0 :: v_dual_sub_f32 v1, v1, v3
	s_delay_alu instid0(VALU_DEP_1)
	v_add_f32_e32 v1, v1, v2
	v_cvt_i32_f32_e32 v2, v3
	s_waitcnt lgkmcnt(19)
	v_perm_b32 v5, v150, v194, 0x5040100
	s_waitcnt lgkmcnt(16)
	v_perm_b32 v4, v180, v160, 0x5040100
	;; [unrolled: 2-line block ×3, first 2 shown]
	v_exp_f32_e32 v1, v1
	s_waitcnt lgkmcnt(13)
	v_perm_b32 v3, v228, v255, 0x5040100
	s_waitcnt lgkmcnt(11)
	v_perm_b32 v7, v211, v158, 0x5040100
	s_waitcnt_depctr 0xfff
	v_ldexp_f32 v1, v1, v2
	v_perm_b32 v2, v222, v221, 0x5040100
	s_delay_alu instid0(VALU_DEP_2) | instskip(SKIP_1) | instid1(VALU_DEP_2)
	v_cndmask_b32_e32 v1, 0, v1, vcc_lo
	v_cmp_nlt_f32_e32 vcc_lo, 0x42b17218, v0
	v_cndmask_b32_e32 v1, 0x7f800000, v1, vcc_lo
	v_cmp_le_f32_e32 vcc_lo, 0xc1a00000, v0
	v_perm_b32 v0, v232, v207, 0x5040100
	s_delay_alu instid0(VALU_DEP_3) | instskip(SKIP_3) | instid1(VALU_DEP_4)
	v_cndmask_b32_e32 v182, 0, v1, vcc_lo
	v_perm_b32 v1, v236, v234, 0x5040100
	v_add_co_u32 v104, vcc_lo, v104, 64
	v_add_co_ci_u32_e32 v105, vcc_lo, 0, v105, vcc_lo
	v_cvt_f16_f32_e64 v169, v182
	v_add_co_u32 v108, vcc_lo, v108, s60
	v_add_co_ci_u32_e32 v109, vcc_lo, s61, v109, vcc_lo
	s_delay_alu instid0(VALU_DEP_3)
	v_pk_mul_f16 v32, v169, v32 op_sel_hi:[0,1]
	v_pk_mul_f16 v33, v169, v33 op_sel_hi:[0,1]
	v_pk_mul_f16 v34, v169, v34 op_sel_hi:[0,1]
	v_pk_mul_f16 v35, v169, v35 op_sel_hi:[0,1]
	v_pk_mul_f16 v36, v169, v36 op_sel_hi:[0,1]
	v_pk_mul_f16 v37, v169, v37 op_sel_hi:[0,1]
	v_pk_mul_f16 v38, v169, v38 op_sel_hi:[0,1]
	v_pk_mul_f16 v39, v169, v39 op_sel_hi:[0,1]
	v_pk_mul_f16 v24, v169, v24 op_sel_hi:[0,1]
	v_pk_mul_f16 v25, v169, v25 op_sel_hi:[0,1]
	v_pk_mul_f16 v26, v169, v26 op_sel_hi:[0,1]
	v_pk_mul_f16 v27, v169, v27 op_sel_hi:[0,1]
	v_wmma_f16_16x16x16_f16 v[32:39], v[0:7], v[199:206], v[32:39]
	v_add_nc_u32_e32 v4, 0x1000, v244
	ds_load_2addr_b32 v[167:168], v4 offset0:12 offset1:28
	ds_load_2addr_b32 v[163:164], v120 offset0:200 offset1:216
	;; [unrolled: 1-line block ×6, first 2 shown]
	ds_load_b32 v128, v188 offset:3264
	ds_load_2addr_b32 v[116:117], v118 offset0:132 offset1:148
	ds_load_2addr_b32 v[118:119], v118 offset0:200 offset1:216
	;; [unrolled: 1-line block ×3, first 2 shown]
	v_pk_mul_f16 v28, v169, v28 op_sel_hi:[0,1]
	v_pk_mul_f16 v29, v169, v29 op_sel_hi:[0,1]
	;; [unrolled: 1-line block ×20, first 2 shown]
	ds_load_b32 v129, v189 offset:2176
	ds_load_b32 v169, v189 offset:3264
	v_perm_b32 v0, v233, v208, 0x5040100
	v_perm_b32 v1, v237, v235, 0x5040100
	s_waitcnt lgkmcnt(16)
	v_perm_b32 v2, v240, v125, 0x5040100
	s_waitcnt lgkmcnt(14)
	v_perm_b32 v3, v148, v242, 0x5040100
	v_perm_b32 v5, v151, v195, 0x5040100
	s_waitcnt lgkmcnt(12)
	v_perm_b32 v6, v229, v127, 0x5040100
	s_waitcnt lgkmcnt(10)
	v_perm_b32 v7, v167, v163, 0x5040100
	v_perm_b32 v4, v181, v124, 0x5040100
	v_add_co_u32 v110, vcc_lo, v110, s60
	v_add_co_ci_u32_e32 v111, vcc_lo, s61, v111, vcc_lo
	s_delay_alu instid0(VALU_DEP_3)
	v_wmma_f16_16x16x16_f16 v[24:31], v[0:7], v[199:206], v[24:31]
	s_waitcnt lgkmcnt(8)
	v_perm_b32 v0, v238, v224, 0x5040100
	v_perm_b32 v2, v241, v155, 0x5040100
	s_waitcnt lgkmcnt(6)
	v_perm_b32 v1, v114, v192, 0x5040100
	v_perm_b32 v3, v149, v243, 0x5040100
	;; [unrolled: 3-line block ×3, first 2 shown]
	s_waitcnt lgkmcnt(4)
	v_perm_b32 v4, v116, v123, 0x5040100
	s_waitcnt lgkmcnt(2)
	v_perm_b32 v5, v120, v118, 0x5040100
	v_add_co_u32 v161, vcc_lo, v161, s60
	v_add_co_ci_u32_e32 v162, vcc_lo, s61, v162, vcc_lo
	s_delay_alu instid0(VALU_DEP_3)
	v_wmma_f16_16x16x16_f16 v[16:23], v[0:7], v[199:206], v[16:23]
	v_perm_b32 v0, v239, v225, 0x5040100
	v_perm_b32 v1, v115, v193, 0x5040100
	;; [unrolled: 1-line block ×4, first 2 shown]
	s_waitcnt lgkmcnt(1)
	v_perm_b32 v4, v117, v129, 0x5040100
	v_perm_b32 v5, v121, v119, 0x5040100
	s_waitcnt lgkmcnt(0)
	v_perm_b32 v6, v157, v169, 0x5040100
	v_perm_b32 v7, v126, v210, 0x5040100
	v_add_co_u32 v165, vcc_lo, v165, s60
	v_add_co_ci_u32_e32 v166, vcc_lo, s61, v166, vcc_lo
	s_delay_alu instid0(VALU_DEP_3)
	v_wmma_f16_16x16x16_f16 v[8:15], v[0:7], v[199:206], v[8:15]
	v_perm_b32 v2, v222, v221, 0x7060302
	v_perm_b32 v6, v191, v190, 0x7060302
	v_perm_b32 v0, v232, v207, 0x7060302
	v_perm_b32 v1, v236, v234, 0x7060302
	v_perm_b32 v5, v150, v194, 0x7060302
	v_perm_b32 v4, v180, v160, 0x7060302
	v_perm_b32 v3, v228, v255, 0x7060302
	v_perm_b32 v7, v211, v158, 0x7060302
	v_add_co_u32 v147, vcc_lo, v147, s60
	v_add_co_ci_u32_e32 v173, vcc_lo, s61, v173, vcc_lo
	s_delay_alu instid0(VALU_DEP_3)
	v_wmma_f16_16x16x16_f16 v[32:39], v[0:7], v[199:206], v[32:39] op_sel:[0,0,1]
	v_perm_b32 v0, v233, v208, 0x7060302
	v_perm_b32 v1, v237, v235, 0x7060302
	v_perm_b32 v5, v151, v195, 0x7060302
	v_perm_b32 v4, v181, v124, 0x7060302
	v_perm_b32 v2, v240, v125, 0x7060302
	v_perm_b32 v6, v229, v127, 0x7060302
	v_perm_b32 v3, v148, v242, 0x7060302
	v_perm_b32 v7, v167, v163, 0x7060302
	v_add_co_u32 v196, vcc_lo, v196, s60
	v_add_co_ci_u32_e32 v198, vcc_lo, s61, v198, vcc_lo
	s_delay_alu instid0(VALU_DEP_3)
	v_wmma_f16_16x16x16_f16 v[24:31], v[0:7], v[199:206], v[24:31] op_sel:[0,0,1]
	v_perm_b32 v3, v149, v243, 0x7060302
	v_perm_b32 v7, v168, v164, 0x7060302
	v_perm_b32 v2, v241, v155, 0x7060302
	v_perm_b32 v6, v230, v128, 0x7060302
	v_perm_b32 v4, v116, v123, 0x7060302
	v_perm_b32 v0, v238, v224, 0x7060302
	v_perm_b32 v1, v114, v192, 0x7060302
	v_perm_b32 v5, v120, v118, 0x7060302
	v_add_co_u32 v156, vcc_lo, v156, s60
	v_add_co_ci_u32_e32 v170, vcc_lo, s61, v170, vcc_lo
	s_delay_alu instid0(VALU_DEP_3)
	v_wmma_f16_16x16x16_f16 v[16:23], v[0:7], v[199:206], v[16:23] op_sel:[0,0,1]
	v_perm_b32 v0, v239, v225, 0x7060302
	v_perm_b32 v1, v115, v193, 0x7060302
	;; [unrolled: 1-line block ×8, first 2 shown]
	v_add_co_u32 v171, vcc_lo, v171, s60
	v_add_co_ci_u32_e32 v172, vcc_lo, s61, v172, vcc_lo
	s_delay_alu instid0(VALU_DEP_3) | instskip(SKIP_3) | instid1(VALU_DEP_3)
	v_wmma_f16_16x16x16_f16 v[8:15], v[0:7], v[199:206], v[8:15] op_sel:[0,0,1]
	v_add_f32_e32 v0, v174, v197
	v_add_co_u32 v175, vcc_lo, v175, s62
	v_add_co_ci_u32_e32 v176, vcc_lo, s63, v176, vcc_lo
	v_add_f32_e32 v0, v213, v0
	v_add_co_u32 v177, vcc_lo, v177, s62
	v_add_co_ci_u32_e32 v146, vcc_lo, s63, v146, vcc_lo
	s_delay_alu instid0(VALU_DEP_3) | instskip(SKIP_2) | instid1(VALU_DEP_3)
	v_add_f32_e32 v0, v178, v0
	v_add_co_u32 v112, vcc_lo, v112, s62
	v_add_co_ci_u32_e32 v113, vcc_lo, s63, v113, vcc_lo
	v_add_f32_e32 v0, v226, v0
	v_add_co_u32 v154, vcc_lo, v154, s62
	v_add_co_ci_u32_e32 v153, vcc_lo, s63, v153, vcc_lo
	s_delay_alu instid0(VALU_DEP_3) | instskip(SKIP_2) | instid1(VALU_DEP_3)
	v_add_f32_e32 v0, v219, v0
	v_add_co_u32 v215, vcc_lo, v215, s62
	v_add_co_ci_u32_e32 v217, vcc_lo, s63, v217, vcc_lo
	v_add_f32_e32 v0, v106, v0
	v_add_co_u32 v218, vcc_lo, v218, s62
	v_add_co_ci_u32_e32 v220, vcc_lo, s63, v220, vcc_lo
	s_delay_alu instid0(VALU_DEP_3) | instskip(SKIP_3) | instid1(VALU_DEP_4)
	v_add_f32_e32 v194, v184, v0
	v_add_co_u32 v212, vcc_lo, v212, s62
	v_add_co_ci_u32_e32 v214, vcc_lo, s63, v214, vcc_lo
	v_add_co_u32 v216, vcc_lo, v216, s62
	v_fmac_f32_e32 v194, v152, v182
	v_add_co_ci_u32_e32 v223, vcc_lo, s63, v223, vcc_lo
	s_barrier
	buffer_gl0_inv
	s_cbranch_scc0 .LBB24_181
; %bb.179:                              ;   in Loop: Header=BB24_178 Depth=2
	v_mov_b32_e32 v152, v194
	v_mov_b32_e32 v194, v209
	s_and_saveexec_b32 s4, s0
	s_cbranch_execnz .LBB24_177
	s_branch .LBB24_178
.LBB24_180:                             ;   in Loop: Header=BB24_10 Depth=1
	v_dual_mov_b32 v194, 0 :: v_dual_mov_b32 v209, 0xfeffffff
	v_dual_mov_b32 v38, 0 :: v_dual_mov_b32 v37, 0
	;; [unrolled: 1-line block ×16, first 2 shown]
	v_mov_b32_e32 v8, 0
.LBB24_181:                             ;   in Loop: Header=BB24_10 Depth=1
	s_lshl_b32 s56, s67, 5
	s_and_saveexec_b32 s4, s0
	s_cbranch_execz .LBB24_183
; %bb.182:                              ;   in Loop: Header=BB24_10 Depth=1
	scratch_load_b32 v0, off, off offset:96 ; 4-byte Folded Reload
	s_lshl_b64 s[6:7], s[56:57], 1
	s_clause 0x1
	scratch_load_b32 v3, off, off offset:88
	scratch_load_b32 v4, off, off offset:188
	s_waitcnt vmcnt(2)
	v_add_nc_u32_e32 v0, s89, v0
	s_waitcnt vmcnt(0)
	v_lshlrev_b32_e32 v4, 1, v4
	s_delay_alu instid0(VALU_DEP_2) | instskip(NEXT) | instid1(VALU_DEP_1)
	v_lshl_or_b32 v0, v0, 1, v179
	v_mul_hi_u32 v1, s12, v0
	s_delay_alu instid0(VALU_DEP_1) | instskip(NEXT) | instid1(VALU_DEP_1)
	v_add_nc_u32_e32 v1, v0, v1
	v_lshrrev_b32_e32 v1, s13, v1
	s_delay_alu instid0(VALU_DEP_1) | instskip(NEXT) | instid1(VALU_DEP_1)
	v_mul_lo_u32 v1, v1, s8
	v_sub_nc_u32_e32 v2, v0, v1
	s_delay_alu instid0(VALU_DEP_1)
	v_mad_i64_i32 v[0:1], null, v2, s40, 0
	scratch_load_b32 v2, off, off offset:84 ; 4-byte Folded Reload
	v_lshlrev_b64 v[0:1], 1, v[0:1]
	s_waitcnt vmcnt(0)
	v_add_co_u32 v2, vcc_lo, v2, s6
	v_add_co_ci_u32_e32 v3, vcc_lo, s7, v3, vcc_lo
	s_delay_alu instid0(VALU_DEP_2) | instskip(NEXT) | instid1(VALU_DEP_2)
	v_add_co_u32 v0, vcc_lo, v2, v0
	v_add_co_ci_u32_e32 v1, vcc_lo, v3, v1, vcc_lo
	s_delay_alu instid0(VALU_DEP_2) | instskip(NEXT) | instid1(VALU_DEP_2)
	v_add_co_u32 v0, vcc_lo, v0, v4
	v_add_co_ci_u32_e32 v1, vcc_lo, 0, v1, vcc_lo
	global_load_b32 v0, v[0:1], off
	scratch_load_b32 v1, off, off offset:68 ; 4-byte Folded Reload
	s_waitcnt vmcnt(0)
	ds_store_b32 v1, v0 offset:8704
.LBB24_183:                             ;   in Loop: Header=BB24_10 Depth=1
	s_or_b32 exec_lo, exec_lo, s4
	scratch_load_b32 v0, off, off           ; 4-byte Folded Reload
	s_mul_i32 s5, s56, s35
	s_mul_hi_u32 s6, s56, s34
	s_mul_i32 s4, s56, s34
	s_add_i32 s5, s6, s5
	v_mov_b32_e32 v232, v231
	s_lshl_b64 s[4:5], s[4:5], 2
	v_mov_b32_e32 v234, v231
	s_add_u32 s4, s90, s4
	s_addc_u32 s5, s91, s5
	v_mov_b32_e32 v235, v231
	v_mov_b32_e32 v236, v231
	;; [unrolled: 1-line block ×4, first 2 shown]
	s_mul_hi_u32 s6, s56, s10
	v_mov_b32_e32 v233, v231
	v_dual_mov_b32 v198, v231 :: v_dual_mov_b32 v199, v232
	v_dual_mov_b32 v202, v235 :: v_dual_mov_b32 v203, v236
	;; [unrolled: 1-line block ×3, first 2 shown]
	s_delay_alu instid0(VALU_DEP_4)
	v_dual_mov_b32 v200, v233 :: v_dual_mov_b32 v201, v234
	v_add_nc_u32_e32 v105, 0xc00, v244
	s_waitcnt vmcnt(0)
	v_lshlrev_b32_e32 v104, 2, v0
	v_add_co_u32 v0, vcc_lo, s4, v130
	v_add_co_ci_u32_e32 v2, vcc_lo, s5, v131, vcc_lo
	s_delay_alu instid0(VALU_DEP_2) | instskip(NEXT) | instid1(VALU_DEP_2)
	v_add_co_u32 v1, vcc_lo, v0, v104
	v_add_co_ci_u32_e32 v2, vcc_lo, 0, v2, vcc_lo
	v_add_co_u32 v0, vcc_lo, s4, v132
	v_add_co_ci_u32_e32 v3, vcc_lo, s5, v133, vcc_lo
	s_delay_alu instid0(VALU_DEP_2) | instskip(NEXT) | instid1(VALU_DEP_2)
	v_add_co_u32 v4, vcc_lo, v0, v104
	v_add_co_ci_u32_e32 v5, vcc_lo, 0, v3, vcc_lo
	s_clause 0x1
	global_load_b128 v[0:3], v[1:2], off
	global_load_b128 v[4:7], v[4:5], off
	s_waitcnt vmcnt(1)
	ds_store_b128 v185, v[0:3]
	s_waitcnt vmcnt(0)
	ds_store_b128 v246, v[4:7]
	v_add_co_u32 v0, vcc_lo, s4, v134
	v_add_co_ci_u32_e32 v1, vcc_lo, s5, v135, vcc_lo
	s_delay_alu instid0(VALU_DEP_2) | instskip(NEXT) | instid1(VALU_DEP_2)
	v_add_co_u32 v0, vcc_lo, v0, v104
	v_add_co_ci_u32_e32 v1, vcc_lo, 0, v1, vcc_lo
	v_add_co_u32 v2, vcc_lo, s4, v136
	v_add_co_ci_u32_e32 v3, vcc_lo, s5, v137, vcc_lo
	s_delay_alu instid0(VALU_DEP_2) | instskip(NEXT) | instid1(VALU_DEP_2)
	v_add_co_u32 v4, vcc_lo, v2, v104
	v_add_co_ci_u32_e32 v5, vcc_lo, 0, v3, vcc_lo
	s_clause 0x1
	global_load_b128 v[0:3], v[0:1], off
	global_load_b128 v[4:7], v[4:5], off
	s_waitcnt vmcnt(1)
	ds_store_b128 v247, v[0:3]
	s_waitcnt vmcnt(0)
	ds_store_b128 v248, v[4:7]
	v_add_co_u32 v0, vcc_lo, s4, v138
	v_add_co_ci_u32_e32 v1, vcc_lo, s5, v139, vcc_lo
	s_delay_alu instid0(VALU_DEP_2) | instskip(NEXT) | instid1(VALU_DEP_2)
	v_add_co_u32 v0, vcc_lo, v0, v104
	v_add_co_ci_u32_e32 v1, vcc_lo, 0, v1, vcc_lo
	v_add_co_u32 v2, vcc_lo, s4, v140
	v_add_co_ci_u32_e32 v3, vcc_lo, s5, v141, vcc_lo
	s_delay_alu instid0(VALU_DEP_2) | instskip(NEXT) | instid1(VALU_DEP_2)
	v_add_co_u32 v4, vcc_lo, v2, v104
	v_add_co_ci_u32_e32 v5, vcc_lo, 0, v3, vcc_lo
	s_clause 0x1
	global_load_b128 v[0:3], v[0:1], off
	global_load_b128 v[4:7], v[4:5], off
	s_waitcnt vmcnt(1)
	ds_store_b128 v249, v[0:3]
	s_waitcnt vmcnt(0)
	ds_store_b128 v250, v[4:7]
	v_add_co_u32 v0, vcc_lo, s4, v142
	v_add_co_ci_u32_e32 v1, vcc_lo, s5, v143, vcc_lo
	s_delay_alu instid0(VALU_DEP_2) | instskip(NEXT) | instid1(VALU_DEP_2)
	v_add_co_u32 v0, vcc_lo, v0, v104
	v_add_co_ci_u32_e32 v1, vcc_lo, 0, v1, vcc_lo
	v_add_co_u32 v2, vcc_lo, s4, v144
	v_add_co_ci_u32_e32 v3, vcc_lo, s5, v145, vcc_lo
	s_mul_i32 s5, s56, s11
	s_delay_alu instid0(VALU_DEP_2) | instskip(NEXT) | instid1(VALU_DEP_2)
	v_add_co_u32 v4, vcc_lo, v2, v104
	v_add_co_ci_u32_e32 v5, vcc_lo, 0, v3, vcc_lo
	s_clause 0x1
	global_load_b128 v[0:3], v[0:1], off
	global_load_b128 v[4:7], v[4:5], off
	s_waitcnt vmcnt(1)
	ds_store_b128 v251, v[0:3]
	s_waitcnt vmcnt(0)
	ds_store_b128 v252, v[4:7]
	s_waitcnt lgkmcnt(0)
	s_waitcnt_vscnt null, 0x0
	s_barrier
	buffer_gl0_inv
	ds_load_b128 v[0:3], v183
	ds_load_b128 v[4:7], v183 offset:16
	s_mul_i32 s4, s56, s10
	s_add_i32 s5, s6, s5
	v_cmp_eq_u32_e64 s6, 1, v179
	s_lshl_b64 s[4:5], s[4:5], 2
	s_delay_alu instid0(SALU_CYCLE_1)
	s_add_u32 s4, s87, s4
	s_addc_u32 s5, s88, s5
	s_cmp_lg_u64 s[64:65], 0
	s_waitcnt lgkmcnt(0)
	v_wmma_f32_16x16x16_f16 v[198:205], v[0:7], v[48:55], v[198:205]
	ds_load_b128 v[0:3], v183 offset:32
	ds_load_b128 v[4:7], v183 offset:48
	s_waitcnt lgkmcnt(0)
	v_wmma_f32_16x16x16_f16 v[198:205], v[0:7], v[40:47], v[198:205]
	ds_load_b128 v[0:3], v183 offset:64
	ds_load_b128 v[4:7], v183 offset:80
	s_waitcnt lgkmcnt(0)
	v_wmma_f32_16x16x16_f16 v[198:205], v[0:7], v[56:63], v[198:205]
	ds_load_b128 v[0:3], v183 offset:96
	ds_load_b128 v[4:7], v183 offset:112
	s_waitcnt lgkmcnt(0)
	v_wmma_f32_16x16x16_f16 v[198:205], v[0:7], v[64:71], v[198:205]
	ds_load_b128 v[0:3], v183 offset:128
	ds_load_b128 v[4:7], v183 offset:144
	s_waitcnt lgkmcnt(0)
	v_wmma_f32_16x16x16_f16 v[198:205], v[0:7], v[72:79], v[198:205]
	ds_load_b128 v[0:3], v183 offset:160
	ds_load_b128 v[4:7], v183 offset:176
	s_waitcnt lgkmcnt(0)
	v_wmma_f32_16x16x16_f16 v[198:205], v[0:7], v[80:87], v[198:205]
	ds_load_b128 v[0:3], v183 offset:192
	ds_load_b128 v[4:7], v183 offset:208
	v_add_nc_u32_e32 v85, 0x400, v244
	s_waitcnt lgkmcnt(0)
	v_wmma_f32_16x16x16_f16 v[198:205], v[0:7], v[88:95], v[198:205]
	ds_load_b128 v[0:3], v183 offset:224
	ds_load_b128 v[4:7], v183 offset:240
	s_waitcnt lgkmcnt(0)
	s_barrier
	buffer_gl0_inv
	v_wmma_f32_16x16x16_f16 v[198:205], v[0:7], v[96:103], v[198:205]
	ds_load_u16 v0, v186 offset:8704
	ds_load_u16 v1, v186 offset:8708
	;; [unrolled: 1-line block ×8, first 2 shown]
	v_add_nc_u32_e32 v103, 0x800, v244
	s_waitcnt lgkmcnt(7)
	v_cvt_f32_f16_e32 v0, v0
	s_waitcnt lgkmcnt(6)
	v_cvt_f32_f16_e32 v1, v1
	;; [unrolled: 2-line block ×7, first 2 shown]
	v_dual_add_f32 v49, v198, v0 :: v_dual_add_f32 v48, v200, v2
	v_dual_add_f32 v50, v199, v1 :: v_dual_add_f32 v47, v201, v3
	s_delay_alu instid0(VALU_DEP_3) | instskip(NEXT) | instid1(VALU_DEP_2)
	v_dual_add_f32 v44, v203, v5 :: v_dual_add_f32 v43, v204, v6
	v_dual_add_f32 v0, 0x40051340, v49 :: v_dual_add_f32 v1, 0x40051340, v50
	s_waitcnt lgkmcnt(0)
	v_cvt_f32_f16_e32 v7, v7
	v_dual_add_f32 v45, v202, v4 :: v_dual_add_f32 v2, 0x40051340, v47
	s_delay_alu instid0(VALU_DEP_3) | instskip(NEXT) | instid1(VALU_DEP_3)
	v_max3_f32 v0, v209, v0, v1
	v_dual_add_f32 v1, 0x40051340, v48 :: v_dual_add_f32 v42, v205, v7
	s_delay_alu instid0(VALU_DEP_1) | instskip(NEXT) | instid1(VALU_DEP_4)
	v_max3_f32 v0, v0, v1, v2
	v_dual_add_f32 v1, 0x40051340, v45 :: v_dual_add_f32 v2, 0x40051340, v44
	s_delay_alu instid0(VALU_DEP_1) | instskip(NEXT) | instid1(VALU_DEP_4)
	v_max3_f32 v0, v0, v1, v2
	v_dual_add_f32 v1, 0x40051340, v43 :: v_dual_add_f32 v2, 0x40051340, v42
	s_delay_alu instid0(VALU_DEP_1) | instskip(SKIP_4) | instid1(VALU_DEP_2)
	v_max3_f32 v0, v0, v1, v2
	scratch_load_b32 v2, off, off offset:184 ; 4-byte Folded Reload
	v_mbcnt_lo_u32_b32 v1, -1, 0
	s_waitcnt vmcnt(0)
	v_cmp_gt_i32_e32 vcc_lo, 32, v2
	v_cndmask_b32_e32 v1, v1, v2, vcc_lo
	s_delay_alu instid0(VALU_DEP_1) | instskip(SKIP_3) | instid1(VALU_DEP_1)
	v_lshlrev_b32_e32 v40, 2, v1
	ds_bpermute_b32 v1, v40, v0
	s_waitcnt lgkmcnt(0)
	v_max_f32_e32 v1, v1, v1
	v_max_f32_e32 v41, v0, v1
	s_delay_alu instid0(VALU_DEP_1) | instskip(NEXT) | instid1(VALU_DEP_1)
	v_sub_f32_e32 v0, v209, v41
	v_mul_f32_e32 v1, 0x3fb8aa3b, v0
	v_cmp_ngt_f32_e32 vcc_lo, 0xc2ce8ed0, v0
	s_delay_alu instid0(VALU_DEP_2) | instskip(SKIP_1) | instid1(VALU_DEP_1)
	v_fma_f32 v2, 0x3fb8aa3b, v0, -v1
	v_rndne_f32_e32 v3, v1
	v_dual_fmac_f32 v2, 0x32a5705f, v0 :: v_dual_sub_f32 v1, v1, v3
	s_delay_alu instid0(VALU_DEP_1) | instskip(SKIP_1) | instid1(VALU_DEP_2)
	v_add_f32_e32 v1, v1, v2
	v_cvt_i32_f32_e32 v2, v3
	v_exp_f32_e32 v1, v1
	s_waitcnt_depctr 0xfff
	v_ldexp_f32 v1, v1, v2
	s_delay_alu instid0(VALU_DEP_1) | instskip(SKIP_1) | instid1(VALU_DEP_2)
	v_cndmask_b32_e32 v1, 0, v1, vcc_lo
	v_cmp_nlt_f32_e32 vcc_lo, 0x42b17218, v0
	v_cndmask_b32_e32 v1, 0x7f800000, v1, vcc_lo
	v_cmp_le_f32_e32 vcc_lo, 0xc1a00000, v0
	s_delay_alu instid0(VALU_DEP_2) | instskip(NEXT) | instid1(VALU_DEP_1)
	v_cndmask_b32_e32 v46, 0, v1, vcc_lo
	v_cvt_f16_f32_e32 v0, v46
	s_delay_alu instid0(VALU_DEP_1)
	v_pk_mul_f16 v2, v0, v9 op_sel_hi:[0,1]
	v_pk_mul_f16 v3, v0, v10 op_sel_hi:[0,1]
	scratch_load_b64 v[9:10], off, off offset:4 ; 8-byte Folded Reload
	v_pk_mul_f16 v4, v0, v11 op_sel_hi:[0,1]
	v_pk_mul_f16 v5, v0, v12 op_sel_hi:[0,1]
	scratch_load_b64 v[11:12], off, off offset:12 ; 8-byte Folded Reload
	v_pk_mul_f16 v32, v0, v32 op_sel_hi:[0,1]
	v_pk_mul_f16 v33, v0, v33 op_sel_hi:[0,1]
	;; [unrolled: 1-line block ×28, first 2 shown]
	s_waitcnt vmcnt(1)
	v_add_co_u32 v0, vcc_lo, s4, v9
	v_add_co_ci_u32_e32 v10, vcc_lo, s5, v10, vcc_lo
	s_delay_alu instid0(VALU_DEP_2) | instskip(NEXT) | instid1(VALU_DEP_2)
	v_add_co_u32 v9, vcc_lo, v0, v104
	v_add_co_ci_u32_e32 v10, vcc_lo, 0, v10, vcc_lo
	s_waitcnt vmcnt(0)
	v_add_co_u32 v0, vcc_lo, s4, v11
	v_add_co_ci_u32_e32 v11, vcc_lo, s5, v12, vcc_lo
	s_delay_alu instid0(VALU_DEP_2) | instskip(NEXT) | instid1(VALU_DEP_2)
	v_add_co_u32 v13, vcc_lo, v0, v104
	v_add_co_ci_u32_e32 v14, vcc_lo, 0, v11, vcc_lo
	s_clause 0x1
	global_load_b128 v[9:12], v[9:10], off
	global_load_b128 v[51:54], v[13:14], off
	s_waitcnt vmcnt(1)
	ds_store_b128 v185, v[9:12]
	s_waitcnt vmcnt(0)
	ds_store_b128 v246, v[51:54]
	s_clause 0x1
	scratch_load_b64 v[9:10], off, off offset:20
	scratch_load_b64 v[11:12], off, off offset:28
	s_waitcnt vmcnt(1)
	v_add_co_u32 v0, vcc_lo, s4, v9
	v_add_co_ci_u32_e32 v10, vcc_lo, s5, v10, vcc_lo
	s_delay_alu instid0(VALU_DEP_2) | instskip(NEXT) | instid1(VALU_DEP_2)
	v_add_co_u32 v9, vcc_lo, v0, v104
	v_add_co_ci_u32_e32 v10, vcc_lo, 0, v10, vcc_lo
	s_waitcnt vmcnt(0)
	v_add_co_u32 v0, vcc_lo, s4, v11
	v_add_co_ci_u32_e32 v11, vcc_lo, s5, v12, vcc_lo
	s_delay_alu instid0(VALU_DEP_2) | instskip(NEXT) | instid1(VALU_DEP_2)
	v_add_co_u32 v13, vcc_lo, v0, v104
	v_add_co_ci_u32_e32 v14, vcc_lo, 0, v11, vcc_lo
	s_clause 0x1
	global_load_b128 v[9:12], v[9:10], off
	global_load_b128 v[51:54], v[13:14], off
	s_waitcnt vmcnt(1)
	ds_store_b128 v247, v[9:12]
	s_waitcnt vmcnt(0)
	ds_store_b128 v248, v[51:54]
	s_clause 0x1
	scratch_load_b64 v[9:10], off, off offset:36
	scratch_load_b64 v[11:12], off, off offset:44
	;; [unrolled: 22-line block ×3, first 2 shown]
	s_waitcnt vmcnt(1)
	v_add_co_u32 v0, vcc_lo, s4, v9
	v_add_co_ci_u32_e32 v10, vcc_lo, s5, v10, vcc_lo
	s_delay_alu instid0(VALU_DEP_2) | instskip(NEXT) | instid1(VALU_DEP_2)
	v_add_co_u32 v9, vcc_lo, v0, v104
	v_add_co_ci_u32_e32 v10, vcc_lo, 0, v10, vcc_lo
	s_waitcnt vmcnt(0)
	v_add_co_u32 v0, vcc_lo, s4, v11
	v_add_co_ci_u32_e32 v11, vcc_lo, s5, v12, vcc_lo
	v_cmp_eq_u32_e64 s5, 0, v179
	s_delay_alu instid0(VALU_DEP_3) | instskip(NEXT) | instid1(VALU_DEP_3)
	v_add_co_u32 v13, vcc_lo, v0, v104
	v_add_co_ci_u32_e32 v14, vcc_lo, 0, v11, vcc_lo
	s_clause 0x1
	global_load_b128 v[9:12], v[9:10], off
	global_load_b128 v[51:54], v[13:14], off
	v_sub_f32_e32 v0, v50, v41
	s_waitcnt vmcnt(1)
	ds_store_b128 v251, v[9:12]
	s_waitcnt vmcnt(0)
	ds_store_b128 v252, v[51:54]
	v_mul_f32_e32 v9, 0x3fb8aa3b, v0
	v_cmp_ngt_f32_e32 vcc_lo, 0xc2ce8ed0, v0
	s_waitcnt lgkmcnt(0)
	s_barrier
	buffer_gl0_inv
	v_fma_f32 v10, 0x3fb8aa3b, v0, -v9
	v_rndne_f32_e32 v11, v9
	s_delay_alu instid0(VALU_DEP_1) | instskip(SKIP_1) | instid1(VALU_DEP_2)
	v_dual_fmac_f32 v10, 0x32a5705f, v0 :: v_dual_sub_f32 v9, v9, v11
	v_cvt_i32_f32_e32 v11, v11
	v_add_f32_e32 v9, v9, v10
	v_sub_f32_e32 v10, v49, v41
	s_delay_alu instid0(VALU_DEP_2) | instskip(NEXT) | instid1(VALU_DEP_1)
	v_exp_f32_e32 v9, v9
	v_mul_f32_e32 v12, 0x3fb8aa3b, v10
	v_cmp_ngt_f32_e64 s4, 0xc2ce8ed0, v10
	s_delay_alu instid0(VALU_DEP_2) | instskip(SKIP_4) | instid1(VALU_DEP_2)
	v_fma_f32 v13, 0x3fb8aa3b, v10, -v12
	v_rndne_f32_e32 v14, v12
	s_waitcnt_depctr 0xfff
	v_ldexp_f32 v9, v9, v11
	v_fmac_f32_e32 v13, 0x32a5705f, v10
	v_dual_sub_f32 v12, v12, v14 :: v_dual_cndmask_b32 v9, 0, v9
	v_cmp_nlt_f32_e32 vcc_lo, 0x42b17218, v0
	s_delay_alu instid0(VALU_DEP_2) | instskip(NEXT) | instid1(VALU_DEP_3)
	v_add_f32_e32 v12, v12, v13
	v_cndmask_b32_e32 v15, 0x7f800000, v9, vcc_lo
	s_delay_alu instid0(VALU_DEP_2) | instskip(SKIP_4) | instid1(VALU_DEP_1)
	v_exp_f32_e32 v11, v12
	v_cvt_i32_f32_e32 v12, v14
	v_cmp_eq_u32_e32 vcc_lo, 1, v253
	s_waitcnt_depctr 0xfff
	v_ldexp_f32 v11, v11, v12
	v_cndmask_b32_e64 v0, 0, v11, s4
	v_cmp_nlt_f32_e64 s4, 0x42b17218, v10
	ds_bpermute_b32 v11, v40, v15
	v_cndmask_b32_e64 v0, 0x7f800000, v0, s4
	v_cmp_eq_u32_e64 s4, 0, v253
	ds_bpermute_b32 v9, v40, v0
	s_waitcnt lgkmcnt(0)
	v_cndmask_b32_e64 v10, v0, v9, s4
	v_cndmask_b32_e32 v9, v0, v9, vcc_lo
	s_delay_alu instid0(VALU_DEP_2) | instskip(NEXT) | instid1(VALU_DEP_2)
	v_cndmask_b32_e64 v12, v10, v15, s5
	v_cndmask_b32_e64 v13, v9, v15, s6
	v_cvt_f16_f32_e32 v10, v10
	v_cvt_f16_f32_e32 v9, v9
	s_delay_alu instid0(VALU_DEP_4) | instskip(NEXT) | instid1(VALU_DEP_2)
	v_cndmask_b32_e64 v12, v12, v11, s4
	v_pack_b32_f16 v49, v10, v9
	v_sub_f32_e32 v9, v48, v41
	v_cndmask_b32_e32 v11, v13, v11, vcc_lo
	s_delay_alu instid0(VALU_DEP_4) | instskip(NEXT) | instid1(VALU_DEP_3)
	v_cvt_f16_f32_e32 v13, v12
	v_mul_f32_e32 v10, 0x3fb8aa3b, v9
	s_delay_alu instid0(VALU_DEP_3) | instskip(SKIP_1) | instid1(VALU_DEP_2)
	v_cvt_f16_f32_e32 v14, v11
	v_cmp_ngt_f32_e64 s7, 0xc2ce8ed0, v9
	v_pack_b32_f16 v50, v13, v14
	s_delay_alu instid0(VALU_DEP_4) | instskip(SKIP_1) | instid1(VALU_DEP_1)
	v_fma_f32 v13, 0x3fb8aa3b, v9, -v10
	v_rndne_f32_e32 v14, v10
	v_dual_fmac_f32 v13, 0x32a5705f, v9 :: v_dual_sub_f32 v10, v10, v14
	s_delay_alu instid0(VALU_DEP_1) | instskip(SKIP_1) | instid1(VALU_DEP_2)
	v_add_f32_e32 v10, v10, v13
	v_cvt_i32_f32_e32 v13, v14
	v_exp_f32_e32 v10, v10
	s_waitcnt_depctr 0xfff
	v_ldexp_f32 v10, v10, v13
	s_delay_alu instid0(VALU_DEP_1) | instskip(SKIP_1) | instid1(VALU_DEP_1)
	v_cndmask_b32_e64 v10, 0, v10, s7
	v_cmp_nlt_f32_e64 s7, 0x42b17218, v9
	v_cndmask_b32_e64 v107, 0x7f800000, v10, s7
	s_delay_alu instid0(VALU_DEP_1) | instskip(SKIP_3) | instid1(VALU_DEP_1)
	v_cndmask_b32_e64 v10, v11, v107, s6
	ds_bpermute_b32 v11, v40, v107
	v_cndmask_b32_e64 v9, v12, v107, s5
	s_waitcnt lgkmcnt(0)
	v_cndmask_b32_e64 v9, v9, v11, s4
	v_cndmask_b32_e32 v10, v10, v11, vcc_lo
	s_delay_alu instid0(VALU_DEP_2) | instskip(NEXT) | instid1(VALU_DEP_2)
	v_cvt_f16_f32_e32 v11, v9
	v_cvt_f16_f32_e32 v12, v10
	s_delay_alu instid0(VALU_DEP_1) | instskip(SKIP_1) | instid1(VALU_DEP_1)
	v_pack_b32_f16 v51, v11, v12
	v_sub_f32_e32 v11, v47, v41
	v_mul_f32_e32 v12, 0x3fb8aa3b, v11
	v_cmp_ngt_f32_e64 s7, 0xc2ce8ed0, v11
	s_delay_alu instid0(VALU_DEP_2) | instskip(SKIP_1) | instid1(VALU_DEP_1)
	v_fma_f32 v13, 0x3fb8aa3b, v11, -v12
	v_rndne_f32_e32 v14, v12
	v_dual_fmac_f32 v13, 0x32a5705f, v11 :: v_dual_sub_f32 v12, v12, v14
	v_add_f32_e32 v0, v0, v15
	s_delay_alu instid0(VALU_DEP_2) | instskip(SKIP_1) | instid1(VALU_DEP_3)
	v_add_f32_e32 v12, v12, v13
	v_cvt_i32_f32_e32 v13, v14
	v_add_f32_e32 v0, v107, v0
	s_delay_alu instid0(VALU_DEP_3) | instskip(SKIP_2) | instid1(VALU_DEP_1)
	v_exp_f32_e32 v12, v12
	s_waitcnt_depctr 0xfff
	v_ldexp_f32 v12, v12, v13
	v_cndmask_b32_e64 v12, 0, v12, s7
	v_cmp_nlt_f32_e64 s7, 0x42b17218, v11
	s_delay_alu instid0(VALU_DEP_1)
	v_cndmask_b32_e64 v108, 0x7f800000, v12, s7
	ds_bpermute_b32 v11, v40, v108
	v_cndmask_b32_e64 v9, v9, v108, s5
	v_cndmask_b32_e64 v10, v10, v108, s6
	v_add_f32_e32 v0, v108, v0
	s_waitcnt lgkmcnt(0)
	s_delay_alu instid0(VALU_DEP_3) | instskip(NEXT) | instid1(VALU_DEP_3)
	v_cndmask_b32_e64 v9, v9, v11, s4
	v_cndmask_b32_e32 v10, v10, v11, vcc_lo
	s_delay_alu instid0(VALU_DEP_2) | instskip(NEXT) | instid1(VALU_DEP_2)
	v_cvt_f16_f32_e32 v11, v9
	v_cvt_f16_f32_e32 v12, v10
	s_delay_alu instid0(VALU_DEP_1) | instskip(SKIP_1) | instid1(VALU_DEP_1)
	v_pack_b32_f16 v52, v11, v12
	v_sub_f32_e32 v11, v45, v41
	v_mul_f32_e32 v12, 0x3fb8aa3b, v11
	v_cmp_ngt_f32_e64 s7, 0xc2ce8ed0, v11
	s_delay_alu instid0(VALU_DEP_2) | instskip(SKIP_1) | instid1(VALU_DEP_1)
	v_fma_f32 v13, 0x3fb8aa3b, v11, -v12
	v_rndne_f32_e32 v14, v12
	v_dual_fmac_f32 v13, 0x32a5705f, v11 :: v_dual_sub_f32 v12, v12, v14
	s_delay_alu instid0(VALU_DEP_1) | instskip(SKIP_1) | instid1(VALU_DEP_2)
	v_add_f32_e32 v12, v12, v13
	v_cvt_i32_f32_e32 v13, v14
	v_exp_f32_e32 v12, v12
	s_waitcnt_depctr 0xfff
	v_ldexp_f32 v12, v12, v13
	s_delay_alu instid0(VALU_DEP_1) | instskip(SKIP_1) | instid1(VALU_DEP_1)
	v_cndmask_b32_e64 v12, 0, v12, s7
	v_cmp_nlt_f32_e64 s7, 0x42b17218, v11
	v_cndmask_b32_e64 v109, 0x7f800000, v12, s7
	ds_bpermute_b32 v11, v40, v109
	v_cndmask_b32_e64 v9, v9, v109, s5
	v_cndmask_b32_e64 v10, v10, v109, s6
	v_add_f32_e32 v0, v109, v0
	s_waitcnt lgkmcnt(0)
	s_delay_alu instid0(VALU_DEP_3) | instskip(NEXT) | instid1(VALU_DEP_3)
	v_cndmask_b32_e64 v9, v9, v11, s4
	v_cndmask_b32_e32 v10, v10, v11, vcc_lo
	s_delay_alu instid0(VALU_DEP_2) | instskip(NEXT) | instid1(VALU_DEP_2)
	v_cvt_f16_f32_e32 v11, v9
	v_cvt_f16_f32_e32 v12, v10
	s_delay_alu instid0(VALU_DEP_1) | instskip(SKIP_1) | instid1(VALU_DEP_1)
	v_pack_b32_f16 v53, v11, v12
	v_sub_f32_e32 v11, v44, v41
	v_mul_f32_e32 v12, 0x3fb8aa3b, v11
	v_cmp_ngt_f32_e64 s7, 0xc2ce8ed0, v11
	s_delay_alu instid0(VALU_DEP_2) | instskip(SKIP_1) | instid1(VALU_DEP_1)
	v_fma_f32 v13, 0x3fb8aa3b, v11, -v12
	v_rndne_f32_e32 v14, v12
	v_dual_fmac_f32 v13, 0x32a5705f, v11 :: v_dual_sub_f32 v12, v12, v14
	s_delay_alu instid0(VALU_DEP_1) | instskip(SKIP_1) | instid1(VALU_DEP_2)
	v_add_f32_e32 v12, v12, v13
	v_cvt_i32_f32_e32 v13, v14
	v_exp_f32_e32 v12, v12
	s_waitcnt_depctr 0xfff
	v_ldexp_f32 v12, v12, v13
	s_delay_alu instid0(VALU_DEP_1) | instskip(SKIP_1) | instid1(VALU_DEP_1)
	v_cndmask_b32_e64 v12, 0, v12, s7
	v_cmp_nlt_f32_e64 s7, 0x42b17218, v11
	v_cndmask_b32_e64 v110, 0x7f800000, v12, s7
	ds_bpermute_b32 v11, v40, v110
	v_cndmask_b32_e64 v9, v9, v110, s5
	v_cndmask_b32_e64 v10, v10, v110, s6
	v_add_f32_e32 v0, v110, v0
	s_waitcnt lgkmcnt(0)
	s_delay_alu instid0(VALU_DEP_3) | instskip(NEXT) | instid1(VALU_DEP_3)
	v_cndmask_b32_e64 v9, v9, v11, s4
	v_cndmask_b32_e32 v10, v10, v11, vcc_lo
	s_delay_alu instid0(VALU_DEP_2) | instskip(NEXT) | instid1(VALU_DEP_2)
	v_cvt_f16_f32_e32 v11, v9
	v_cvt_f16_f32_e32 v12, v10
	s_delay_alu instid0(VALU_DEP_1) | instskip(SKIP_1) | instid1(VALU_DEP_1)
	v_pack_b32_f16 v54, v11, v12
	v_sub_f32_e32 v11, v43, v41
	v_mul_f32_e32 v12, 0x3fb8aa3b, v11
	v_cmp_ngt_f32_e64 s7, 0xc2ce8ed0, v11
	s_delay_alu instid0(VALU_DEP_2) | instskip(SKIP_1) | instid1(VALU_DEP_1)
	v_fma_f32 v13, 0x3fb8aa3b, v11, -v12
	v_rndne_f32_e32 v14, v12
	v_dual_fmac_f32 v13, 0x32a5705f, v11 :: v_dual_sub_f32 v12, v12, v14
	s_delay_alu instid0(VALU_DEP_1) | instskip(SKIP_1) | instid1(VALU_DEP_2)
	v_add_f32_e32 v12, v12, v13
	v_cvt_i32_f32_e32 v13, v14
	v_exp_f32_e32 v12, v12
	s_waitcnt_depctr 0xfff
	v_ldexp_f32 v12, v12, v13
	s_delay_alu instid0(VALU_DEP_1) | instskip(SKIP_1) | instid1(VALU_DEP_1)
	v_cndmask_b32_e64 v12, 0, v12, s7
	v_cmp_nlt_f32_e64 s7, 0x42b17218, v11
	v_cndmask_b32_e64 v111, 0x7f800000, v12, s7
	ds_bpermute_b32 v11, v40, v111
	v_cndmask_b32_e64 v9, v9, v111, s5
	v_cndmask_b32_e64 v10, v10, v111, s6
	v_add_f32_e32 v0, v111, v0
	s_waitcnt lgkmcnt(0)
	s_delay_alu instid0(VALU_DEP_3) | instskip(NEXT) | instid1(VALU_DEP_3)
	v_cndmask_b32_e64 v9, v9, v11, s4
	v_cndmask_b32_e32 v10, v10, v11, vcc_lo
	s_delay_alu instid0(VALU_DEP_2) | instskip(NEXT) | instid1(VALU_DEP_2)
	v_cvt_f16_f32_e32 v11, v9
	v_cvt_f16_f32_e32 v12, v10
	s_delay_alu instid0(VALU_DEP_1) | instskip(SKIP_1) | instid1(VALU_DEP_1)
	v_pack_b32_f16 v55, v11, v12
	v_sub_f32_e32 v11, v42, v41
	v_mul_f32_e32 v12, 0x3fb8aa3b, v11
	v_cmp_ngt_f32_e64 s7, 0xc2ce8ed0, v11
	s_delay_alu instid0(VALU_DEP_2) | instskip(SKIP_1) | instid1(VALU_DEP_1)
	v_fma_f32 v13, 0x3fb8aa3b, v11, -v12
	v_rndne_f32_e32 v14, v12
	v_dual_fmac_f32 v13, 0x32a5705f, v11 :: v_dual_sub_f32 v12, v12, v14
	s_delay_alu instid0(VALU_DEP_1) | instskip(SKIP_1) | instid1(VALU_DEP_2)
	v_add_f32_e32 v12, v12, v13
	v_cvt_i32_f32_e32 v13, v14
	v_exp_f32_e32 v12, v12
	s_waitcnt_depctr 0xfff
	v_ldexp_f32 v12, v12, v13
	s_delay_alu instid0(VALU_DEP_1) | instskip(SKIP_1) | instid1(VALU_DEP_1)
	v_cndmask_b32_e64 v12, 0, v12, s7
	v_cmp_nlt_f32_e64 s7, 0x42b17218, v11
	v_cndmask_b32_e64 v112, 0x7f800000, v12, s7
	ds_bpermute_b32 v11, v40, v112
	v_cndmask_b32_e64 v9, v9, v112, s5
	v_cndmask_b32_e64 v10, v10, v112, s6
	v_add_f32_e32 v0, v112, v0
	s_delay_alu instid0(VALU_DEP_1) | instskip(SKIP_4) | instid1(SALU_CYCLE_1)
	v_fmac_f32_e32 v0, v194, v46
	s_waitcnt lgkmcnt(0)
	v_cndmask_b32_e64 v9, v9, v11, s4
	v_cndmask_b32_e32 v10, v10, v11, vcc_lo
	s_cselect_b32 s4, -1, 0
	s_and_b32 s5, s1, s4
	s_delay_alu instid0(VALU_DEP_2) | instskip(NEXT) | instid1(VALU_DEP_2)
	v_cvt_f16_f32_e32 v9, v9
	v_cvt_f16_f32_e32 v10, v10
	s_delay_alu instid0(VALU_DEP_1)
	v_pack_b32_f16 v56, v9, v10
	ds_load_2addr_b32 v[9:10], v244 offset1:16
	ds_load_2addr_b32 v[11:12], v244 offset0:68 offset1:84
	ds_load_2addr_b32 v[13:14], v244 offset0:136 offset1:152
	;; [unrolled: 1-line block ×13, first 2 shown]
	ds_load_b32 v113, v187 offset:2176
	ds_load_b32 v114, v187 offset:3264
	;; [unrolled: 1-line block ×8, first 2 shown]
	ds_load_2addr_b32 v[81:82], v85 offset0:100 offset1:116
	ds_load_2addr_b32 v[83:84], v85 offset0:168 offset1:184
	;; [unrolled: 1-line block ×4, first 2 shown]
	s_waitcnt lgkmcnt(24)
	v_perm_b32 v57, v11, v9, 0x5040100
	s_waitcnt lgkmcnt(22)
	v_perm_b32 v58, v42, v13, 0x5040100
	;; [unrolled: 2-line block ×8, first 2 shown]
	s_delay_alu instid0(VALU_DEP_1)
	v_wmma_f16_16x16x16_f16 v[32:39], v[57:64], v[49:56], v[32:39]
	v_add_nc_u32_e32 v64, 0x1000, v244
	ds_load_2addr_b32 v[89:90], v64 offset0:12 offset1:28
	ds_load_2addr_b32 v[91:92], v105 offset0:200 offset1:216
	;; [unrolled: 1-line block ×9, first 2 shown]
	ds_load_b32 v121, v189 offset:2176
	ds_load_b32 v122, v189 offset:3264
	v_perm_b32 v57, v12, v10, 0x5040100
	v_perm_b32 v58, v43, v14, 0x5040100
	s_waitcnt lgkmcnt(14)
	v_perm_b32 v59, v81, v119, 0x5040100
	s_waitcnt lgkmcnt(12)
	v_perm_b32 v60, v85, v83, 0x5040100
	v_perm_b32 v61, v70, v113, 0x5040100
	v_perm_b32 v62, v74, v72, 0x5040100
	s_waitcnt lgkmcnt(11)
	v_perm_b32 v63, v87, v114, 0x5040100
	s_waitcnt lgkmcnt(0)
	s_barrier
	buffer_gl0_inv
	v_perm_b32 v64, v89, v91, 0x5040100
	s_delay_alu instid0(VALU_DEP_1)
	v_wmma_f16_16x16x16_f16 v[24:31], v[57:64], v[49:56], v[24:31]
	v_perm_b32 v57, v95, v93, 0x5040100
	v_perm_b32 v58, v99, v97, 0x5040100
	v_perm_b32 v59, v82, v115, 0x5040100
	v_perm_b32 v60, v86, v84, 0x5040100
	v_perm_b32 v61, v101, v116, 0x5040100
	v_perm_b32 v62, v105, v103, 0x5040100
	v_perm_b32 v63, v88, v117, 0x5040100
	v_perm_b32 v64, v90, v92, 0x5040100
	s_delay_alu instid0(VALU_DEP_1)
	v_wmma_f16_16x16x16_f16 v[16:23], v[57:64], v[49:56], v[16:23]
	v_perm_b32 v57, v96, v94, 0x5040100
	v_perm_b32 v58, v100, v98, 0x5040100
	v_perm_b32 v59, v47, v118, 0x5040100
	v_perm_b32 v60, v67, v65, 0x5040100
	v_perm_b32 v61, v102, v121, 0x5040100
	v_perm_b32 v62, v106, v104, 0x5040100
	v_perm_b32 v63, v77, v122, 0x5040100
	;; [unrolled: 10-line block ×3, first 2 shown]
	v_perm_b32 v64, v80, v78, 0x7060302
	ds_bpermute_b32 v9, v40, v0
	v_wmma_f16_16x16x16_f16 v[32:39], v[57:64], v[49:56], v[32:39] op_sel:[0,0,1]
	v_perm_b32 v57, v12, v10, 0x7060302
	v_perm_b32 v58, v43, v14, 0x7060302
	;; [unrolled: 1-line block ×8, first 2 shown]
	s_delay_alu instid0(VALU_DEP_1)
	v_wmma_f16_16x16x16_f16 v[24:31], v[57:64], v[49:56], v[24:31] op_sel:[0,0,1]
	v_perm_b32 v60, v86, v84, 0x7060302
	v_perm_b32 v64, v90, v92, 0x7060302
	;; [unrolled: 1-line block ×8, first 2 shown]
	s_waitcnt lgkmcnt(0)
	v_add_f32_e32 v9, v0, v9
	s_delay_alu instid0(VALU_DEP_2)
	v_wmma_f16_16x16x16_f16 v[16:23], v[57:64], v[49:56], v[16:23] op_sel:[0,0,1]
	v_perm_b32 v57, v96, v94, 0x7060302
	v_perm_b32 v58, v100, v98, 0x7060302
	;; [unrolled: 1-line block ×8, first 2 shown]
	s_delay_alu instid0(VALU_DEP_1)
	v_wmma_f16_16x16x16_f16 v[1:8], v[57:64], v[49:56], v[1:8] op_sel:[0,0,1]
	s_and_saveexec_b32 s4, s5
	s_cbranch_execz .LBB24_185
; %bb.184:                              ;   in Loop: Header=BB24_10 Depth=1
	scratch_load_b32 v0, off, off offset:200 ; 4-byte Folded Reload
	s_waitcnt vmcnt(0)
	v_lshlrev_b32_e32 v0, 2, v0
	global_load_b32 v0, v0, s[64:65]
	s_waitcnt vmcnt(0)
	v_dual_max_f32 v10, v41, v41 :: v_dual_max_f32 v11, v0, v0
	s_delay_alu instid0(VALU_DEP_1) | instskip(NEXT) | instid1(VALU_DEP_1)
	v_max_f32_e32 v10, v10, v11
	v_sub_f32_e32 v0, v0, v10
	s_delay_alu instid0(VALU_DEP_1) | instskip(SKIP_1) | instid1(VALU_DEP_2)
	v_mul_f32_e32 v15, 0x3fb8aa3b, v0
	v_sub_f32_e32 v11, v41, v10
	v_rndne_f32_e32 v42, v15
	s_delay_alu instid0(VALU_DEP_2) | instskip(SKIP_1) | instid1(VALU_DEP_2)
	v_mul_f32_e32 v12, 0x3fb8aa3b, v11
	v_cmp_ngt_f32_e32 vcc_lo, 0xc2ce8ed0, v11
	v_fma_f32 v13, 0x3fb8aa3b, v11, -v12
	v_rndne_f32_e32 v14, v12
	s_delay_alu instid0(VALU_DEP_2) | instskip(SKIP_1) | instid1(VALU_DEP_3)
	v_fmac_f32_e32 v13, 0x32a5705f, v11
	v_fma_f32 v41, 0x3fb8aa3b, v0, -v15
	v_sub_f32_e32 v12, v12, v14
	v_cvt_i32_f32_e32 v14, v14
	s_delay_alu instid0(VALU_DEP_2) | instskip(SKIP_1) | instid1(VALU_DEP_1)
	v_dual_fmac_f32 v41, 0x32a5705f, v0 :: v_dual_add_f32 v12, v12, v13
	v_sub_f32_e32 v13, v15, v42
	v_add_f32_e32 v13, v13, v41
	v_mov_b32_e32 v41, v10
	s_delay_alu instid0(VALU_DEP_4) | instskip(SKIP_3) | instid1(VALU_DEP_2)
	v_exp_f32_e32 v12, v12
	s_waitcnt_depctr 0xfff
	v_ldexp_f32 v12, v12, v14
	v_cvt_i32_f32_e32 v14, v42
	v_cndmask_b32_e32 v12, 0, v12, vcc_lo
	v_exp_f32_e32 v13, v13
	v_cmp_nlt_f32_e32 vcc_lo, 0x42b17218, v11
	s_delay_alu instid0(VALU_DEP_2) | instskip(SKIP_3) | instid1(VALU_DEP_1)
	v_cndmask_b32_e32 v12, 0x7f800000, v12, vcc_lo
	v_cmp_ngt_f32_e32 vcc_lo, 0xc2ce8ed0, v0
	s_waitcnt_depctr 0xfff
	v_ldexp_f32 v13, v13, v14
	v_cndmask_b32_e32 v13, 0, v13, vcc_lo
	v_cmp_le_f32_e32 vcc_lo, 0xc1a00000, v11
	v_cndmask_b32_e32 v11, 0, v12, vcc_lo
	v_cmp_nlt_f32_e32 vcc_lo, 0x42b17218, v0
	s_delay_alu instid0(VALU_DEP_2) | instskip(SKIP_1) | instid1(VALU_DEP_2)
	v_cvt_f16_f32_e32 v12, v11
	v_cndmask_b32_e32 v0, 0x7f800000, v13, vcc_lo
	v_pk_mul_f16 v32, v12, v32 op_sel_hi:[0,1]
	s_delay_alu instid0(VALU_DEP_2)
	v_fmac_f32_e32 v0, v9, v11
	v_pk_mul_f16 v33, v12, v33 op_sel_hi:[0,1]
	v_pk_mul_f16 v34, v12, v34 op_sel_hi:[0,1]
	;; [unrolled: 1-line block ×31, first 2 shown]
	v_mov_b32_e32 v9, v0
.LBB24_185:                             ;   in Loop: Header=BB24_10 Depth=1
	s_or_b32 exec_lo, exec_lo, s4
	s_and_saveexec_b32 s4, s3
	s_cbranch_execz .LBB24_187
; %bb.186:                              ;   in Loop: Header=BB24_10 Depth=1
	scratch_load_b32 v0, off, off offset:104 ; 4-byte Folded Reload
	s_waitcnt vmcnt(0)
	v_add_nc_u32_e32 v0, 0, v0
	ds_store_2addr_b32 v0, v41, v9 offset0:64 offset1:65
.LBB24_187:                             ;   in Loop: Header=BB24_10 Depth=1
	s_or_b32 exec_lo, exec_lo, s4
	s_waitcnt lgkmcnt(0)
	s_barrier
	buffer_gl0_inv
	s_and_saveexec_b32 s4, s2
	s_delay_alu instid0(SALU_CYCLE_1)
	s_xor_b32 s4, exec_lo, s4
	s_cbranch_execz .LBB24_189
; %bb.188:                              ;   in Loop: Header=BB24_10 Depth=1
	s_barrier
	buffer_gl0_inv
                                        ; implicit-def: $vgpr40
.LBB24_189:                             ;   in Loop: Header=BB24_10 Depth=1
	s_and_not1_saveexec_b32 s4, s4
	s_cbranch_execz .LBB24_191
; %bb.190:                              ;   in Loop: Header=BB24_10 Depth=1
	scratch_load_b32 v0, off, off offset:104 ; 4-byte Folded Reload
	s_waitcnt vmcnt(0)
	v_add_nc_u32_e32 v0, 0, v0
	ds_load_b64 v[9:10], v0 offset:256
	s_waitcnt lgkmcnt(0)
	s_barrier
	buffer_gl0_inv
	ds_bpermute_b32 v11, v40, v9
	s_waitcnt lgkmcnt(0)
	v_dual_max_f32 v12, v9, v9 :: v_dual_max_f32 v11, v11, v11
	s_delay_alu instid0(VALU_DEP_1) | instskip(NEXT) | instid1(VALU_DEP_1)
	v_max_f32_e32 v11, v12, v11
	v_sub_f32_e32 v9, v9, v11
	s_delay_alu instid0(VALU_DEP_1) | instskip(SKIP_1) | instid1(VALU_DEP_2)
	v_mul_f32_e32 v11, 0x3fb8aa3b, v9
	v_cmp_ngt_f32_e32 vcc_lo, 0xc2ce8ed0, v9
	v_fma_f32 v12, 0x3fb8aa3b, v9, -v11
	v_rndne_f32_e32 v13, v11
	s_delay_alu instid0(VALU_DEP_2) | instskip(NEXT) | instid1(VALU_DEP_2)
	v_fmac_f32_e32 v12, 0x32a5705f, v9
	v_sub_f32_e32 v11, v11, v13
	s_delay_alu instid0(VALU_DEP_1) | instskip(SKIP_1) | instid1(VALU_DEP_2)
	v_add_f32_e32 v11, v11, v12
	v_cvt_i32_f32_e32 v12, v13
	v_exp_f32_e32 v11, v11
	s_waitcnt_depctr 0xfff
	v_ldexp_f32 v11, v11, v12
	s_delay_alu instid0(VALU_DEP_1) | instskip(SKIP_1) | instid1(VALU_DEP_2)
	v_cndmask_b32_e32 v11, 0, v11, vcc_lo
	v_cmp_nlt_f32_e32 vcc_lo, 0x42b17218, v9
	v_cndmask_b32_e32 v11, 0x7f800000, v11, vcc_lo
	s_delay_alu instid0(VALU_DEP_1)
	v_mul_f32_e32 v9, v10, v11
	ds_bpermute_b32 v12, v40, v9
	s_waitcnt lgkmcnt(0)
	v_fmac_f32_e32 v12, v10, v11
	ds_store_b64 v0, v[11:12] offset:256
.LBB24_191:                             ;   in Loop: Header=BB24_10 Depth=1
	s_or_b32 exec_lo, exec_lo, s4
	scratch_load_b32 v0, off, off offset:108 ; 4-byte Folded Reload
	s_waitcnt vmcnt(0)
	ds_store_2addr_b32 v0, v32, v33 offset1:2
	ds_store_2addr_b32 v0, v34, v35 offset0:4 offset1:6
	ds_store_2addr_b32 v0, v36, v37 offset0:8 offset1:10
	;; [unrolled: 1-line block ×15, first 2 shown]
	s_waitcnt lgkmcnt(0)
	s_barrier
	buffer_gl0_inv
	s_and_saveexec_b32 s56, s1
	s_cbranch_execz .LBB24_269
; %bb.192:                              ;   in Loop: Header=BB24_10 Depth=1
	s_clause 0x1
	scratch_load_b32 v0, off, off offset:228
	scratch_load_b64 v[2:3], off, off offset:192
	s_waitcnt vmcnt(1)
	v_add_nc_u32_e32 v1, s66, v0
	s_waitcnt vmcnt(0)
	v_or_b32_e32 v0, s86, v2
	v_mov_b32_e32 v2, 0x47
	s_delay_alu instid0(VALU_DEP_3) | instskip(NEXT) | instid1(VALU_DEP_3)
	v_cmp_gt_i32_e32 vcc_lo, s8, v1
	v_cmp_gt_i32_e64 s4, s33, v0
	s_delay_alu instid0(VALU_DEP_1) | instskip(NEXT) | instid1(SALU_CYCLE_1)
	s_and_b32 s5, vcc_lo, s4
	s_and_saveexec_b32 s64, s5
	s_cbranch_execz .LBB24_194
; %bb.193:                              ;   in Loop: Header=BB24_10 Depth=1
	s_clause 0x1
	scratch_load_b32 v0, off, off offset:240
	scratch_load_b32 v6, off, off offset:244
	s_waitcnt vmcnt(1)
	v_add_nc_u32_e32 v0, 0, v0
	s_waitcnt vmcnt(0)
	ds_load_2addr_b32 v[2:3], v6 offset1:32
	ds_load_2addr_b32 v[4:5], v0 offset0:64 offset1:65
	ds_load_b32 v6, v6 offset:4352
	ds_load_b32 v0, v0 offset:4608
	s_clause 0x1
	scratch_load_b32 v7, off, off offset:248
	scratch_load_b64 v[13:14], off, off offset:192
	s_waitcnt lgkmcnt(2)
	v_fma_mix_f32 v8, v4, v2, 0 op_sel_hi:[0,1,0]
	v_fma_mix_f32 v2, v4, v2, 0 op_sel:[0,1,0] op_sel_hi:[0,1,0]
	v_fma_mix_f32 v9, v4, v3, 0 op_sel_hi:[0,1,0]
	v_fma_mix_f32 v3, v4, v3, 0 op_sel:[0,1,0] op_sel_hi:[0,1,0]
	s_waitcnt lgkmcnt(0)
	v_fma_mix_f32 v4, v0, v6, v8 op_sel_hi:[0,1,0]
	v_fma_mix_f32 v6, v0, v6, v2 op_sel:[0,1,0] op_sel_hi:[0,1,0]
	s_delay_alu instid0(VALU_DEP_2) | instskip(NEXT) | instid1(VALU_DEP_2)
	v_div_scale_f32 v16, vcc_lo, v4, v5, v4
	v_div_scale_f32 v10, null, v5, v5, v6
	v_div_scale_f32 v17, s5, v6, v5, v6
	s_waitcnt vmcnt(1)
	ds_load_b32 v7, v7 offset:4352
	s_waitcnt lgkmcnt(0)
	v_fma_mix_f32 v8, v0, v7, v9 op_sel_hi:[0,1,0]
	v_div_scale_f32 v9, null, v5, v5, v4
	v_fma_mix_f32 v7, v0, v7, v3 op_sel:[0,1,0] op_sel_hi:[0,1,0]
	s_waitcnt vmcnt(0)
	v_mad_u64_u32 v[2:3], null, v1, s9, v[13:14]
	v_div_scale_f32 v11, null, v5, v5, v8
	v_rcp_f32_e32 v3, v9
	v_div_scale_f32 v12, null, v5, v5, v7
	s_delay_alu instid0(VALU_DEP_2) | instskip(SKIP_2) | instid1(VALU_DEP_2)
	v_rcp_f32_e32 v14, v11
	v_rcp_f32_e32 v13, v10
	v_div_scale_f32 v18, s6, v8, v5, v8
	v_rcp_f32_e32 v15, v12
	v_div_scale_f32 v21, s7, v7, v5, v7
	v_fma_f32 v0, -v9, v3, 1.0
	s_delay_alu instid0(TRANS32_DEP_3)
	v_fma_f32 v19, -v11, v14, 1.0
	s_waitcnt_depctr 0xfff
	v_fma_f32 v1, -v10, v13, 1.0
	v_fmac_f32_e32 v3, v0, v3
	scratch_load_b32 v0, off, off offset:76 ; 4-byte Folded Reload
	v_fma_f32 v20, -v12, v15, 1.0
	v_dual_fmac_f32 v14, v19, v14 :: v_dual_fmac_f32 v13, v1, v13
	v_mul_f32_e32 v19, v16, v3
	s_delay_alu instid0(VALU_DEP_2) | instskip(NEXT) | instid1(VALU_DEP_3)
	v_dual_fmac_f32 v15, v20, v15 :: v_dual_mul_f32 v22, v18, v14
	v_mul_f32_e32 v20, v17, v13
	s_delay_alu instid0(VALU_DEP_2) | instskip(NEXT) | instid1(VALU_DEP_2)
	v_fma_f32 v25, -v11, v22, v18
	v_fma_f32 v24, -v10, v20, v17
	s_delay_alu instid0(VALU_DEP_4) | instskip(NEXT) | instid1(VALU_DEP_3)
	v_mul_f32_e32 v23, v21, v15
	v_fmac_f32_e32 v22, v25, v14
	s_delay_alu instid0(VALU_DEP_3) | instskip(NEXT) | instid1(VALU_DEP_3)
	v_fmac_f32_e32 v20, v24, v13
	v_fma_f32 v26, -v12, v23, v21
	s_delay_alu instid0(VALU_DEP_1) | instskip(SKIP_3) | instid1(VALU_DEP_2)
	v_fmac_f32_e32 v23, v26, v15
	s_waitcnt vmcnt(0)
	v_lshl_add_u32 v0, v2, 6, v0
	v_fma_f32 v2, -v9, v19, v16
	v_ashrrev_i32_e32 v1, 31, v0
	s_delay_alu instid0(VALU_DEP_2) | instskip(NEXT) | instid1(VALU_DEP_2)
	v_fmac_f32_e32 v19, v2, v3
	v_lshlrev_b64 v[0:1], 3, v[0:1]
	s_delay_alu instid0(VALU_DEP_2) | instskip(SKIP_3) | instid1(VALU_DEP_4)
	v_fma_f32 v2, -v9, v19, v16
	v_fma_f32 v9, -v10, v20, v17
	;; [unrolled: 1-line block ×4, first 2 shown]
	v_div_fmas_f32 v2, v2, v3, v19
	s_mov_b32 vcc_lo, s5
	v_div_fmas_f32 v9, v9, v13, v20
	s_mov_b32 vcc_lo, s6
	s_delay_alu instid0(VALU_DEP_2)
	v_div_fixup_f32 v3, v2, v5, v4
	v_div_fmas_f32 v10, v10, v14, v22
	s_mov_b32 vcc_lo, s7
	v_div_fixup_f32 v4, v9, v5, v6
	v_div_fmas_f32 v2, v11, v15, v23
	v_add_co_u32 v0, vcc_lo, s41, v0
	v_add_co_ci_u32_e32 v1, vcc_lo, s59, v1, vcc_lo
	s_delay_alu instid0(VALU_DEP_3)
	v_div_fixup_f32 v7, v2, v5, v7
	v_mov_b32_e32 v2, 0
	v_div_fixup_f32 v6, v10, v5, v8
	s_clause 0x1
	global_store_b64 v[0:1], v[3:4], off
	global_store_b64 v[0:1], v[6:7], off offset:256
.LBB24_194:                             ;   in Loop: Header=BB24_10 Depth=1
	s_or_b32 exec_lo, exec_lo, s64
	s_mov_b32 s5, -1
	s_mov_b32 s6, exec_lo
	v_cmpx_gt_i32_e32 0x47, v2
; %bb.195:                              ;   in Loop: Header=BB24_10 Depth=1
	v_cmp_eq_u32_e32 vcc_lo, 0, v2
	s_or_not1_b32 s5, vcc_lo, exec_lo
; %bb.196:                              ;   in Loop: Header=BB24_10 Depth=1
	s_or_b32 exec_lo, exec_lo, s6
	s_delay_alu instid0(SALU_CYCLE_1)
	s_and_b32 exec_lo, exec_lo, s5
	s_cbranch_execz .LBB24_269
; %bb.197:                              ;   in Loop: Header=BB24_10 Depth=1
	s_clause 0x1
	scratch_load_b32 v0, off, off offset:252
	scratch_load_b64 v[2:3], off, off offset:232
	s_waitcnt vmcnt(1)
	v_add_nc_u32_e32 v1, s66, v0
	s_waitcnt vmcnt(0)
	v_or_b32_e32 v0, s86, v2
	v_mov_b32_e32 v2, 0x47
	s_delay_alu instid0(VALU_DEP_3) | instskip(NEXT) | instid1(VALU_DEP_3)
	v_cmp_gt_i32_e32 vcc_lo, s8, v1
	v_cmp_gt_i32_e64 s5, s33, v0
	s_delay_alu instid0(VALU_DEP_1) | instskip(NEXT) | instid1(SALU_CYCLE_1)
	s_and_b32 s5, vcc_lo, s5
	s_and_saveexec_b32 s64, s5
	s_cbranch_execz .LBB24_199
; %bb.198:                              ;   in Loop: Header=BB24_10 Depth=1
	s_clause 0x1
	scratch_load_b32 v0, off, off offset:408
	scratch_load_b32 v6, off, off offset:412
	s_waitcnt vmcnt(1)
	v_add_nc_u32_e32 v0, 0, v0
	s_waitcnt vmcnt(0)
	ds_load_2addr_b32 v[2:3], v6 offset1:32
	ds_load_2addr_b32 v[4:5], v0 offset0:64 offset1:65
	ds_load_b32 v6, v6 offset:4352
	ds_load_b32 v0, v0 offset:4608
	s_clause 0x1
	scratch_load_b32 v7, off, off offset:416
	scratch_load_b64 v[13:14], off, off offset:232
	s_waitcnt lgkmcnt(2)
	v_fma_mix_f32 v8, v4, v2, 0 op_sel_hi:[0,1,0]
	v_fma_mix_f32 v2, v4, v2, 0 op_sel:[0,1,0] op_sel_hi:[0,1,0]
	v_fma_mix_f32 v9, v4, v3, 0 op_sel_hi:[0,1,0]
	v_fma_mix_f32 v3, v4, v3, 0 op_sel:[0,1,0] op_sel_hi:[0,1,0]
	s_waitcnt lgkmcnt(0)
	v_fma_mix_f32 v4, v0, v6, v8 op_sel_hi:[0,1,0]
	v_fma_mix_f32 v6, v0, v6, v2 op_sel:[0,1,0] op_sel_hi:[0,1,0]
	s_delay_alu instid0(VALU_DEP_2) | instskip(NEXT) | instid1(VALU_DEP_2)
	v_div_scale_f32 v16, vcc_lo, v4, v5, v4
	v_div_scale_f32 v10, null, v5, v5, v6
	v_div_scale_f32 v17, s5, v6, v5, v6
	s_waitcnt vmcnt(1)
	ds_load_b32 v7, v7 offset:4352
	s_waitcnt lgkmcnt(0)
	v_fma_mix_f32 v8, v0, v7, v9 op_sel_hi:[0,1,0]
	v_div_scale_f32 v9, null, v5, v5, v4
	v_fma_mix_f32 v7, v0, v7, v3 op_sel:[0,1,0] op_sel_hi:[0,1,0]
	s_waitcnt vmcnt(0)
	v_mad_u64_u32 v[2:3], null, v1, s9, v[13:14]
	v_div_scale_f32 v11, null, v5, v5, v8
	v_rcp_f32_e32 v3, v9
	v_div_scale_f32 v12, null, v5, v5, v7
	s_delay_alu instid0(VALU_DEP_2) | instskip(SKIP_2) | instid1(VALU_DEP_2)
	v_rcp_f32_e32 v14, v11
	v_rcp_f32_e32 v13, v10
	v_div_scale_f32 v18, s6, v8, v5, v8
	v_rcp_f32_e32 v15, v12
	v_div_scale_f32 v21, s7, v7, v5, v7
	v_fma_f32 v0, -v9, v3, 1.0
	s_delay_alu instid0(TRANS32_DEP_3)
	v_fma_f32 v19, -v11, v14, 1.0
	s_waitcnt_depctr 0xfff
	v_fma_f32 v1, -v10, v13, 1.0
	v_fmac_f32_e32 v3, v0, v3
	scratch_load_b32 v0, off, off offset:76 ; 4-byte Folded Reload
	v_fma_f32 v20, -v12, v15, 1.0
	v_dual_fmac_f32 v14, v19, v14 :: v_dual_fmac_f32 v13, v1, v13
	v_mul_f32_e32 v19, v16, v3
	s_delay_alu instid0(VALU_DEP_2) | instskip(NEXT) | instid1(VALU_DEP_3)
	v_dual_fmac_f32 v15, v20, v15 :: v_dual_mul_f32 v22, v18, v14
	v_mul_f32_e32 v20, v17, v13
	s_delay_alu instid0(VALU_DEP_2) | instskip(NEXT) | instid1(VALU_DEP_2)
	v_fma_f32 v25, -v11, v22, v18
	v_fma_f32 v24, -v10, v20, v17
	s_delay_alu instid0(VALU_DEP_4) | instskip(NEXT) | instid1(VALU_DEP_3)
	v_mul_f32_e32 v23, v21, v15
	v_fmac_f32_e32 v22, v25, v14
	s_delay_alu instid0(VALU_DEP_3) | instskip(NEXT) | instid1(VALU_DEP_3)
	v_fmac_f32_e32 v20, v24, v13
	v_fma_f32 v26, -v12, v23, v21
	s_delay_alu instid0(VALU_DEP_1) | instskip(SKIP_3) | instid1(VALU_DEP_2)
	v_fmac_f32_e32 v23, v26, v15
	s_waitcnt vmcnt(0)
	v_lshl_add_u32 v0, v2, 6, v0
	v_fma_f32 v2, -v9, v19, v16
	v_ashrrev_i32_e32 v1, 31, v0
	s_delay_alu instid0(VALU_DEP_2) | instskip(NEXT) | instid1(VALU_DEP_2)
	v_fmac_f32_e32 v19, v2, v3
	v_lshlrev_b64 v[0:1], 3, v[0:1]
	s_delay_alu instid0(VALU_DEP_2) | instskip(SKIP_3) | instid1(VALU_DEP_4)
	v_fma_f32 v2, -v9, v19, v16
	v_fma_f32 v9, -v10, v20, v17
	;; [unrolled: 1-line block ×4, first 2 shown]
	v_div_fmas_f32 v2, v2, v3, v19
	s_mov_b32 vcc_lo, s5
	v_div_fmas_f32 v9, v9, v13, v20
	s_mov_b32 vcc_lo, s6
	s_delay_alu instid0(VALU_DEP_2)
	v_div_fixup_f32 v3, v2, v5, v4
	v_div_fmas_f32 v10, v10, v14, v22
	s_mov_b32 vcc_lo, s7
	v_div_fixup_f32 v4, v9, v5, v6
	v_div_fmas_f32 v2, v11, v15, v23
	v_add_co_u32 v0, vcc_lo, s41, v0
	v_add_co_ci_u32_e32 v1, vcc_lo, s59, v1, vcc_lo
	s_delay_alu instid0(VALU_DEP_3)
	v_div_fixup_f32 v7, v2, v5, v7
	v_mov_b32_e32 v2, 0
	v_div_fixup_f32 v6, v10, v5, v8
	s_clause 0x1
	global_store_b64 v[0:1], v[3:4], off
	global_store_b64 v[0:1], v[6:7], off offset:256
.LBB24_199:                             ;   in Loop: Header=BB24_10 Depth=1
	s_or_b32 exec_lo, exec_lo, s64
	s_mov_b32 s5, -1
	s_mov_b32 s6, exec_lo
	v_cmpx_gt_i32_e32 0x47, v2
; %bb.200:                              ;   in Loop: Header=BB24_10 Depth=1
	v_cmp_eq_u32_e32 vcc_lo, 0, v2
	s_or_not1_b32 s5, vcc_lo, exec_lo
; %bb.201:                              ;   in Loop: Header=BB24_10 Depth=1
	s_or_b32 exec_lo, exec_lo, s6
	s_delay_alu instid0(SALU_CYCLE_1)
	s_and_b32 exec_lo, exec_lo, s5
	s_cbranch_execz .LBB24_269
; %bb.202:                              ;   in Loop: Header=BB24_10 Depth=1
	s_clause 0x1
	scratch_load_b32 v0, off, off offset:420
	scratch_load_b64 v[2:3], off, off offset:392
	s_waitcnt vmcnt(1)
	v_add_nc_u32_e32 v1, s66, v0
	s_waitcnt vmcnt(0)
	v_or_b32_e32 v0, s86, v2
	v_mov_b32_e32 v2, 0x47
	s_delay_alu instid0(VALU_DEP_3) | instskip(NEXT) | instid1(VALU_DEP_3)
	v_cmp_gt_i32_e32 vcc_lo, s8, v1
	v_cmp_gt_i32_e64 s5, s33, v0
	s_delay_alu instid0(VALU_DEP_1) | instskip(NEXT) | instid1(SALU_CYCLE_1)
	s_and_b32 s5, vcc_lo, s5
	s_and_saveexec_b32 s64, s5
	s_cbranch_execz .LBB24_204
; %bb.203:                              ;   in Loop: Header=BB24_10 Depth=1
	s_clause 0x1
	scratch_load_b32 v0, off, off offset:432
	scratch_load_b32 v6, off, off offset:436
	s_waitcnt vmcnt(1)
	v_add_nc_u32_e32 v0, 0, v0
	s_waitcnt vmcnt(0)
	ds_load_2addr_b32 v[2:3], v6 offset1:32
	ds_load_2addr_b32 v[4:5], v0 offset0:64 offset1:65
	ds_load_b32 v6, v6 offset:4352
	ds_load_b32 v0, v0 offset:4608
	s_clause 0x1
	scratch_load_b32 v7, off, off offset:440
	scratch_load_b64 v[13:14], off, off offset:392
	s_waitcnt lgkmcnt(2)
	v_fma_mix_f32 v8, v4, v2, 0 op_sel_hi:[0,1,0]
	v_fma_mix_f32 v2, v4, v2, 0 op_sel:[0,1,0] op_sel_hi:[0,1,0]
	v_fma_mix_f32 v9, v4, v3, 0 op_sel_hi:[0,1,0]
	v_fma_mix_f32 v3, v4, v3, 0 op_sel:[0,1,0] op_sel_hi:[0,1,0]
	s_waitcnt lgkmcnt(0)
	v_fma_mix_f32 v4, v0, v6, v8 op_sel_hi:[0,1,0]
	v_fma_mix_f32 v6, v0, v6, v2 op_sel:[0,1,0] op_sel_hi:[0,1,0]
	s_delay_alu instid0(VALU_DEP_2) | instskip(NEXT) | instid1(VALU_DEP_2)
	v_div_scale_f32 v16, vcc_lo, v4, v5, v4
	v_div_scale_f32 v10, null, v5, v5, v6
	v_div_scale_f32 v17, s5, v6, v5, v6
	s_waitcnt vmcnt(1)
	ds_load_b32 v7, v7 offset:4352
	s_waitcnt lgkmcnt(0)
	v_fma_mix_f32 v8, v0, v7, v9 op_sel_hi:[0,1,0]
	v_div_scale_f32 v9, null, v5, v5, v4
	v_fma_mix_f32 v7, v0, v7, v3 op_sel:[0,1,0] op_sel_hi:[0,1,0]
	s_waitcnt vmcnt(0)
	v_mad_u64_u32 v[2:3], null, v1, s9, v[13:14]
	v_div_scale_f32 v11, null, v5, v5, v8
	v_rcp_f32_e32 v3, v9
	v_div_scale_f32 v12, null, v5, v5, v7
	s_delay_alu instid0(VALU_DEP_2) | instskip(SKIP_2) | instid1(VALU_DEP_2)
	v_rcp_f32_e32 v14, v11
	v_rcp_f32_e32 v13, v10
	v_div_scale_f32 v18, s6, v8, v5, v8
	v_rcp_f32_e32 v15, v12
	v_div_scale_f32 v21, s7, v7, v5, v7
	v_fma_f32 v0, -v9, v3, 1.0
	s_delay_alu instid0(TRANS32_DEP_3)
	v_fma_f32 v19, -v11, v14, 1.0
	s_waitcnt_depctr 0xfff
	v_fma_f32 v1, -v10, v13, 1.0
	v_fmac_f32_e32 v3, v0, v3
	scratch_load_b32 v0, off, off offset:76 ; 4-byte Folded Reload
	v_fma_f32 v20, -v12, v15, 1.0
	v_dual_fmac_f32 v14, v19, v14 :: v_dual_fmac_f32 v13, v1, v13
	v_mul_f32_e32 v19, v16, v3
	s_delay_alu instid0(VALU_DEP_2) | instskip(NEXT) | instid1(VALU_DEP_3)
	v_dual_fmac_f32 v15, v20, v15 :: v_dual_mul_f32 v22, v18, v14
	v_mul_f32_e32 v20, v17, v13
	s_delay_alu instid0(VALU_DEP_2) | instskip(NEXT) | instid1(VALU_DEP_2)
	v_fma_f32 v25, -v11, v22, v18
	v_fma_f32 v24, -v10, v20, v17
	s_delay_alu instid0(VALU_DEP_4) | instskip(NEXT) | instid1(VALU_DEP_3)
	v_mul_f32_e32 v23, v21, v15
	v_fmac_f32_e32 v22, v25, v14
	s_delay_alu instid0(VALU_DEP_3) | instskip(NEXT) | instid1(VALU_DEP_3)
	v_fmac_f32_e32 v20, v24, v13
	v_fma_f32 v26, -v12, v23, v21
	s_delay_alu instid0(VALU_DEP_1) | instskip(SKIP_3) | instid1(VALU_DEP_2)
	v_fmac_f32_e32 v23, v26, v15
	s_waitcnt vmcnt(0)
	v_lshl_add_u32 v0, v2, 6, v0
	v_fma_f32 v2, -v9, v19, v16
	v_ashrrev_i32_e32 v1, 31, v0
	s_delay_alu instid0(VALU_DEP_2) | instskip(NEXT) | instid1(VALU_DEP_2)
	v_fmac_f32_e32 v19, v2, v3
	v_lshlrev_b64 v[0:1], 3, v[0:1]
	s_delay_alu instid0(VALU_DEP_2) | instskip(SKIP_3) | instid1(VALU_DEP_4)
	v_fma_f32 v2, -v9, v19, v16
	v_fma_f32 v9, -v10, v20, v17
	;; [unrolled: 1-line block ×4, first 2 shown]
	v_div_fmas_f32 v2, v2, v3, v19
	s_mov_b32 vcc_lo, s5
	v_div_fmas_f32 v9, v9, v13, v20
	s_mov_b32 vcc_lo, s6
	s_delay_alu instid0(VALU_DEP_2)
	v_div_fixup_f32 v3, v2, v5, v4
	v_div_fmas_f32 v10, v10, v14, v22
	s_mov_b32 vcc_lo, s7
	v_div_fixup_f32 v4, v9, v5, v6
	v_div_fmas_f32 v2, v11, v15, v23
	v_add_co_u32 v0, vcc_lo, s41, v0
	v_add_co_ci_u32_e32 v1, vcc_lo, s59, v1, vcc_lo
	s_delay_alu instid0(VALU_DEP_3)
	v_div_fixup_f32 v7, v2, v5, v7
	v_mov_b32_e32 v2, 0
	v_div_fixup_f32 v6, v10, v5, v8
	s_clause 0x1
	global_store_b64 v[0:1], v[3:4], off
	global_store_b64 v[0:1], v[6:7], off offset:256
.LBB24_204:                             ;   in Loop: Header=BB24_10 Depth=1
	s_or_b32 exec_lo, exec_lo, s64
	s_mov_b32 s5, -1
	s_mov_b32 s6, exec_lo
	v_cmpx_gt_i32_e32 0x47, v2
; %bb.205:                              ;   in Loop: Header=BB24_10 Depth=1
	v_cmp_eq_u32_e32 vcc_lo, 0, v2
	s_or_not1_b32 s5, vcc_lo, exec_lo
; %bb.206:                              ;   in Loop: Header=BB24_10 Depth=1
	s_or_b32 exec_lo, exec_lo, s6
	s_delay_alu instid0(SALU_CYCLE_1)
	s_and_b32 exec_lo, exec_lo, s5
	s_cbranch_execz .LBB24_269
; %bb.207:                              ;   in Loop: Header=BB24_10 Depth=1
	s_clause 0x1
	scratch_load_b32 v0, off, off offset:444
	scratch_load_b64 v[2:3], off, off offset:424
	s_waitcnt vmcnt(1)
	v_add_nc_u32_e32 v1, s66, v0
	s_waitcnt vmcnt(0)
	v_or_b32_e32 v0, s86, v2
	v_mov_b32_e32 v2, 0x47
	s_delay_alu instid0(VALU_DEP_3) | instskip(NEXT) | instid1(VALU_DEP_3)
	v_cmp_gt_i32_e32 vcc_lo, s8, v1
	v_cmp_gt_i32_e64 s5, s33, v0
	s_delay_alu instid0(VALU_DEP_1) | instskip(NEXT) | instid1(SALU_CYCLE_1)
	s_and_b32 s5, vcc_lo, s5
	s_and_saveexec_b32 s64, s5
	s_cbranch_execz .LBB24_209
; %bb.208:                              ;   in Loop: Header=BB24_10 Depth=1
	s_clause 0x1
	scratch_load_b32 v0, off, off offset:460
	scratch_load_b32 v6, off, off offset:464
	s_waitcnt vmcnt(1)
	v_add_nc_u32_e32 v0, 0, v0
	s_waitcnt vmcnt(0)
	ds_load_2addr_b32 v[2:3], v6 offset1:32
	ds_load_2addr_b32 v[4:5], v0 offset0:64 offset1:65
	ds_load_b32 v6, v6 offset:4352
	ds_load_b32 v0, v0 offset:4608
	s_clause 0x1
	scratch_load_b32 v7, off, off offset:468
	scratch_load_b64 v[13:14], off, off offset:424
	s_waitcnt lgkmcnt(2)
	v_fma_mix_f32 v8, v4, v2, 0 op_sel_hi:[0,1,0]
	v_fma_mix_f32 v2, v4, v2, 0 op_sel:[0,1,0] op_sel_hi:[0,1,0]
	v_fma_mix_f32 v9, v4, v3, 0 op_sel_hi:[0,1,0]
	v_fma_mix_f32 v3, v4, v3, 0 op_sel:[0,1,0] op_sel_hi:[0,1,0]
	s_waitcnt lgkmcnt(0)
	v_fma_mix_f32 v4, v0, v6, v8 op_sel_hi:[0,1,0]
	v_fma_mix_f32 v6, v0, v6, v2 op_sel:[0,1,0] op_sel_hi:[0,1,0]
	s_delay_alu instid0(VALU_DEP_2) | instskip(NEXT) | instid1(VALU_DEP_2)
	v_div_scale_f32 v16, vcc_lo, v4, v5, v4
	v_div_scale_f32 v10, null, v5, v5, v6
	v_div_scale_f32 v17, s5, v6, v5, v6
	s_waitcnt vmcnt(1)
	ds_load_b32 v7, v7 offset:4352
	s_waitcnt lgkmcnt(0)
	v_fma_mix_f32 v8, v0, v7, v9 op_sel_hi:[0,1,0]
	v_div_scale_f32 v9, null, v5, v5, v4
	v_fma_mix_f32 v7, v0, v7, v3 op_sel:[0,1,0] op_sel_hi:[0,1,0]
	s_waitcnt vmcnt(0)
	v_mad_u64_u32 v[2:3], null, v1, s9, v[13:14]
	v_div_scale_f32 v11, null, v5, v5, v8
	v_rcp_f32_e32 v3, v9
	v_div_scale_f32 v12, null, v5, v5, v7
	s_delay_alu instid0(VALU_DEP_2) | instskip(SKIP_2) | instid1(VALU_DEP_2)
	v_rcp_f32_e32 v14, v11
	v_rcp_f32_e32 v13, v10
	v_div_scale_f32 v18, s6, v8, v5, v8
	v_rcp_f32_e32 v15, v12
	v_div_scale_f32 v21, s7, v7, v5, v7
	v_fma_f32 v0, -v9, v3, 1.0
	s_delay_alu instid0(TRANS32_DEP_3)
	v_fma_f32 v19, -v11, v14, 1.0
	s_waitcnt_depctr 0xfff
	v_fma_f32 v1, -v10, v13, 1.0
	v_fmac_f32_e32 v3, v0, v3
	scratch_load_b32 v0, off, off offset:76 ; 4-byte Folded Reload
	v_fma_f32 v20, -v12, v15, 1.0
	v_dual_fmac_f32 v14, v19, v14 :: v_dual_fmac_f32 v13, v1, v13
	v_mul_f32_e32 v19, v16, v3
	s_delay_alu instid0(VALU_DEP_2) | instskip(NEXT) | instid1(VALU_DEP_3)
	v_dual_fmac_f32 v15, v20, v15 :: v_dual_mul_f32 v22, v18, v14
	v_mul_f32_e32 v20, v17, v13
	s_delay_alu instid0(VALU_DEP_2) | instskip(NEXT) | instid1(VALU_DEP_2)
	v_fma_f32 v25, -v11, v22, v18
	v_fma_f32 v24, -v10, v20, v17
	s_delay_alu instid0(VALU_DEP_4) | instskip(NEXT) | instid1(VALU_DEP_3)
	v_mul_f32_e32 v23, v21, v15
	v_fmac_f32_e32 v22, v25, v14
	s_delay_alu instid0(VALU_DEP_3) | instskip(NEXT) | instid1(VALU_DEP_3)
	v_fmac_f32_e32 v20, v24, v13
	v_fma_f32 v26, -v12, v23, v21
	s_delay_alu instid0(VALU_DEP_1) | instskip(SKIP_3) | instid1(VALU_DEP_2)
	v_fmac_f32_e32 v23, v26, v15
	s_waitcnt vmcnt(0)
	v_lshl_add_u32 v0, v2, 6, v0
	v_fma_f32 v2, -v9, v19, v16
	v_ashrrev_i32_e32 v1, 31, v0
	s_delay_alu instid0(VALU_DEP_2) | instskip(NEXT) | instid1(VALU_DEP_2)
	v_fmac_f32_e32 v19, v2, v3
	v_lshlrev_b64 v[0:1], 3, v[0:1]
	s_delay_alu instid0(VALU_DEP_2) | instskip(SKIP_3) | instid1(VALU_DEP_4)
	v_fma_f32 v2, -v9, v19, v16
	v_fma_f32 v9, -v10, v20, v17
	;; [unrolled: 1-line block ×4, first 2 shown]
	v_div_fmas_f32 v2, v2, v3, v19
	s_mov_b32 vcc_lo, s5
	v_div_fmas_f32 v9, v9, v13, v20
	s_mov_b32 vcc_lo, s6
	s_delay_alu instid0(VALU_DEP_2)
	v_div_fixup_f32 v3, v2, v5, v4
	v_div_fmas_f32 v10, v10, v14, v22
	s_mov_b32 vcc_lo, s7
	v_div_fixup_f32 v4, v9, v5, v6
	v_div_fmas_f32 v2, v11, v15, v23
	v_add_co_u32 v0, vcc_lo, s41, v0
	v_add_co_ci_u32_e32 v1, vcc_lo, s59, v1, vcc_lo
	s_delay_alu instid0(VALU_DEP_3)
	v_div_fixup_f32 v7, v2, v5, v7
	v_mov_b32_e32 v2, 0
	v_div_fixup_f32 v6, v10, v5, v8
	s_clause 0x1
	global_store_b64 v[0:1], v[3:4], off
	global_store_b64 v[0:1], v[6:7], off offset:256
.LBB24_209:                             ;   in Loop: Header=BB24_10 Depth=1
	s_or_b32 exec_lo, exec_lo, s64
	s_mov_b32 s5, -1
	s_mov_b32 s6, exec_lo
	v_cmpx_gt_i32_e32 0x47, v2
; %bb.210:                              ;   in Loop: Header=BB24_10 Depth=1
	v_cmp_eq_u32_e32 vcc_lo, 0, v2
	s_or_not1_b32 s5, vcc_lo, exec_lo
; %bb.211:                              ;   in Loop: Header=BB24_10 Depth=1
	s_or_b32 exec_lo, exec_lo, s6
	s_delay_alu instid0(SALU_CYCLE_1)
	s_and_b32 exec_lo, exec_lo, s5
	s_cbranch_execz .LBB24_269
; %bb.212:                              ;   in Loop: Header=BB24_10 Depth=1
	s_clause 0x1
	scratch_load_b32 v0, off, off offset:472
	scratch_load_b64 v[2:3], off, off offset:452
	s_waitcnt vmcnt(1)
	v_add_nc_u32_e32 v1, s66, v0
	s_waitcnt vmcnt(0)
	v_or_b32_e32 v0, s86, v2
	v_mov_b32_e32 v2, 0x47
	s_delay_alu instid0(VALU_DEP_3) | instskip(NEXT) | instid1(VALU_DEP_3)
	v_cmp_gt_i32_e32 vcc_lo, s8, v1
	v_cmp_gt_i32_e64 s5, s33, v0
	s_delay_alu instid0(VALU_DEP_1) | instskip(NEXT) | instid1(SALU_CYCLE_1)
	s_and_b32 s5, vcc_lo, s5
	s_and_saveexec_b32 s64, s5
	s_cbranch_execz .LBB24_214
; %bb.213:                              ;   in Loop: Header=BB24_10 Depth=1
	s_clause 0x1
	scratch_load_b32 v0, off, off offset:520
	scratch_load_b32 v6, off, off offset:524
	s_waitcnt vmcnt(1)
	v_add_nc_u32_e32 v0, 0, v0
	s_waitcnt vmcnt(0)
	ds_load_2addr_b32 v[2:3], v6 offset1:32
	ds_load_2addr_b32 v[4:5], v0 offset0:64 offset1:65
	ds_load_b32 v6, v6 offset:4352
	ds_load_b32 v0, v0 offset:4608
	s_clause 0x1
	scratch_load_b32 v7, off, off offset:528
	scratch_load_b64 v[13:14], off, off offset:452
	s_waitcnt lgkmcnt(2)
	v_fma_mix_f32 v8, v4, v2, 0 op_sel_hi:[0,1,0]
	v_fma_mix_f32 v2, v4, v2, 0 op_sel:[0,1,0] op_sel_hi:[0,1,0]
	v_fma_mix_f32 v9, v4, v3, 0 op_sel_hi:[0,1,0]
	v_fma_mix_f32 v3, v4, v3, 0 op_sel:[0,1,0] op_sel_hi:[0,1,0]
	s_waitcnt lgkmcnt(0)
	v_fma_mix_f32 v4, v0, v6, v8 op_sel_hi:[0,1,0]
	v_fma_mix_f32 v6, v0, v6, v2 op_sel:[0,1,0] op_sel_hi:[0,1,0]
	s_delay_alu instid0(VALU_DEP_2) | instskip(NEXT) | instid1(VALU_DEP_2)
	v_div_scale_f32 v16, vcc_lo, v4, v5, v4
	v_div_scale_f32 v10, null, v5, v5, v6
	v_div_scale_f32 v17, s5, v6, v5, v6
	s_waitcnt vmcnt(1)
	ds_load_b32 v7, v7 offset:4352
	s_waitcnt lgkmcnt(0)
	v_fma_mix_f32 v8, v0, v7, v9 op_sel_hi:[0,1,0]
	v_div_scale_f32 v9, null, v5, v5, v4
	v_fma_mix_f32 v7, v0, v7, v3 op_sel:[0,1,0] op_sel_hi:[0,1,0]
	s_waitcnt vmcnt(0)
	v_mad_u64_u32 v[2:3], null, v1, s9, v[13:14]
	v_div_scale_f32 v11, null, v5, v5, v8
	v_rcp_f32_e32 v3, v9
	v_div_scale_f32 v12, null, v5, v5, v7
	s_delay_alu instid0(VALU_DEP_2) | instskip(SKIP_2) | instid1(VALU_DEP_2)
	v_rcp_f32_e32 v14, v11
	v_rcp_f32_e32 v13, v10
	v_div_scale_f32 v18, s6, v8, v5, v8
	v_rcp_f32_e32 v15, v12
	v_div_scale_f32 v21, s7, v7, v5, v7
	v_fma_f32 v0, -v9, v3, 1.0
	s_delay_alu instid0(TRANS32_DEP_3)
	v_fma_f32 v19, -v11, v14, 1.0
	s_waitcnt_depctr 0xfff
	v_fma_f32 v1, -v10, v13, 1.0
	v_fmac_f32_e32 v3, v0, v3
	scratch_load_b32 v0, off, off offset:76 ; 4-byte Folded Reload
	v_fma_f32 v20, -v12, v15, 1.0
	v_dual_fmac_f32 v14, v19, v14 :: v_dual_fmac_f32 v13, v1, v13
	v_mul_f32_e32 v19, v16, v3
	s_delay_alu instid0(VALU_DEP_2) | instskip(NEXT) | instid1(VALU_DEP_3)
	v_dual_fmac_f32 v15, v20, v15 :: v_dual_mul_f32 v22, v18, v14
	v_mul_f32_e32 v20, v17, v13
	s_delay_alu instid0(VALU_DEP_2) | instskip(NEXT) | instid1(VALU_DEP_2)
	v_fma_f32 v25, -v11, v22, v18
	v_fma_f32 v24, -v10, v20, v17
	s_delay_alu instid0(VALU_DEP_4) | instskip(NEXT) | instid1(VALU_DEP_3)
	v_mul_f32_e32 v23, v21, v15
	v_fmac_f32_e32 v22, v25, v14
	s_delay_alu instid0(VALU_DEP_3) | instskip(NEXT) | instid1(VALU_DEP_3)
	v_fmac_f32_e32 v20, v24, v13
	v_fma_f32 v26, -v12, v23, v21
	s_delay_alu instid0(VALU_DEP_1) | instskip(SKIP_3) | instid1(VALU_DEP_2)
	v_fmac_f32_e32 v23, v26, v15
	s_waitcnt vmcnt(0)
	v_lshl_add_u32 v0, v2, 6, v0
	v_fma_f32 v2, -v9, v19, v16
	v_ashrrev_i32_e32 v1, 31, v0
	s_delay_alu instid0(VALU_DEP_2) | instskip(NEXT) | instid1(VALU_DEP_2)
	v_fmac_f32_e32 v19, v2, v3
	v_lshlrev_b64 v[0:1], 3, v[0:1]
	s_delay_alu instid0(VALU_DEP_2) | instskip(SKIP_3) | instid1(VALU_DEP_4)
	v_fma_f32 v2, -v9, v19, v16
	v_fma_f32 v9, -v10, v20, v17
	;; [unrolled: 1-line block ×4, first 2 shown]
	v_div_fmas_f32 v2, v2, v3, v19
	s_mov_b32 vcc_lo, s5
	v_div_fmas_f32 v9, v9, v13, v20
	s_mov_b32 vcc_lo, s6
	s_delay_alu instid0(VALU_DEP_2)
	v_div_fixup_f32 v3, v2, v5, v4
	v_div_fmas_f32 v10, v10, v14, v22
	s_mov_b32 vcc_lo, s7
	v_div_fixup_f32 v4, v9, v5, v6
	v_div_fmas_f32 v2, v11, v15, v23
	v_add_co_u32 v0, vcc_lo, s41, v0
	v_add_co_ci_u32_e32 v1, vcc_lo, s59, v1, vcc_lo
	s_delay_alu instid0(VALU_DEP_3)
	v_div_fixup_f32 v7, v2, v5, v7
	v_mov_b32_e32 v2, 0
	v_div_fixup_f32 v6, v10, v5, v8
	s_clause 0x1
	global_store_b64 v[0:1], v[3:4], off
	global_store_b64 v[0:1], v[6:7], off offset:256
.LBB24_214:                             ;   in Loop: Header=BB24_10 Depth=1
	s_or_b32 exec_lo, exec_lo, s64
	s_mov_b32 s5, -1
	s_mov_b32 s6, exec_lo
	v_cmpx_gt_i32_e32 0x47, v2
; %bb.215:                              ;   in Loop: Header=BB24_10 Depth=1
	v_cmp_eq_u32_e32 vcc_lo, 0, v2
	s_or_not1_b32 s5, vcc_lo, exec_lo
; %bb.216:                              ;   in Loop: Header=BB24_10 Depth=1
	s_or_b32 exec_lo, exec_lo, s6
	s_delay_alu instid0(SALU_CYCLE_1)
	s_and_b32 exec_lo, exec_lo, s5
	s_cbranch_execz .LBB24_269
; %bb.217:                              ;   in Loop: Header=BB24_10 Depth=1
	s_clause 0x1
	scratch_load_b32 v0, off, off offset:532
	scratch_load_b64 v[2:3], off, off offset:512
	s_waitcnt vmcnt(1)
	v_add_nc_u32_e32 v1, s66, v0
	s_waitcnt vmcnt(0)
	v_or_b32_e32 v0, s86, v2
	v_mov_b32_e32 v2, 0x47
	s_delay_alu instid0(VALU_DEP_3) | instskip(NEXT) | instid1(VALU_DEP_3)
	v_cmp_gt_i32_e32 vcc_lo, s8, v1
	v_cmp_gt_i32_e64 s5, s33, v0
	s_delay_alu instid0(VALU_DEP_1) | instskip(NEXT) | instid1(SALU_CYCLE_1)
	s_and_b32 s5, vcc_lo, s5
	s_and_saveexec_b32 s64, s5
	s_cbranch_execz .LBB24_219
; %bb.218:                              ;   in Loop: Header=BB24_10 Depth=1
	s_clause 0x1
	scratch_load_b32 v0, off, off offset:544
	scratch_load_b32 v6, off, off offset:548
	s_waitcnt vmcnt(1)
	v_add_nc_u32_e32 v0, 0, v0
	s_waitcnt vmcnt(0)
	ds_load_2addr_b32 v[2:3], v6 offset1:32
	ds_load_2addr_b32 v[4:5], v0 offset0:64 offset1:65
	ds_load_b32 v6, v6 offset:4352
	ds_load_b32 v0, v0 offset:4608
	s_clause 0x1
	scratch_load_b32 v7, off, off offset:552
	scratch_load_b64 v[13:14], off, off offset:512
	s_waitcnt lgkmcnt(2)
	v_fma_mix_f32 v8, v4, v2, 0 op_sel_hi:[0,1,0]
	v_fma_mix_f32 v2, v4, v2, 0 op_sel:[0,1,0] op_sel_hi:[0,1,0]
	v_fma_mix_f32 v9, v4, v3, 0 op_sel_hi:[0,1,0]
	v_fma_mix_f32 v3, v4, v3, 0 op_sel:[0,1,0] op_sel_hi:[0,1,0]
	s_waitcnt lgkmcnt(0)
	v_fma_mix_f32 v4, v0, v6, v8 op_sel_hi:[0,1,0]
	v_fma_mix_f32 v6, v0, v6, v2 op_sel:[0,1,0] op_sel_hi:[0,1,0]
	s_delay_alu instid0(VALU_DEP_2) | instskip(NEXT) | instid1(VALU_DEP_2)
	v_div_scale_f32 v16, vcc_lo, v4, v5, v4
	v_div_scale_f32 v10, null, v5, v5, v6
	v_div_scale_f32 v17, s5, v6, v5, v6
	s_waitcnt vmcnt(1)
	ds_load_b32 v7, v7 offset:4352
	s_waitcnt lgkmcnt(0)
	v_fma_mix_f32 v8, v0, v7, v9 op_sel_hi:[0,1,0]
	v_div_scale_f32 v9, null, v5, v5, v4
	v_fma_mix_f32 v7, v0, v7, v3 op_sel:[0,1,0] op_sel_hi:[0,1,0]
	s_waitcnt vmcnt(0)
	v_mad_u64_u32 v[2:3], null, v1, s9, v[13:14]
	v_div_scale_f32 v11, null, v5, v5, v8
	v_rcp_f32_e32 v3, v9
	v_div_scale_f32 v12, null, v5, v5, v7
	s_delay_alu instid0(VALU_DEP_2) | instskip(SKIP_2) | instid1(VALU_DEP_2)
	v_rcp_f32_e32 v14, v11
	v_rcp_f32_e32 v13, v10
	v_div_scale_f32 v18, s6, v8, v5, v8
	v_rcp_f32_e32 v15, v12
	v_div_scale_f32 v21, s7, v7, v5, v7
	v_fma_f32 v0, -v9, v3, 1.0
	s_delay_alu instid0(TRANS32_DEP_3)
	v_fma_f32 v19, -v11, v14, 1.0
	s_waitcnt_depctr 0xfff
	v_fma_f32 v1, -v10, v13, 1.0
	v_fmac_f32_e32 v3, v0, v3
	scratch_load_b32 v0, off, off offset:76 ; 4-byte Folded Reload
	v_fma_f32 v20, -v12, v15, 1.0
	v_dual_fmac_f32 v14, v19, v14 :: v_dual_fmac_f32 v13, v1, v13
	v_mul_f32_e32 v19, v16, v3
	s_delay_alu instid0(VALU_DEP_2) | instskip(NEXT) | instid1(VALU_DEP_3)
	v_dual_fmac_f32 v15, v20, v15 :: v_dual_mul_f32 v22, v18, v14
	v_mul_f32_e32 v20, v17, v13
	s_delay_alu instid0(VALU_DEP_2) | instskip(NEXT) | instid1(VALU_DEP_2)
	v_fma_f32 v25, -v11, v22, v18
	v_fma_f32 v24, -v10, v20, v17
	s_delay_alu instid0(VALU_DEP_4) | instskip(NEXT) | instid1(VALU_DEP_3)
	v_mul_f32_e32 v23, v21, v15
	v_fmac_f32_e32 v22, v25, v14
	s_delay_alu instid0(VALU_DEP_3) | instskip(NEXT) | instid1(VALU_DEP_3)
	v_fmac_f32_e32 v20, v24, v13
	v_fma_f32 v26, -v12, v23, v21
	s_delay_alu instid0(VALU_DEP_1) | instskip(SKIP_3) | instid1(VALU_DEP_2)
	v_fmac_f32_e32 v23, v26, v15
	s_waitcnt vmcnt(0)
	v_lshl_add_u32 v0, v2, 6, v0
	v_fma_f32 v2, -v9, v19, v16
	v_ashrrev_i32_e32 v1, 31, v0
	s_delay_alu instid0(VALU_DEP_2) | instskip(NEXT) | instid1(VALU_DEP_2)
	v_fmac_f32_e32 v19, v2, v3
	v_lshlrev_b64 v[0:1], 3, v[0:1]
	s_delay_alu instid0(VALU_DEP_2) | instskip(SKIP_3) | instid1(VALU_DEP_4)
	v_fma_f32 v2, -v9, v19, v16
	v_fma_f32 v9, -v10, v20, v17
	;; [unrolled: 1-line block ×4, first 2 shown]
	v_div_fmas_f32 v2, v2, v3, v19
	s_mov_b32 vcc_lo, s5
	v_div_fmas_f32 v9, v9, v13, v20
	s_mov_b32 vcc_lo, s6
	s_delay_alu instid0(VALU_DEP_2)
	v_div_fixup_f32 v3, v2, v5, v4
	v_div_fmas_f32 v10, v10, v14, v22
	s_mov_b32 vcc_lo, s7
	v_div_fixup_f32 v4, v9, v5, v6
	v_div_fmas_f32 v2, v11, v15, v23
	v_add_co_u32 v0, vcc_lo, s41, v0
	v_add_co_ci_u32_e32 v1, vcc_lo, s59, v1, vcc_lo
	s_delay_alu instid0(VALU_DEP_3)
	v_div_fixup_f32 v7, v2, v5, v7
	v_mov_b32_e32 v2, 0
	v_div_fixup_f32 v6, v10, v5, v8
	s_clause 0x1
	global_store_b64 v[0:1], v[3:4], off
	global_store_b64 v[0:1], v[6:7], off offset:256
.LBB24_219:                             ;   in Loop: Header=BB24_10 Depth=1
	s_or_b32 exec_lo, exec_lo, s64
	s_mov_b32 s5, -1
	s_mov_b32 s6, exec_lo
	v_cmpx_gt_i32_e32 0x47, v2
; %bb.220:                              ;   in Loop: Header=BB24_10 Depth=1
	v_cmp_eq_u32_e32 vcc_lo, 0, v2
	s_or_not1_b32 s5, vcc_lo, exec_lo
; %bb.221:                              ;   in Loop: Header=BB24_10 Depth=1
	s_or_b32 exec_lo, exec_lo, s6
	s_delay_alu instid0(SALU_CYCLE_1)
	s_and_b32 exec_lo, exec_lo, s5
	s_cbranch_execz .LBB24_269
; %bb.222:                              ;   in Loop: Header=BB24_10 Depth=1
	s_clause 0x1
	scratch_load_b32 v0, off, off offset:556
	scratch_load_b64 v[2:3], off, off offset:536
	s_waitcnt vmcnt(1)
	v_add_nc_u32_e32 v1, s66, v0
	s_waitcnt vmcnt(0)
	v_or_b32_e32 v0, s86, v2
	v_mov_b32_e32 v2, 0x47
	s_delay_alu instid0(VALU_DEP_3) | instskip(NEXT) | instid1(VALU_DEP_3)
	v_cmp_gt_i32_e32 vcc_lo, s8, v1
	v_cmp_gt_i32_e64 s5, s33, v0
	s_delay_alu instid0(VALU_DEP_1) | instskip(NEXT) | instid1(SALU_CYCLE_1)
	s_and_b32 s5, vcc_lo, s5
	s_and_saveexec_b32 s64, s5
	s_cbranch_execz .LBB24_224
; %bb.223:                              ;   in Loop: Header=BB24_10 Depth=1
	s_clause 0x1
	scratch_load_b32 v0, off, off offset:568
	scratch_load_b32 v6, off, off offset:572
	s_waitcnt vmcnt(1)
	v_add_nc_u32_e32 v0, 0, v0
	s_waitcnt vmcnt(0)
	ds_load_2addr_b32 v[2:3], v6 offset1:32
	ds_load_2addr_b32 v[4:5], v0 offset0:64 offset1:65
	ds_load_b32 v6, v6 offset:4352
	ds_load_b32 v0, v0 offset:4608
	s_clause 0x1
	scratch_load_b32 v7, off, off offset:576
	scratch_load_b64 v[13:14], off, off offset:536
	s_waitcnt lgkmcnt(2)
	v_fma_mix_f32 v8, v4, v2, 0 op_sel_hi:[0,1,0]
	v_fma_mix_f32 v2, v4, v2, 0 op_sel:[0,1,0] op_sel_hi:[0,1,0]
	v_fma_mix_f32 v9, v4, v3, 0 op_sel_hi:[0,1,0]
	v_fma_mix_f32 v3, v4, v3, 0 op_sel:[0,1,0] op_sel_hi:[0,1,0]
	s_waitcnt lgkmcnt(0)
	v_fma_mix_f32 v4, v0, v6, v8 op_sel_hi:[0,1,0]
	v_fma_mix_f32 v6, v0, v6, v2 op_sel:[0,1,0] op_sel_hi:[0,1,0]
	s_delay_alu instid0(VALU_DEP_2) | instskip(NEXT) | instid1(VALU_DEP_2)
	v_div_scale_f32 v16, vcc_lo, v4, v5, v4
	v_div_scale_f32 v10, null, v5, v5, v6
	v_div_scale_f32 v17, s5, v6, v5, v6
	s_waitcnt vmcnt(1)
	ds_load_b32 v7, v7 offset:4352
	s_waitcnt lgkmcnt(0)
	v_fma_mix_f32 v8, v0, v7, v9 op_sel_hi:[0,1,0]
	v_div_scale_f32 v9, null, v5, v5, v4
	v_fma_mix_f32 v7, v0, v7, v3 op_sel:[0,1,0] op_sel_hi:[0,1,0]
	s_waitcnt vmcnt(0)
	v_mad_u64_u32 v[2:3], null, v1, s9, v[13:14]
	v_div_scale_f32 v11, null, v5, v5, v8
	v_rcp_f32_e32 v3, v9
	v_div_scale_f32 v12, null, v5, v5, v7
	s_delay_alu instid0(VALU_DEP_2) | instskip(SKIP_2) | instid1(VALU_DEP_2)
	v_rcp_f32_e32 v14, v11
	v_rcp_f32_e32 v13, v10
	v_div_scale_f32 v18, s6, v8, v5, v8
	v_rcp_f32_e32 v15, v12
	v_div_scale_f32 v21, s7, v7, v5, v7
	v_fma_f32 v0, -v9, v3, 1.0
	s_delay_alu instid0(TRANS32_DEP_3)
	v_fma_f32 v19, -v11, v14, 1.0
	s_waitcnt_depctr 0xfff
	v_fma_f32 v1, -v10, v13, 1.0
	v_fmac_f32_e32 v3, v0, v3
	scratch_load_b32 v0, off, off offset:76 ; 4-byte Folded Reload
	v_fma_f32 v20, -v12, v15, 1.0
	v_dual_fmac_f32 v14, v19, v14 :: v_dual_fmac_f32 v13, v1, v13
	v_mul_f32_e32 v19, v16, v3
	s_delay_alu instid0(VALU_DEP_2) | instskip(NEXT) | instid1(VALU_DEP_3)
	v_dual_fmac_f32 v15, v20, v15 :: v_dual_mul_f32 v22, v18, v14
	v_mul_f32_e32 v20, v17, v13
	s_delay_alu instid0(VALU_DEP_2) | instskip(NEXT) | instid1(VALU_DEP_2)
	v_fma_f32 v25, -v11, v22, v18
	v_fma_f32 v24, -v10, v20, v17
	s_delay_alu instid0(VALU_DEP_4) | instskip(NEXT) | instid1(VALU_DEP_3)
	v_mul_f32_e32 v23, v21, v15
	v_fmac_f32_e32 v22, v25, v14
	s_delay_alu instid0(VALU_DEP_3) | instskip(NEXT) | instid1(VALU_DEP_3)
	v_fmac_f32_e32 v20, v24, v13
	v_fma_f32 v26, -v12, v23, v21
	s_delay_alu instid0(VALU_DEP_1) | instskip(SKIP_3) | instid1(VALU_DEP_2)
	v_fmac_f32_e32 v23, v26, v15
	s_waitcnt vmcnt(0)
	v_lshl_add_u32 v0, v2, 6, v0
	v_fma_f32 v2, -v9, v19, v16
	v_ashrrev_i32_e32 v1, 31, v0
	s_delay_alu instid0(VALU_DEP_2) | instskip(NEXT) | instid1(VALU_DEP_2)
	v_fmac_f32_e32 v19, v2, v3
	v_lshlrev_b64 v[0:1], 3, v[0:1]
	s_delay_alu instid0(VALU_DEP_2) | instskip(SKIP_3) | instid1(VALU_DEP_4)
	v_fma_f32 v2, -v9, v19, v16
	v_fma_f32 v9, -v10, v20, v17
	;; [unrolled: 1-line block ×4, first 2 shown]
	v_div_fmas_f32 v2, v2, v3, v19
	s_mov_b32 vcc_lo, s5
	v_div_fmas_f32 v9, v9, v13, v20
	s_mov_b32 vcc_lo, s6
	s_delay_alu instid0(VALU_DEP_2)
	v_div_fixup_f32 v3, v2, v5, v4
	v_div_fmas_f32 v10, v10, v14, v22
	s_mov_b32 vcc_lo, s7
	v_div_fixup_f32 v4, v9, v5, v6
	v_div_fmas_f32 v2, v11, v15, v23
	v_add_co_u32 v0, vcc_lo, s41, v0
	v_add_co_ci_u32_e32 v1, vcc_lo, s59, v1, vcc_lo
	s_delay_alu instid0(VALU_DEP_3)
	v_div_fixup_f32 v7, v2, v5, v7
	v_mov_b32_e32 v2, 0
	v_div_fixup_f32 v6, v10, v5, v8
	s_clause 0x1
	global_store_b64 v[0:1], v[3:4], off
	global_store_b64 v[0:1], v[6:7], off offset:256
.LBB24_224:                             ;   in Loop: Header=BB24_10 Depth=1
	s_or_b32 exec_lo, exec_lo, s64
	s_mov_b32 s5, -1
	s_mov_b32 s6, exec_lo
	v_cmpx_gt_i32_e32 0x47, v2
; %bb.225:                              ;   in Loop: Header=BB24_10 Depth=1
	v_cmp_eq_u32_e32 vcc_lo, 0, v2
	s_or_not1_b32 s5, vcc_lo, exec_lo
; %bb.226:                              ;   in Loop: Header=BB24_10 Depth=1
	s_or_b32 exec_lo, exec_lo, s6
	s_delay_alu instid0(SALU_CYCLE_1)
	s_and_b32 exec_lo, exec_lo, s5
	s_cbranch_execz .LBB24_269
; %bb.227:                              ;   in Loop: Header=BB24_10 Depth=1
	s_clause 0x1
	scratch_load_b32 v0, off, off offset:580
	scratch_load_b64 v[2:3], off, off offset:560
	s_waitcnt vmcnt(1)
	v_add_nc_u32_e32 v1, s66, v0
	s_waitcnt vmcnt(0)
	v_or_b32_e32 v0, s86, v2
	v_mov_b32_e32 v2, 0x47
	s_delay_alu instid0(VALU_DEP_3) | instskip(NEXT) | instid1(VALU_DEP_3)
	v_cmp_gt_i32_e32 vcc_lo, s8, v1
	v_cmp_gt_i32_e64 s5, s33, v0
	s_delay_alu instid0(VALU_DEP_1) | instskip(NEXT) | instid1(SALU_CYCLE_1)
	s_and_b32 s5, vcc_lo, s5
	s_and_saveexec_b32 s64, s5
	s_cbranch_execz .LBB24_229
; %bb.228:                              ;   in Loop: Header=BB24_10 Depth=1
	s_clause 0x1
	scratch_load_b32 v0, off, off offset:584
	scratch_load_b32 v6, off, off offset:588
	s_waitcnt vmcnt(1)
	v_add_nc_u32_e32 v0, 0, v0
	s_waitcnt vmcnt(0)
	ds_load_2addr_b32 v[2:3], v6 offset1:32
	ds_load_2addr_b32 v[4:5], v0 offset0:64 offset1:65
	ds_load_b32 v6, v6 offset:4352
	ds_load_b32 v0, v0 offset:4608
	s_clause 0x1
	scratch_load_b32 v7, off, off offset:592
	scratch_load_b64 v[13:14], off, off offset:560
	s_waitcnt lgkmcnt(2)
	v_fma_mix_f32 v8, v4, v2, 0 op_sel_hi:[0,1,0]
	v_fma_mix_f32 v2, v4, v2, 0 op_sel:[0,1,0] op_sel_hi:[0,1,0]
	v_fma_mix_f32 v9, v4, v3, 0 op_sel_hi:[0,1,0]
	v_fma_mix_f32 v3, v4, v3, 0 op_sel:[0,1,0] op_sel_hi:[0,1,0]
	s_waitcnt lgkmcnt(0)
	v_fma_mix_f32 v4, v0, v6, v8 op_sel_hi:[0,1,0]
	v_fma_mix_f32 v6, v0, v6, v2 op_sel:[0,1,0] op_sel_hi:[0,1,0]
	s_delay_alu instid0(VALU_DEP_2) | instskip(NEXT) | instid1(VALU_DEP_2)
	v_div_scale_f32 v16, vcc_lo, v4, v5, v4
	v_div_scale_f32 v10, null, v5, v5, v6
	v_div_scale_f32 v17, s5, v6, v5, v6
	s_waitcnt vmcnt(1)
	ds_load_b32 v7, v7 offset:4352
	s_waitcnt lgkmcnt(0)
	v_fma_mix_f32 v8, v0, v7, v9 op_sel_hi:[0,1,0]
	v_div_scale_f32 v9, null, v5, v5, v4
	v_fma_mix_f32 v7, v0, v7, v3 op_sel:[0,1,0] op_sel_hi:[0,1,0]
	s_waitcnt vmcnt(0)
	v_mad_u64_u32 v[2:3], null, v1, s9, v[13:14]
	v_div_scale_f32 v11, null, v5, v5, v8
	v_rcp_f32_e32 v3, v9
	v_div_scale_f32 v12, null, v5, v5, v7
	s_delay_alu instid0(VALU_DEP_2) | instskip(SKIP_2) | instid1(VALU_DEP_2)
	v_rcp_f32_e32 v14, v11
	v_rcp_f32_e32 v13, v10
	v_div_scale_f32 v18, s6, v8, v5, v8
	v_rcp_f32_e32 v15, v12
	v_div_scale_f32 v21, s7, v7, v5, v7
	v_fma_f32 v0, -v9, v3, 1.0
	s_delay_alu instid0(TRANS32_DEP_3)
	v_fma_f32 v19, -v11, v14, 1.0
	s_waitcnt_depctr 0xfff
	v_fma_f32 v1, -v10, v13, 1.0
	v_fmac_f32_e32 v3, v0, v3
	scratch_load_b32 v0, off, off offset:76 ; 4-byte Folded Reload
	v_fma_f32 v20, -v12, v15, 1.0
	v_dual_fmac_f32 v14, v19, v14 :: v_dual_fmac_f32 v13, v1, v13
	v_mul_f32_e32 v19, v16, v3
	s_delay_alu instid0(VALU_DEP_2) | instskip(NEXT) | instid1(VALU_DEP_3)
	v_dual_fmac_f32 v15, v20, v15 :: v_dual_mul_f32 v22, v18, v14
	v_mul_f32_e32 v20, v17, v13
	s_delay_alu instid0(VALU_DEP_2) | instskip(NEXT) | instid1(VALU_DEP_2)
	v_fma_f32 v25, -v11, v22, v18
	v_fma_f32 v24, -v10, v20, v17
	s_delay_alu instid0(VALU_DEP_4) | instskip(NEXT) | instid1(VALU_DEP_3)
	v_mul_f32_e32 v23, v21, v15
	v_fmac_f32_e32 v22, v25, v14
	s_delay_alu instid0(VALU_DEP_3) | instskip(NEXT) | instid1(VALU_DEP_3)
	v_fmac_f32_e32 v20, v24, v13
	v_fma_f32 v26, -v12, v23, v21
	s_delay_alu instid0(VALU_DEP_1) | instskip(SKIP_3) | instid1(VALU_DEP_2)
	v_fmac_f32_e32 v23, v26, v15
	s_waitcnt vmcnt(0)
	v_lshl_add_u32 v0, v2, 6, v0
	v_fma_f32 v2, -v9, v19, v16
	v_ashrrev_i32_e32 v1, 31, v0
	s_delay_alu instid0(VALU_DEP_2) | instskip(NEXT) | instid1(VALU_DEP_2)
	v_fmac_f32_e32 v19, v2, v3
	v_lshlrev_b64 v[0:1], 3, v[0:1]
	s_delay_alu instid0(VALU_DEP_2) | instskip(SKIP_3) | instid1(VALU_DEP_4)
	v_fma_f32 v2, -v9, v19, v16
	v_fma_f32 v9, -v10, v20, v17
	;; [unrolled: 1-line block ×4, first 2 shown]
	v_div_fmas_f32 v2, v2, v3, v19
	s_mov_b32 vcc_lo, s5
	v_div_fmas_f32 v9, v9, v13, v20
	s_mov_b32 vcc_lo, s6
	s_delay_alu instid0(VALU_DEP_2)
	v_div_fixup_f32 v3, v2, v5, v4
	v_div_fmas_f32 v10, v10, v14, v22
	s_mov_b32 vcc_lo, s7
	v_div_fixup_f32 v4, v9, v5, v6
	v_div_fmas_f32 v2, v11, v15, v23
	v_add_co_u32 v0, vcc_lo, s41, v0
	v_add_co_ci_u32_e32 v1, vcc_lo, s59, v1, vcc_lo
	s_delay_alu instid0(VALU_DEP_3)
	v_div_fixup_f32 v7, v2, v5, v7
	v_mov_b32_e32 v2, 0
	v_div_fixup_f32 v6, v10, v5, v8
	s_clause 0x1
	global_store_b64 v[0:1], v[3:4], off
	global_store_b64 v[0:1], v[6:7], off offset:256
.LBB24_229:                             ;   in Loop: Header=BB24_10 Depth=1
	s_or_b32 exec_lo, exec_lo, s64
	s_mov_b32 s5, -1
	s_mov_b32 s6, exec_lo
	v_cmpx_gt_i32_e32 0x47, v2
; %bb.230:                              ;   in Loop: Header=BB24_10 Depth=1
	v_cmp_eq_u32_e32 vcc_lo, 0, v2
	s_or_not1_b32 s5, vcc_lo, exec_lo
; %bb.231:                              ;   in Loop: Header=BB24_10 Depth=1
	s_or_b32 exec_lo, exec_lo, s6
	s_delay_alu instid0(SALU_CYCLE_1)
	s_and_b32 exec_lo, exec_lo, s5
	s_cbranch_execz .LBB24_269
; %bb.232:                              ;   in Loop: Header=BB24_10 Depth=1
	scratch_load_b32 v0, off, off offset:596 ; 4-byte Folded Reload
	s_waitcnt vmcnt(0)
	v_dual_mov_b32 v2, 0x47 :: v_dual_add_nc_u32 v1, s66, v0
	s_delay_alu instid0(VALU_DEP_1) | instskip(SKIP_1) | instid1(SALU_CYCLE_1)
	v_cmp_gt_i32_e32 vcc_lo, s8, v1
	s_and_b32 s4, vcc_lo, s4
	s_and_saveexec_b32 s7, s4
	s_cbranch_execz .LBB24_234
; %bb.233:                              ;   in Loop: Header=BB24_10 Depth=1
	s_clause 0x1
	scratch_load_b32 v0, off, off offset:608
	scratch_load_b32 v6, off, off offset:612
	s_waitcnt vmcnt(1)
	v_add_nc_u32_e32 v0, 0, v0
	s_waitcnt vmcnt(0)
	ds_load_2addr_b32 v[2:3], v6 offset1:32
	ds_load_2addr_b32 v[4:5], v0 offset0:64 offset1:65
	ds_load_b32 v6, v6 offset:4352
	ds_load_b32 v0, v0 offset:4608
	s_clause 0x1
	scratch_load_b32 v7, off, off offset:616
	scratch_load_b64 v[13:14], off, off offset:192
	s_waitcnt lgkmcnt(2)
	v_fma_mix_f32 v8, v4, v2, 0 op_sel_hi:[0,1,0]
	v_fma_mix_f32 v2, v4, v2, 0 op_sel:[0,1,0] op_sel_hi:[0,1,0]
	v_fma_mix_f32 v9, v4, v3, 0 op_sel_hi:[0,1,0]
	v_fma_mix_f32 v3, v4, v3, 0 op_sel:[0,1,0] op_sel_hi:[0,1,0]
	s_waitcnt lgkmcnt(0)
	v_fma_mix_f32 v4, v0, v6, v8 op_sel_hi:[0,1,0]
	v_fma_mix_f32 v6, v0, v6, v2 op_sel:[0,1,0] op_sel_hi:[0,1,0]
	s_delay_alu instid0(VALU_DEP_2) | instskip(NEXT) | instid1(VALU_DEP_2)
	v_div_scale_f32 v16, vcc_lo, v4, v5, v4
	v_div_scale_f32 v10, null, v5, v5, v6
	v_div_scale_f32 v17, s4, v6, v5, v6
	s_waitcnt vmcnt(1)
	ds_load_b32 v7, v7 offset:4352
	s_waitcnt lgkmcnt(0)
	v_fma_mix_f32 v8, v0, v7, v9 op_sel_hi:[0,1,0]
	v_div_scale_f32 v9, null, v5, v5, v4
	v_fma_mix_f32 v7, v0, v7, v3 op_sel:[0,1,0] op_sel_hi:[0,1,0]
	s_waitcnt vmcnt(0)
	v_mad_u64_u32 v[2:3], null, v1, s9, v[13:14]
	v_div_scale_f32 v11, null, v5, v5, v8
	v_rcp_f32_e32 v3, v9
	v_div_scale_f32 v12, null, v5, v5, v7
	s_delay_alu instid0(VALU_DEP_2) | instskip(SKIP_2) | instid1(VALU_DEP_2)
	v_rcp_f32_e32 v14, v11
	v_rcp_f32_e32 v13, v10
	v_div_scale_f32 v18, s5, v8, v5, v8
	v_rcp_f32_e32 v15, v12
	v_div_scale_f32 v21, s6, v7, v5, v7
	v_fma_f32 v0, -v9, v3, 1.0
	s_delay_alu instid0(TRANS32_DEP_3)
	v_fma_f32 v19, -v11, v14, 1.0
	s_waitcnt_depctr 0xfff
	v_fma_f32 v1, -v10, v13, 1.0
	v_fmac_f32_e32 v3, v0, v3
	scratch_load_b32 v0, off, off offset:76 ; 4-byte Folded Reload
	v_fma_f32 v20, -v12, v15, 1.0
	v_dual_fmac_f32 v14, v19, v14 :: v_dual_fmac_f32 v13, v1, v13
	v_mul_f32_e32 v19, v16, v3
	s_delay_alu instid0(VALU_DEP_2) | instskip(NEXT) | instid1(VALU_DEP_3)
	v_dual_fmac_f32 v15, v20, v15 :: v_dual_mul_f32 v22, v18, v14
	v_mul_f32_e32 v20, v17, v13
	s_delay_alu instid0(VALU_DEP_2) | instskip(NEXT) | instid1(VALU_DEP_2)
	v_fma_f32 v25, -v11, v22, v18
	v_fma_f32 v24, -v10, v20, v17
	s_delay_alu instid0(VALU_DEP_4) | instskip(NEXT) | instid1(VALU_DEP_3)
	v_mul_f32_e32 v23, v21, v15
	v_fmac_f32_e32 v22, v25, v14
	s_delay_alu instid0(VALU_DEP_3) | instskip(NEXT) | instid1(VALU_DEP_3)
	v_fmac_f32_e32 v20, v24, v13
	v_fma_f32 v26, -v12, v23, v21
	s_delay_alu instid0(VALU_DEP_1) | instskip(SKIP_3) | instid1(VALU_DEP_2)
	v_fmac_f32_e32 v23, v26, v15
	s_waitcnt vmcnt(0)
	v_lshl_add_u32 v0, v2, 6, v0
	v_fma_f32 v2, -v9, v19, v16
	v_ashrrev_i32_e32 v1, 31, v0
	s_delay_alu instid0(VALU_DEP_2) | instskip(NEXT) | instid1(VALU_DEP_2)
	v_fmac_f32_e32 v19, v2, v3
	v_lshlrev_b64 v[0:1], 3, v[0:1]
	s_delay_alu instid0(VALU_DEP_2) | instskip(SKIP_3) | instid1(VALU_DEP_4)
	v_fma_f32 v2, -v9, v19, v16
	v_fma_f32 v9, -v10, v20, v17
	;; [unrolled: 1-line block ×4, first 2 shown]
	v_div_fmas_f32 v2, v2, v3, v19
	s_mov_b32 vcc_lo, s4
	v_div_fmas_f32 v9, v9, v13, v20
	s_mov_b32 vcc_lo, s5
	s_delay_alu instid0(VALU_DEP_2)
	v_div_fixup_f32 v3, v2, v5, v4
	v_div_fmas_f32 v10, v10, v14, v22
	s_mov_b32 vcc_lo, s6
	v_div_fixup_f32 v4, v9, v5, v6
	v_div_fmas_f32 v2, v11, v15, v23
	v_add_co_u32 v0, vcc_lo, s41, v0
	v_add_co_ci_u32_e32 v1, vcc_lo, s59, v1, vcc_lo
	s_delay_alu instid0(VALU_DEP_3)
	v_div_fixup_f32 v7, v2, v5, v7
	v_mov_b32_e32 v2, 0
	v_div_fixup_f32 v6, v10, v5, v8
	s_clause 0x1
	global_store_b64 v[0:1], v[3:4], off
	global_store_b64 v[0:1], v[6:7], off offset:256
.LBB24_234:                             ;   in Loop: Header=BB24_10 Depth=1
	s_or_b32 exec_lo, exec_lo, s7
	s_mov_b32 s4, -1
	s_mov_b32 s5, exec_lo
	v_cmpx_gt_i32_e32 0x47, v2
; %bb.235:                              ;   in Loop: Header=BB24_10 Depth=1
	v_cmp_eq_u32_e32 vcc_lo, 0, v2
	s_or_not1_b32 s4, vcc_lo, exec_lo
; %bb.236:                              ;   in Loop: Header=BB24_10 Depth=1
	s_or_b32 exec_lo, exec_lo, s5
	s_delay_alu instid0(SALU_CYCLE_1)
	s_and_b32 exec_lo, exec_lo, s4
	s_cbranch_execz .LBB24_269
; %bb.237:                              ;   in Loop: Header=BB24_10 Depth=1
	s_clause 0x1
	scratch_load_b32 v0, off, off offset:620
	scratch_load_b64 v[2:3], off, off offset:600
	s_waitcnt vmcnt(1)
	v_add_nc_u32_e32 v1, s66, v0
	s_waitcnt vmcnt(0)
	v_or_b32_e32 v0, s86, v2
	v_mov_b32_e32 v2, 0x47
	s_delay_alu instid0(VALU_DEP_3) | instskip(NEXT) | instid1(VALU_DEP_3)
	v_cmp_gt_i32_e32 vcc_lo, s8, v1
	v_cmp_gt_i32_e64 s4, s33, v0
	s_delay_alu instid0(VALU_DEP_1) | instskip(NEXT) | instid1(SALU_CYCLE_1)
	s_and_b32 s4, vcc_lo, s4
	s_and_saveexec_b32 s7, s4
	s_cbranch_execz .LBB24_239
; %bb.238:                              ;   in Loop: Header=BB24_10 Depth=1
	s_clause 0x1
	scratch_load_b32 v0, off, off offset:632
	scratch_load_b32 v6, off, off offset:636
	s_waitcnt vmcnt(1)
	v_add_nc_u32_e32 v0, 0, v0
	s_waitcnt vmcnt(0)
	ds_load_2addr_b32 v[2:3], v6 offset1:32
	ds_load_2addr_b32 v[4:5], v0 offset0:64 offset1:65
	ds_load_b32 v6, v6 offset:4352
	ds_load_b32 v0, v0 offset:4608
	s_clause 0x1
	scratch_load_b32 v7, off, off offset:640
	scratch_load_b64 v[13:14], off, off offset:600
	s_waitcnt lgkmcnt(2)
	v_fma_mix_f32 v8, v4, v2, 0 op_sel_hi:[0,1,0]
	v_fma_mix_f32 v2, v4, v2, 0 op_sel:[0,1,0] op_sel_hi:[0,1,0]
	v_fma_mix_f32 v9, v4, v3, 0 op_sel_hi:[0,1,0]
	v_fma_mix_f32 v3, v4, v3, 0 op_sel:[0,1,0] op_sel_hi:[0,1,0]
	s_waitcnt lgkmcnt(0)
	v_fma_mix_f32 v4, v0, v6, v8 op_sel_hi:[0,1,0]
	v_fma_mix_f32 v6, v0, v6, v2 op_sel:[0,1,0] op_sel_hi:[0,1,0]
	s_delay_alu instid0(VALU_DEP_2) | instskip(NEXT) | instid1(VALU_DEP_2)
	v_div_scale_f32 v16, vcc_lo, v4, v5, v4
	v_div_scale_f32 v10, null, v5, v5, v6
	v_div_scale_f32 v17, s4, v6, v5, v6
	s_waitcnt vmcnt(1)
	ds_load_b32 v7, v7 offset:4352
	s_waitcnt lgkmcnt(0)
	v_fma_mix_f32 v8, v0, v7, v9 op_sel_hi:[0,1,0]
	v_div_scale_f32 v9, null, v5, v5, v4
	v_fma_mix_f32 v7, v0, v7, v3 op_sel:[0,1,0] op_sel_hi:[0,1,0]
	s_waitcnt vmcnt(0)
	v_mad_u64_u32 v[2:3], null, v1, s9, v[13:14]
	v_div_scale_f32 v11, null, v5, v5, v8
	v_rcp_f32_e32 v3, v9
	v_div_scale_f32 v12, null, v5, v5, v7
	s_delay_alu instid0(VALU_DEP_2) | instskip(SKIP_2) | instid1(VALU_DEP_2)
	v_rcp_f32_e32 v14, v11
	v_rcp_f32_e32 v13, v10
	v_div_scale_f32 v18, s5, v8, v5, v8
	v_rcp_f32_e32 v15, v12
	v_div_scale_f32 v21, s6, v7, v5, v7
	v_fma_f32 v0, -v9, v3, 1.0
	s_delay_alu instid0(TRANS32_DEP_3)
	v_fma_f32 v19, -v11, v14, 1.0
	s_waitcnt_depctr 0xfff
	v_fma_f32 v1, -v10, v13, 1.0
	v_fmac_f32_e32 v3, v0, v3
	scratch_load_b32 v0, off, off offset:76 ; 4-byte Folded Reload
	v_fma_f32 v20, -v12, v15, 1.0
	v_dual_fmac_f32 v14, v19, v14 :: v_dual_fmac_f32 v13, v1, v13
	v_mul_f32_e32 v19, v16, v3
	s_delay_alu instid0(VALU_DEP_2) | instskip(NEXT) | instid1(VALU_DEP_3)
	v_dual_fmac_f32 v15, v20, v15 :: v_dual_mul_f32 v22, v18, v14
	v_mul_f32_e32 v20, v17, v13
	s_delay_alu instid0(VALU_DEP_2) | instskip(NEXT) | instid1(VALU_DEP_2)
	v_fma_f32 v25, -v11, v22, v18
	v_fma_f32 v24, -v10, v20, v17
	s_delay_alu instid0(VALU_DEP_4) | instskip(NEXT) | instid1(VALU_DEP_3)
	v_mul_f32_e32 v23, v21, v15
	v_fmac_f32_e32 v22, v25, v14
	s_delay_alu instid0(VALU_DEP_3) | instskip(NEXT) | instid1(VALU_DEP_3)
	v_fmac_f32_e32 v20, v24, v13
	v_fma_f32 v26, -v12, v23, v21
	s_delay_alu instid0(VALU_DEP_1) | instskip(SKIP_3) | instid1(VALU_DEP_2)
	v_fmac_f32_e32 v23, v26, v15
	s_waitcnt vmcnt(0)
	v_lshl_add_u32 v0, v2, 6, v0
	v_fma_f32 v2, -v9, v19, v16
	v_ashrrev_i32_e32 v1, 31, v0
	s_delay_alu instid0(VALU_DEP_2) | instskip(NEXT) | instid1(VALU_DEP_2)
	v_fmac_f32_e32 v19, v2, v3
	v_lshlrev_b64 v[0:1], 3, v[0:1]
	s_delay_alu instid0(VALU_DEP_2) | instskip(SKIP_3) | instid1(VALU_DEP_4)
	v_fma_f32 v2, -v9, v19, v16
	v_fma_f32 v9, -v10, v20, v17
	;; [unrolled: 1-line block ×4, first 2 shown]
	v_div_fmas_f32 v2, v2, v3, v19
	s_mov_b32 vcc_lo, s4
	v_div_fmas_f32 v9, v9, v13, v20
	s_mov_b32 vcc_lo, s5
	s_delay_alu instid0(VALU_DEP_2)
	v_div_fixup_f32 v3, v2, v5, v4
	v_div_fmas_f32 v10, v10, v14, v22
	s_mov_b32 vcc_lo, s6
	v_div_fixup_f32 v4, v9, v5, v6
	v_div_fmas_f32 v2, v11, v15, v23
	v_add_co_u32 v0, vcc_lo, s41, v0
	v_add_co_ci_u32_e32 v1, vcc_lo, s59, v1, vcc_lo
	s_delay_alu instid0(VALU_DEP_3)
	v_div_fixup_f32 v7, v2, v5, v7
	v_mov_b32_e32 v2, 0
	v_div_fixup_f32 v6, v10, v5, v8
	s_clause 0x1
	global_store_b64 v[0:1], v[3:4], off
	global_store_b64 v[0:1], v[6:7], off offset:256
.LBB24_239:                             ;   in Loop: Header=BB24_10 Depth=1
	s_or_b32 exec_lo, exec_lo, s7
	s_mov_b32 s4, -1
	s_mov_b32 s5, exec_lo
	v_cmpx_gt_i32_e32 0x47, v2
; %bb.240:                              ;   in Loop: Header=BB24_10 Depth=1
	v_cmp_eq_u32_e32 vcc_lo, 0, v2
	s_or_not1_b32 s4, vcc_lo, exec_lo
; %bb.241:                              ;   in Loop: Header=BB24_10 Depth=1
	s_or_b32 exec_lo, exec_lo, s5
	s_delay_alu instid0(SALU_CYCLE_1)
	s_and_b32 exec_lo, exec_lo, s4
	s_cbranch_execz .LBB24_269
; %bb.242:                              ;   in Loop: Header=BB24_10 Depth=1
	s_clause 0x1
	scratch_load_b32 v0, off, off offset:644
	scratch_load_b64 v[2:3], off, off offset:624
	s_waitcnt vmcnt(1)
	v_add_nc_u32_e32 v1, s66, v0
	s_waitcnt vmcnt(0)
	v_or_b32_e32 v0, s86, v2
	v_mov_b32_e32 v2, 0x47
	s_delay_alu instid0(VALU_DEP_3) | instskip(NEXT) | instid1(VALU_DEP_3)
	v_cmp_gt_i32_e32 vcc_lo, s8, v1
	v_cmp_gt_i32_e64 s4, s33, v0
	s_delay_alu instid0(VALU_DEP_1) | instskip(NEXT) | instid1(SALU_CYCLE_1)
	s_and_b32 s4, vcc_lo, s4
	s_and_saveexec_b32 s7, s4
	s_cbranch_execz .LBB24_244
; %bb.243:                              ;   in Loop: Header=BB24_10 Depth=1
	s_clause 0x1
	scratch_load_b32 v0, off, off offset:656
	scratch_load_b32 v6, off, off offset:660
	s_waitcnt vmcnt(1)
	v_add_nc_u32_e32 v0, 0, v0
	s_waitcnt vmcnt(0)
	ds_load_2addr_b32 v[2:3], v6 offset1:32
	ds_load_2addr_b32 v[4:5], v0 offset0:64 offset1:65
	ds_load_b32 v6, v6 offset:4352
	ds_load_b32 v0, v0 offset:4608
	s_clause 0x1
	scratch_load_b32 v7, off, off offset:664
	scratch_load_b64 v[13:14], off, off offset:624
	s_waitcnt lgkmcnt(2)
	v_fma_mix_f32 v8, v4, v2, 0 op_sel_hi:[0,1,0]
	v_fma_mix_f32 v2, v4, v2, 0 op_sel:[0,1,0] op_sel_hi:[0,1,0]
	v_fma_mix_f32 v9, v4, v3, 0 op_sel_hi:[0,1,0]
	v_fma_mix_f32 v3, v4, v3, 0 op_sel:[0,1,0] op_sel_hi:[0,1,0]
	s_waitcnt lgkmcnt(0)
	v_fma_mix_f32 v4, v0, v6, v8 op_sel_hi:[0,1,0]
	v_fma_mix_f32 v6, v0, v6, v2 op_sel:[0,1,0] op_sel_hi:[0,1,0]
	s_delay_alu instid0(VALU_DEP_2) | instskip(NEXT) | instid1(VALU_DEP_2)
	v_div_scale_f32 v16, vcc_lo, v4, v5, v4
	v_div_scale_f32 v10, null, v5, v5, v6
	v_div_scale_f32 v17, s4, v6, v5, v6
	s_waitcnt vmcnt(1)
	ds_load_b32 v7, v7 offset:4352
	s_waitcnt lgkmcnt(0)
	v_fma_mix_f32 v8, v0, v7, v9 op_sel_hi:[0,1,0]
	v_div_scale_f32 v9, null, v5, v5, v4
	v_fma_mix_f32 v7, v0, v7, v3 op_sel:[0,1,0] op_sel_hi:[0,1,0]
	s_waitcnt vmcnt(0)
	v_mad_u64_u32 v[2:3], null, v1, s9, v[13:14]
	v_div_scale_f32 v11, null, v5, v5, v8
	v_rcp_f32_e32 v3, v9
	v_div_scale_f32 v12, null, v5, v5, v7
	s_delay_alu instid0(VALU_DEP_2) | instskip(SKIP_2) | instid1(VALU_DEP_2)
	v_rcp_f32_e32 v14, v11
	v_rcp_f32_e32 v13, v10
	v_div_scale_f32 v18, s5, v8, v5, v8
	v_rcp_f32_e32 v15, v12
	v_div_scale_f32 v21, s6, v7, v5, v7
	v_fma_f32 v0, -v9, v3, 1.0
	s_delay_alu instid0(TRANS32_DEP_3)
	v_fma_f32 v19, -v11, v14, 1.0
	s_waitcnt_depctr 0xfff
	v_fma_f32 v1, -v10, v13, 1.0
	v_fmac_f32_e32 v3, v0, v3
	scratch_load_b32 v0, off, off offset:76 ; 4-byte Folded Reload
	v_fma_f32 v20, -v12, v15, 1.0
	v_dual_fmac_f32 v14, v19, v14 :: v_dual_fmac_f32 v13, v1, v13
	v_mul_f32_e32 v19, v16, v3
	s_delay_alu instid0(VALU_DEP_2) | instskip(NEXT) | instid1(VALU_DEP_3)
	v_dual_fmac_f32 v15, v20, v15 :: v_dual_mul_f32 v22, v18, v14
	v_mul_f32_e32 v20, v17, v13
	s_delay_alu instid0(VALU_DEP_2) | instskip(NEXT) | instid1(VALU_DEP_2)
	v_fma_f32 v25, -v11, v22, v18
	v_fma_f32 v24, -v10, v20, v17
	s_delay_alu instid0(VALU_DEP_4) | instskip(NEXT) | instid1(VALU_DEP_3)
	v_mul_f32_e32 v23, v21, v15
	v_fmac_f32_e32 v22, v25, v14
	s_delay_alu instid0(VALU_DEP_3) | instskip(NEXT) | instid1(VALU_DEP_3)
	v_fmac_f32_e32 v20, v24, v13
	v_fma_f32 v26, -v12, v23, v21
	s_delay_alu instid0(VALU_DEP_1) | instskip(SKIP_3) | instid1(VALU_DEP_2)
	v_fmac_f32_e32 v23, v26, v15
	s_waitcnt vmcnt(0)
	v_lshl_add_u32 v0, v2, 6, v0
	v_fma_f32 v2, -v9, v19, v16
	v_ashrrev_i32_e32 v1, 31, v0
	s_delay_alu instid0(VALU_DEP_2) | instskip(NEXT) | instid1(VALU_DEP_2)
	v_fmac_f32_e32 v19, v2, v3
	v_lshlrev_b64 v[0:1], 3, v[0:1]
	s_delay_alu instid0(VALU_DEP_2) | instskip(SKIP_3) | instid1(VALU_DEP_4)
	v_fma_f32 v2, -v9, v19, v16
	v_fma_f32 v9, -v10, v20, v17
	v_fma_f32 v10, -v11, v22, v18
	v_fma_f32 v11, -v12, v23, v21
	v_div_fmas_f32 v2, v2, v3, v19
	s_mov_b32 vcc_lo, s4
	v_div_fmas_f32 v9, v9, v13, v20
	s_mov_b32 vcc_lo, s5
	s_delay_alu instid0(VALU_DEP_2)
	v_div_fixup_f32 v3, v2, v5, v4
	v_div_fmas_f32 v10, v10, v14, v22
	s_mov_b32 vcc_lo, s6
	v_div_fixup_f32 v4, v9, v5, v6
	v_div_fmas_f32 v2, v11, v15, v23
	v_add_co_u32 v0, vcc_lo, s41, v0
	v_add_co_ci_u32_e32 v1, vcc_lo, s59, v1, vcc_lo
	s_delay_alu instid0(VALU_DEP_3)
	v_div_fixup_f32 v7, v2, v5, v7
	v_mov_b32_e32 v2, 0
	v_div_fixup_f32 v6, v10, v5, v8
	s_clause 0x1
	global_store_b64 v[0:1], v[3:4], off
	global_store_b64 v[0:1], v[6:7], off offset:256
.LBB24_244:                             ;   in Loop: Header=BB24_10 Depth=1
	s_or_b32 exec_lo, exec_lo, s7
	s_mov_b32 s4, -1
	s_mov_b32 s5, exec_lo
	v_cmpx_gt_i32_e32 0x47, v2
; %bb.245:                              ;   in Loop: Header=BB24_10 Depth=1
	v_cmp_eq_u32_e32 vcc_lo, 0, v2
	s_or_not1_b32 s4, vcc_lo, exec_lo
; %bb.246:                              ;   in Loop: Header=BB24_10 Depth=1
	s_or_b32 exec_lo, exec_lo, s5
	s_delay_alu instid0(SALU_CYCLE_1)
	s_and_b32 exec_lo, exec_lo, s4
	s_cbranch_execz .LBB24_269
; %bb.247:                              ;   in Loop: Header=BB24_10 Depth=1
	s_clause 0x1
	scratch_load_b32 v0, off, off offset:668
	scratch_load_b64 v[2:3], off, off offset:648
	s_waitcnt vmcnt(1)
	v_add_nc_u32_e32 v1, s66, v0
	s_waitcnt vmcnt(0)
	v_or_b32_e32 v0, s86, v2
	v_mov_b32_e32 v2, 0x47
	s_delay_alu instid0(VALU_DEP_3) | instskip(NEXT) | instid1(VALU_DEP_3)
	v_cmp_gt_i32_e32 vcc_lo, s8, v1
	v_cmp_gt_i32_e64 s4, s33, v0
	s_delay_alu instid0(VALU_DEP_1) | instskip(NEXT) | instid1(SALU_CYCLE_1)
	s_and_b32 s4, vcc_lo, s4
	s_and_saveexec_b32 s7, s4
	s_cbranch_execz .LBB24_249
; %bb.248:                              ;   in Loop: Header=BB24_10 Depth=1
	s_clause 0x1
	scratch_load_b32 v0, off, off offset:680
	scratch_load_b32 v6, off, off offset:684
	s_waitcnt vmcnt(1)
	v_add_nc_u32_e32 v0, 0, v0
	s_waitcnt vmcnt(0)
	ds_load_2addr_b32 v[2:3], v6 offset1:32
	ds_load_2addr_b32 v[4:5], v0 offset0:64 offset1:65
	ds_load_b32 v6, v6 offset:4352
	ds_load_b32 v0, v0 offset:4608
	s_clause 0x1
	scratch_load_b32 v7, off, off offset:688
	scratch_load_b64 v[13:14], off, off offset:648
	s_waitcnt lgkmcnt(2)
	v_fma_mix_f32 v8, v4, v2, 0 op_sel_hi:[0,1,0]
	v_fma_mix_f32 v2, v4, v2, 0 op_sel:[0,1,0] op_sel_hi:[0,1,0]
	v_fma_mix_f32 v9, v4, v3, 0 op_sel_hi:[0,1,0]
	v_fma_mix_f32 v3, v4, v3, 0 op_sel:[0,1,0] op_sel_hi:[0,1,0]
	s_waitcnt lgkmcnt(0)
	v_fma_mix_f32 v4, v0, v6, v8 op_sel_hi:[0,1,0]
	v_fma_mix_f32 v6, v0, v6, v2 op_sel:[0,1,0] op_sel_hi:[0,1,0]
	s_delay_alu instid0(VALU_DEP_2) | instskip(NEXT) | instid1(VALU_DEP_2)
	v_div_scale_f32 v16, vcc_lo, v4, v5, v4
	v_div_scale_f32 v10, null, v5, v5, v6
	v_div_scale_f32 v17, s4, v6, v5, v6
	s_waitcnt vmcnt(1)
	ds_load_b32 v7, v7 offset:4352
	s_waitcnt lgkmcnt(0)
	v_fma_mix_f32 v8, v0, v7, v9 op_sel_hi:[0,1,0]
	v_div_scale_f32 v9, null, v5, v5, v4
	v_fma_mix_f32 v7, v0, v7, v3 op_sel:[0,1,0] op_sel_hi:[0,1,0]
	s_waitcnt vmcnt(0)
	v_mad_u64_u32 v[2:3], null, v1, s9, v[13:14]
	v_div_scale_f32 v11, null, v5, v5, v8
	v_rcp_f32_e32 v3, v9
	v_div_scale_f32 v12, null, v5, v5, v7
	s_delay_alu instid0(VALU_DEP_2) | instskip(SKIP_2) | instid1(VALU_DEP_2)
	v_rcp_f32_e32 v14, v11
	v_rcp_f32_e32 v13, v10
	v_div_scale_f32 v18, s5, v8, v5, v8
	v_rcp_f32_e32 v15, v12
	v_div_scale_f32 v21, s6, v7, v5, v7
	v_fma_f32 v0, -v9, v3, 1.0
	s_delay_alu instid0(TRANS32_DEP_3)
	v_fma_f32 v19, -v11, v14, 1.0
	s_waitcnt_depctr 0xfff
	v_fma_f32 v1, -v10, v13, 1.0
	v_fmac_f32_e32 v3, v0, v3
	scratch_load_b32 v0, off, off offset:76 ; 4-byte Folded Reload
	v_fma_f32 v20, -v12, v15, 1.0
	v_dual_fmac_f32 v14, v19, v14 :: v_dual_fmac_f32 v13, v1, v13
	v_mul_f32_e32 v19, v16, v3
	s_delay_alu instid0(VALU_DEP_2) | instskip(NEXT) | instid1(VALU_DEP_3)
	v_dual_fmac_f32 v15, v20, v15 :: v_dual_mul_f32 v22, v18, v14
	v_mul_f32_e32 v20, v17, v13
	s_delay_alu instid0(VALU_DEP_2) | instskip(NEXT) | instid1(VALU_DEP_2)
	v_fma_f32 v25, -v11, v22, v18
	v_fma_f32 v24, -v10, v20, v17
	s_delay_alu instid0(VALU_DEP_4) | instskip(NEXT) | instid1(VALU_DEP_3)
	v_mul_f32_e32 v23, v21, v15
	v_fmac_f32_e32 v22, v25, v14
	s_delay_alu instid0(VALU_DEP_3) | instskip(NEXT) | instid1(VALU_DEP_3)
	v_fmac_f32_e32 v20, v24, v13
	v_fma_f32 v26, -v12, v23, v21
	s_delay_alu instid0(VALU_DEP_1) | instskip(SKIP_3) | instid1(VALU_DEP_2)
	v_fmac_f32_e32 v23, v26, v15
	s_waitcnt vmcnt(0)
	v_lshl_add_u32 v0, v2, 6, v0
	v_fma_f32 v2, -v9, v19, v16
	v_ashrrev_i32_e32 v1, 31, v0
	s_delay_alu instid0(VALU_DEP_2) | instskip(NEXT) | instid1(VALU_DEP_2)
	v_fmac_f32_e32 v19, v2, v3
	v_lshlrev_b64 v[0:1], 3, v[0:1]
	s_delay_alu instid0(VALU_DEP_2) | instskip(SKIP_3) | instid1(VALU_DEP_4)
	v_fma_f32 v2, -v9, v19, v16
	v_fma_f32 v9, -v10, v20, v17
	v_fma_f32 v10, -v11, v22, v18
	v_fma_f32 v11, -v12, v23, v21
	v_div_fmas_f32 v2, v2, v3, v19
	s_mov_b32 vcc_lo, s4
	v_div_fmas_f32 v9, v9, v13, v20
	s_mov_b32 vcc_lo, s5
	s_delay_alu instid0(VALU_DEP_2)
	v_div_fixup_f32 v3, v2, v5, v4
	v_div_fmas_f32 v10, v10, v14, v22
	s_mov_b32 vcc_lo, s6
	v_div_fixup_f32 v4, v9, v5, v6
	v_div_fmas_f32 v2, v11, v15, v23
	v_add_co_u32 v0, vcc_lo, s41, v0
	v_add_co_ci_u32_e32 v1, vcc_lo, s59, v1, vcc_lo
	s_delay_alu instid0(VALU_DEP_3)
	v_div_fixup_f32 v7, v2, v5, v7
	v_mov_b32_e32 v2, 0
	v_div_fixup_f32 v6, v10, v5, v8
	s_clause 0x1
	global_store_b64 v[0:1], v[3:4], off
	global_store_b64 v[0:1], v[6:7], off offset:256
.LBB24_249:                             ;   in Loop: Header=BB24_10 Depth=1
	s_or_b32 exec_lo, exec_lo, s7
	s_mov_b32 s4, -1
	s_mov_b32 s5, exec_lo
	v_cmpx_gt_i32_e32 0x47, v2
; %bb.250:                              ;   in Loop: Header=BB24_10 Depth=1
	v_cmp_eq_u32_e32 vcc_lo, 0, v2
	s_or_not1_b32 s4, vcc_lo, exec_lo
; %bb.251:                              ;   in Loop: Header=BB24_10 Depth=1
	s_or_b32 exec_lo, exec_lo, s5
	s_delay_alu instid0(SALU_CYCLE_1)
	s_and_b32 exec_lo, exec_lo, s4
	s_cbranch_execz .LBB24_269
; %bb.252:                              ;   in Loop: Header=BB24_10 Depth=1
	s_clause 0x1
	scratch_load_b32 v0, off, off offset:692
	scratch_load_b64 v[2:3], off, off offset:672
	s_waitcnt vmcnt(1)
	v_add_nc_u32_e32 v1, s66, v0
	s_waitcnt vmcnt(0)
	v_or_b32_e32 v0, s86, v2
	v_mov_b32_e32 v2, 0x47
	s_delay_alu instid0(VALU_DEP_3) | instskip(NEXT) | instid1(VALU_DEP_3)
	v_cmp_gt_i32_e32 vcc_lo, s8, v1
	v_cmp_gt_i32_e64 s4, s33, v0
	s_delay_alu instid0(VALU_DEP_1) | instskip(NEXT) | instid1(SALU_CYCLE_1)
	s_and_b32 s4, vcc_lo, s4
	s_and_saveexec_b32 s7, s4
	s_cbranch_execz .LBB24_254
; %bb.253:                              ;   in Loop: Header=BB24_10 Depth=1
	s_clause 0x1
	scratch_load_b32 v0, off, off offset:704
	scratch_load_b32 v6, off, off offset:708
	s_waitcnt vmcnt(1)
	v_add_nc_u32_e32 v0, 0, v0
	s_waitcnt vmcnt(0)
	ds_load_2addr_b32 v[2:3], v6 offset1:32
	ds_load_2addr_b32 v[4:5], v0 offset0:64 offset1:65
	ds_load_b32 v6, v6 offset:4352
	ds_load_b32 v0, v0 offset:4608
	s_clause 0x1
	scratch_load_b32 v7, off, off offset:712
	scratch_load_b64 v[13:14], off, off offset:672
	s_waitcnt lgkmcnt(2)
	v_fma_mix_f32 v8, v4, v2, 0 op_sel_hi:[0,1,0]
	v_fma_mix_f32 v2, v4, v2, 0 op_sel:[0,1,0] op_sel_hi:[0,1,0]
	v_fma_mix_f32 v9, v4, v3, 0 op_sel_hi:[0,1,0]
	v_fma_mix_f32 v3, v4, v3, 0 op_sel:[0,1,0] op_sel_hi:[0,1,0]
	s_waitcnt lgkmcnt(0)
	v_fma_mix_f32 v4, v0, v6, v8 op_sel_hi:[0,1,0]
	v_fma_mix_f32 v6, v0, v6, v2 op_sel:[0,1,0] op_sel_hi:[0,1,0]
	s_delay_alu instid0(VALU_DEP_2) | instskip(NEXT) | instid1(VALU_DEP_2)
	v_div_scale_f32 v16, vcc_lo, v4, v5, v4
	v_div_scale_f32 v10, null, v5, v5, v6
	v_div_scale_f32 v17, s4, v6, v5, v6
	s_waitcnt vmcnt(1)
	ds_load_b32 v7, v7 offset:4352
	s_waitcnt lgkmcnt(0)
	v_fma_mix_f32 v8, v0, v7, v9 op_sel_hi:[0,1,0]
	v_div_scale_f32 v9, null, v5, v5, v4
	v_fma_mix_f32 v7, v0, v7, v3 op_sel:[0,1,0] op_sel_hi:[0,1,0]
	s_waitcnt vmcnt(0)
	v_mad_u64_u32 v[2:3], null, v1, s9, v[13:14]
	v_div_scale_f32 v11, null, v5, v5, v8
	v_rcp_f32_e32 v3, v9
	v_div_scale_f32 v12, null, v5, v5, v7
	s_delay_alu instid0(VALU_DEP_2) | instskip(SKIP_2) | instid1(VALU_DEP_2)
	v_rcp_f32_e32 v14, v11
	v_rcp_f32_e32 v13, v10
	v_div_scale_f32 v18, s5, v8, v5, v8
	v_rcp_f32_e32 v15, v12
	v_div_scale_f32 v21, s6, v7, v5, v7
	v_fma_f32 v0, -v9, v3, 1.0
	s_delay_alu instid0(TRANS32_DEP_3)
	v_fma_f32 v19, -v11, v14, 1.0
	s_waitcnt_depctr 0xfff
	v_fma_f32 v1, -v10, v13, 1.0
	v_fmac_f32_e32 v3, v0, v3
	scratch_load_b32 v0, off, off offset:76 ; 4-byte Folded Reload
	v_fma_f32 v20, -v12, v15, 1.0
	v_dual_fmac_f32 v14, v19, v14 :: v_dual_fmac_f32 v13, v1, v13
	v_mul_f32_e32 v19, v16, v3
	s_delay_alu instid0(VALU_DEP_2) | instskip(NEXT) | instid1(VALU_DEP_3)
	v_dual_fmac_f32 v15, v20, v15 :: v_dual_mul_f32 v22, v18, v14
	v_mul_f32_e32 v20, v17, v13
	s_delay_alu instid0(VALU_DEP_2) | instskip(NEXT) | instid1(VALU_DEP_2)
	v_fma_f32 v25, -v11, v22, v18
	v_fma_f32 v24, -v10, v20, v17
	s_delay_alu instid0(VALU_DEP_4) | instskip(NEXT) | instid1(VALU_DEP_3)
	v_mul_f32_e32 v23, v21, v15
	v_fmac_f32_e32 v22, v25, v14
	s_delay_alu instid0(VALU_DEP_3) | instskip(NEXT) | instid1(VALU_DEP_3)
	v_fmac_f32_e32 v20, v24, v13
	v_fma_f32 v26, -v12, v23, v21
	s_delay_alu instid0(VALU_DEP_1) | instskip(SKIP_3) | instid1(VALU_DEP_2)
	v_fmac_f32_e32 v23, v26, v15
	s_waitcnt vmcnt(0)
	v_lshl_add_u32 v0, v2, 6, v0
	v_fma_f32 v2, -v9, v19, v16
	v_ashrrev_i32_e32 v1, 31, v0
	s_delay_alu instid0(VALU_DEP_2) | instskip(NEXT) | instid1(VALU_DEP_2)
	v_fmac_f32_e32 v19, v2, v3
	v_lshlrev_b64 v[0:1], 3, v[0:1]
	s_delay_alu instid0(VALU_DEP_2) | instskip(SKIP_3) | instid1(VALU_DEP_4)
	v_fma_f32 v2, -v9, v19, v16
	v_fma_f32 v9, -v10, v20, v17
	;; [unrolled: 1-line block ×4, first 2 shown]
	v_div_fmas_f32 v2, v2, v3, v19
	s_mov_b32 vcc_lo, s4
	v_div_fmas_f32 v9, v9, v13, v20
	s_mov_b32 vcc_lo, s5
	s_delay_alu instid0(VALU_DEP_2)
	v_div_fixup_f32 v3, v2, v5, v4
	v_div_fmas_f32 v10, v10, v14, v22
	s_mov_b32 vcc_lo, s6
	v_div_fixup_f32 v4, v9, v5, v6
	v_div_fmas_f32 v2, v11, v15, v23
	v_add_co_u32 v0, vcc_lo, s41, v0
	v_add_co_ci_u32_e32 v1, vcc_lo, s59, v1, vcc_lo
	s_delay_alu instid0(VALU_DEP_3)
	v_div_fixup_f32 v7, v2, v5, v7
	v_mov_b32_e32 v2, 0
	v_div_fixup_f32 v6, v10, v5, v8
	s_clause 0x1
	global_store_b64 v[0:1], v[3:4], off
	global_store_b64 v[0:1], v[6:7], off offset:256
.LBB24_254:                             ;   in Loop: Header=BB24_10 Depth=1
	s_or_b32 exec_lo, exec_lo, s7
	s_mov_b32 s4, -1
	s_mov_b32 s5, exec_lo
	v_cmpx_gt_i32_e32 0x47, v2
; %bb.255:                              ;   in Loop: Header=BB24_10 Depth=1
	v_cmp_eq_u32_e32 vcc_lo, 0, v2
	s_or_not1_b32 s4, vcc_lo, exec_lo
; %bb.256:                              ;   in Loop: Header=BB24_10 Depth=1
	s_or_b32 exec_lo, exec_lo, s5
	s_delay_alu instid0(SALU_CYCLE_1)
	s_and_b32 exec_lo, exec_lo, s4
	s_cbranch_execz .LBB24_269
; %bb.257:                              ;   in Loop: Header=BB24_10 Depth=1
	s_clause 0x1
	scratch_load_b32 v0, off, off offset:716
	scratch_load_b64 v[2:3], off, off offset:696
	s_waitcnt vmcnt(1)
	v_add_nc_u32_e32 v1, s66, v0
	s_waitcnt vmcnt(0)
	v_or_b32_e32 v0, s86, v2
	v_mov_b32_e32 v2, 0x47
	s_delay_alu instid0(VALU_DEP_3) | instskip(NEXT) | instid1(VALU_DEP_3)
	v_cmp_gt_i32_e32 vcc_lo, s8, v1
	v_cmp_gt_i32_e64 s4, s33, v0
	s_delay_alu instid0(VALU_DEP_1) | instskip(NEXT) | instid1(SALU_CYCLE_1)
	s_and_b32 s4, vcc_lo, s4
	s_and_saveexec_b32 s7, s4
	s_cbranch_execz .LBB24_259
; %bb.258:                              ;   in Loop: Header=BB24_10 Depth=1
	s_clause 0x1
	scratch_load_b32 v0, off, off offset:728
	scratch_load_b32 v6, off, off offset:732
	s_waitcnt vmcnt(1)
	v_add_nc_u32_e32 v0, 0, v0
	s_waitcnt vmcnt(0)
	ds_load_2addr_b32 v[2:3], v6 offset1:32
	ds_load_2addr_b32 v[4:5], v0 offset0:64 offset1:65
	ds_load_b32 v6, v6 offset:4352
	ds_load_b32 v0, v0 offset:4608
	s_clause 0x1
	scratch_load_b32 v7, off, off offset:736
	scratch_load_b64 v[13:14], off, off offset:696
	s_waitcnt lgkmcnt(2)
	v_fma_mix_f32 v8, v4, v2, 0 op_sel_hi:[0,1,0]
	v_fma_mix_f32 v2, v4, v2, 0 op_sel:[0,1,0] op_sel_hi:[0,1,0]
	v_fma_mix_f32 v9, v4, v3, 0 op_sel_hi:[0,1,0]
	v_fma_mix_f32 v3, v4, v3, 0 op_sel:[0,1,0] op_sel_hi:[0,1,0]
	s_waitcnt lgkmcnt(0)
	v_fma_mix_f32 v4, v0, v6, v8 op_sel_hi:[0,1,0]
	v_fma_mix_f32 v6, v0, v6, v2 op_sel:[0,1,0] op_sel_hi:[0,1,0]
	s_delay_alu instid0(VALU_DEP_2) | instskip(NEXT) | instid1(VALU_DEP_2)
	v_div_scale_f32 v16, vcc_lo, v4, v5, v4
	v_div_scale_f32 v10, null, v5, v5, v6
	v_div_scale_f32 v17, s4, v6, v5, v6
	s_waitcnt vmcnt(1)
	ds_load_b32 v7, v7 offset:4352
	s_waitcnt lgkmcnt(0)
	v_fma_mix_f32 v8, v0, v7, v9 op_sel_hi:[0,1,0]
	v_div_scale_f32 v9, null, v5, v5, v4
	v_fma_mix_f32 v7, v0, v7, v3 op_sel:[0,1,0] op_sel_hi:[0,1,0]
	s_waitcnt vmcnt(0)
	v_mad_u64_u32 v[2:3], null, v1, s9, v[13:14]
	v_div_scale_f32 v11, null, v5, v5, v8
	v_rcp_f32_e32 v3, v9
	v_div_scale_f32 v12, null, v5, v5, v7
	s_delay_alu instid0(VALU_DEP_2) | instskip(SKIP_2) | instid1(VALU_DEP_2)
	v_rcp_f32_e32 v14, v11
	v_rcp_f32_e32 v13, v10
	v_div_scale_f32 v18, s5, v8, v5, v8
	v_rcp_f32_e32 v15, v12
	v_div_scale_f32 v21, s6, v7, v5, v7
	v_fma_f32 v0, -v9, v3, 1.0
	s_delay_alu instid0(TRANS32_DEP_3)
	v_fma_f32 v19, -v11, v14, 1.0
	s_waitcnt_depctr 0xfff
	v_fma_f32 v1, -v10, v13, 1.0
	v_fmac_f32_e32 v3, v0, v3
	scratch_load_b32 v0, off, off offset:76 ; 4-byte Folded Reload
	v_fma_f32 v20, -v12, v15, 1.0
	v_dual_fmac_f32 v14, v19, v14 :: v_dual_fmac_f32 v13, v1, v13
	v_mul_f32_e32 v19, v16, v3
	s_delay_alu instid0(VALU_DEP_2) | instskip(NEXT) | instid1(VALU_DEP_3)
	v_dual_fmac_f32 v15, v20, v15 :: v_dual_mul_f32 v22, v18, v14
	v_mul_f32_e32 v20, v17, v13
	s_delay_alu instid0(VALU_DEP_2) | instskip(NEXT) | instid1(VALU_DEP_2)
	v_fma_f32 v25, -v11, v22, v18
	v_fma_f32 v24, -v10, v20, v17
	s_delay_alu instid0(VALU_DEP_4) | instskip(NEXT) | instid1(VALU_DEP_3)
	v_mul_f32_e32 v23, v21, v15
	v_fmac_f32_e32 v22, v25, v14
	s_delay_alu instid0(VALU_DEP_3) | instskip(NEXT) | instid1(VALU_DEP_3)
	v_fmac_f32_e32 v20, v24, v13
	v_fma_f32 v26, -v12, v23, v21
	s_delay_alu instid0(VALU_DEP_1) | instskip(SKIP_3) | instid1(VALU_DEP_2)
	v_fmac_f32_e32 v23, v26, v15
	s_waitcnt vmcnt(0)
	v_lshl_add_u32 v0, v2, 6, v0
	v_fma_f32 v2, -v9, v19, v16
	v_ashrrev_i32_e32 v1, 31, v0
	s_delay_alu instid0(VALU_DEP_2) | instskip(NEXT) | instid1(VALU_DEP_2)
	v_fmac_f32_e32 v19, v2, v3
	v_lshlrev_b64 v[0:1], 3, v[0:1]
	s_delay_alu instid0(VALU_DEP_2) | instskip(SKIP_3) | instid1(VALU_DEP_4)
	v_fma_f32 v2, -v9, v19, v16
	v_fma_f32 v9, -v10, v20, v17
	;; [unrolled: 1-line block ×4, first 2 shown]
	v_div_fmas_f32 v2, v2, v3, v19
	s_mov_b32 vcc_lo, s4
	v_div_fmas_f32 v9, v9, v13, v20
	s_mov_b32 vcc_lo, s5
	s_delay_alu instid0(VALU_DEP_2)
	v_div_fixup_f32 v3, v2, v5, v4
	v_div_fmas_f32 v10, v10, v14, v22
	s_mov_b32 vcc_lo, s6
	v_div_fixup_f32 v4, v9, v5, v6
	v_div_fmas_f32 v2, v11, v15, v23
	v_add_co_u32 v0, vcc_lo, s41, v0
	v_add_co_ci_u32_e32 v1, vcc_lo, s59, v1, vcc_lo
	s_delay_alu instid0(VALU_DEP_3)
	v_div_fixup_f32 v7, v2, v5, v7
	v_mov_b32_e32 v2, 0
	v_div_fixup_f32 v6, v10, v5, v8
	s_clause 0x1
	global_store_b64 v[0:1], v[3:4], off
	global_store_b64 v[0:1], v[6:7], off offset:256
.LBB24_259:                             ;   in Loop: Header=BB24_10 Depth=1
	s_or_b32 exec_lo, exec_lo, s7
	s_mov_b32 s4, -1
	s_mov_b32 s5, exec_lo
	v_cmpx_gt_i32_e32 0x47, v2
; %bb.260:                              ;   in Loop: Header=BB24_10 Depth=1
	v_cmp_eq_u32_e32 vcc_lo, 0, v2
	s_or_not1_b32 s4, vcc_lo, exec_lo
; %bb.261:                              ;   in Loop: Header=BB24_10 Depth=1
	s_or_b32 exec_lo, exec_lo, s5
	s_delay_alu instid0(SALU_CYCLE_1)
	s_and_b32 exec_lo, exec_lo, s4
	s_cbranch_execz .LBB24_269
; %bb.262:                              ;   in Loop: Header=BB24_10 Depth=1
	s_clause 0x1
	scratch_load_b32 v0, off, off offset:740
	scratch_load_b64 v[2:3], off, off offset:720
	s_waitcnt vmcnt(1)
	v_add_nc_u32_e32 v1, s66, v0
	s_waitcnt vmcnt(0)
	v_or_b32_e32 v0, s86, v2
	v_mov_b32_e32 v2, 0x47
	s_delay_alu instid0(VALU_DEP_3) | instskip(NEXT) | instid1(VALU_DEP_3)
	v_cmp_gt_i32_e32 vcc_lo, s8, v1
	v_cmp_gt_i32_e64 s4, s33, v0
	s_delay_alu instid0(VALU_DEP_1) | instskip(NEXT) | instid1(SALU_CYCLE_1)
	s_and_b32 s4, vcc_lo, s4
	s_and_saveexec_b32 s7, s4
	s_cbranch_execz .LBB24_264
; %bb.263:                              ;   in Loop: Header=BB24_10 Depth=1
	s_clause 0x1
	scratch_load_b32 v0, off, off offset:752
	scratch_load_b32 v6, off, off offset:756
	s_waitcnt vmcnt(1)
	v_add_nc_u32_e32 v0, 0, v0
	s_waitcnt vmcnt(0)
	ds_load_2addr_b32 v[2:3], v6 offset1:32
	ds_load_2addr_b32 v[4:5], v0 offset0:64 offset1:65
	ds_load_b32 v6, v6 offset:4352
	ds_load_b32 v0, v0 offset:4608
	s_clause 0x1
	scratch_load_b32 v7, off, off offset:760
	scratch_load_b64 v[13:14], off, off offset:720
	s_waitcnt lgkmcnt(2)
	v_fma_mix_f32 v8, v4, v2, 0 op_sel_hi:[0,1,0]
	v_fma_mix_f32 v2, v4, v2, 0 op_sel:[0,1,0] op_sel_hi:[0,1,0]
	v_fma_mix_f32 v9, v4, v3, 0 op_sel_hi:[0,1,0]
	v_fma_mix_f32 v3, v4, v3, 0 op_sel:[0,1,0] op_sel_hi:[0,1,0]
	s_waitcnt lgkmcnt(0)
	v_fma_mix_f32 v4, v0, v6, v8 op_sel_hi:[0,1,0]
	v_fma_mix_f32 v6, v0, v6, v2 op_sel:[0,1,0] op_sel_hi:[0,1,0]
	s_delay_alu instid0(VALU_DEP_2) | instskip(NEXT) | instid1(VALU_DEP_2)
	v_div_scale_f32 v16, vcc_lo, v4, v5, v4
	v_div_scale_f32 v10, null, v5, v5, v6
	v_div_scale_f32 v17, s4, v6, v5, v6
	s_waitcnt vmcnt(1)
	ds_load_b32 v7, v7 offset:4352
	s_waitcnt lgkmcnt(0)
	v_fma_mix_f32 v8, v0, v7, v9 op_sel_hi:[0,1,0]
	v_div_scale_f32 v9, null, v5, v5, v4
	v_fma_mix_f32 v7, v0, v7, v3 op_sel:[0,1,0] op_sel_hi:[0,1,0]
	s_waitcnt vmcnt(0)
	v_mad_u64_u32 v[2:3], null, v1, s9, v[13:14]
	v_div_scale_f32 v11, null, v5, v5, v8
	v_rcp_f32_e32 v3, v9
	v_div_scale_f32 v12, null, v5, v5, v7
	s_delay_alu instid0(VALU_DEP_2) | instskip(SKIP_2) | instid1(VALU_DEP_2)
	v_rcp_f32_e32 v14, v11
	v_rcp_f32_e32 v13, v10
	v_div_scale_f32 v18, s5, v8, v5, v8
	v_rcp_f32_e32 v15, v12
	v_div_scale_f32 v21, s6, v7, v5, v7
	v_fma_f32 v0, -v9, v3, 1.0
	s_delay_alu instid0(TRANS32_DEP_3)
	v_fma_f32 v19, -v11, v14, 1.0
	s_waitcnt_depctr 0xfff
	v_fma_f32 v1, -v10, v13, 1.0
	v_fmac_f32_e32 v3, v0, v3
	scratch_load_b32 v0, off, off offset:76 ; 4-byte Folded Reload
	v_fma_f32 v20, -v12, v15, 1.0
	v_dual_fmac_f32 v14, v19, v14 :: v_dual_fmac_f32 v13, v1, v13
	v_mul_f32_e32 v19, v16, v3
	s_delay_alu instid0(VALU_DEP_2) | instskip(NEXT) | instid1(VALU_DEP_3)
	v_dual_fmac_f32 v15, v20, v15 :: v_dual_mul_f32 v22, v18, v14
	v_mul_f32_e32 v20, v17, v13
	s_delay_alu instid0(VALU_DEP_2) | instskip(NEXT) | instid1(VALU_DEP_2)
	v_fma_f32 v25, -v11, v22, v18
	v_fma_f32 v24, -v10, v20, v17
	s_delay_alu instid0(VALU_DEP_4) | instskip(NEXT) | instid1(VALU_DEP_3)
	v_mul_f32_e32 v23, v21, v15
	v_fmac_f32_e32 v22, v25, v14
	s_delay_alu instid0(VALU_DEP_3) | instskip(NEXT) | instid1(VALU_DEP_3)
	v_fmac_f32_e32 v20, v24, v13
	v_fma_f32 v26, -v12, v23, v21
	s_delay_alu instid0(VALU_DEP_1) | instskip(SKIP_3) | instid1(VALU_DEP_2)
	v_fmac_f32_e32 v23, v26, v15
	s_waitcnt vmcnt(0)
	v_lshl_add_u32 v0, v2, 6, v0
	v_fma_f32 v2, -v9, v19, v16
	v_ashrrev_i32_e32 v1, 31, v0
	s_delay_alu instid0(VALU_DEP_2) | instskip(NEXT) | instid1(VALU_DEP_2)
	v_fmac_f32_e32 v19, v2, v3
	v_lshlrev_b64 v[0:1], 3, v[0:1]
	s_delay_alu instid0(VALU_DEP_2) | instskip(SKIP_3) | instid1(VALU_DEP_4)
	v_fma_f32 v2, -v9, v19, v16
	v_fma_f32 v9, -v10, v20, v17
	;; [unrolled: 1-line block ×4, first 2 shown]
	v_div_fmas_f32 v2, v2, v3, v19
	s_mov_b32 vcc_lo, s4
	v_div_fmas_f32 v9, v9, v13, v20
	s_mov_b32 vcc_lo, s5
	s_delay_alu instid0(VALU_DEP_2)
	v_div_fixup_f32 v3, v2, v5, v4
	v_div_fmas_f32 v10, v10, v14, v22
	s_mov_b32 vcc_lo, s6
	v_div_fixup_f32 v4, v9, v5, v6
	v_div_fmas_f32 v2, v11, v15, v23
	v_add_co_u32 v0, vcc_lo, s41, v0
	v_add_co_ci_u32_e32 v1, vcc_lo, s59, v1, vcc_lo
	s_delay_alu instid0(VALU_DEP_3)
	v_div_fixup_f32 v7, v2, v5, v7
	v_mov_b32_e32 v2, 0
	v_div_fixup_f32 v6, v10, v5, v8
	s_clause 0x1
	global_store_b64 v[0:1], v[3:4], off
	global_store_b64 v[0:1], v[6:7], off offset:256
.LBB24_264:                             ;   in Loop: Header=BB24_10 Depth=1
	s_or_b32 exec_lo, exec_lo, s7
	s_mov_b32 s4, -1
	s_mov_b32 s5, exec_lo
	v_cmpx_gt_i32_e32 0x47, v2
; %bb.265:                              ;   in Loop: Header=BB24_10 Depth=1
	v_cmp_eq_u32_e32 vcc_lo, 0, v2
	s_or_not1_b32 s4, vcc_lo, exec_lo
; %bb.266:                              ;   in Loop: Header=BB24_10 Depth=1
	s_or_b32 exec_lo, exec_lo, s5
	s_delay_alu instid0(SALU_CYCLE_1)
	s_and_b32 exec_lo, exec_lo, s4
	s_cbranch_execz .LBB24_269
; %bb.267:                              ;   in Loop: Header=BB24_10 Depth=1
	s_clause 0x1
	scratch_load_b32 v0, off, off offset:764
	scratch_load_b64 v[2:3], off, off offset:744
	s_waitcnt vmcnt(1)
	v_add_nc_u32_e32 v1, s66, v0
	s_waitcnt vmcnt(0)
	v_or_b32_e32 v0, s86, v2
	s_delay_alu instid0(VALU_DEP_2) | instskip(NEXT) | instid1(VALU_DEP_2)
	v_cmp_gt_i32_e32 vcc_lo, s8, v1
	v_cmp_gt_i32_e64 s4, s33, v0
	s_delay_alu instid0(VALU_DEP_1) | instskip(NEXT) | instid1(SALU_CYCLE_1)
	s_and_b32 s4, vcc_lo, s4
	s_and_b32 exec_lo, exec_lo, s4
	s_cbranch_execz .LBB24_269
; %bb.268:                              ;   in Loop: Header=BB24_10 Depth=1
	s_clause 0x1
	scratch_load_b32 v0, off, off offset:768
	scratch_load_b32 v6, off, off offset:772
	s_waitcnt vmcnt(1)
	v_add_nc_u32_e32 v0, 0, v0
	s_waitcnt vmcnt(0)
	ds_load_2addr_b32 v[2:3], v6 offset1:32
	ds_load_2addr_b32 v[4:5], v0 offset0:64 offset1:65
	ds_load_b32 v6, v6 offset:4352
	ds_load_b32 v0, v0 offset:4608
	s_clause 0x1
	scratch_load_b32 v7, off, off offset:776
	scratch_load_b64 v[13:14], off, off offset:744
	s_waitcnt lgkmcnt(2)
	v_fma_mix_f32 v8, v4, v2, 0 op_sel_hi:[0,1,0]
	v_fma_mix_f32 v2, v4, v2, 0 op_sel:[0,1,0] op_sel_hi:[0,1,0]
	v_fma_mix_f32 v9, v4, v3, 0 op_sel_hi:[0,1,0]
	v_fma_mix_f32 v3, v4, v3, 0 op_sel:[0,1,0] op_sel_hi:[0,1,0]
	s_waitcnt lgkmcnt(0)
	v_fma_mix_f32 v4, v0, v6, v8 op_sel_hi:[0,1,0]
	v_fma_mix_f32 v6, v0, v6, v2 op_sel:[0,1,0] op_sel_hi:[0,1,0]
	s_delay_alu instid0(VALU_DEP_2) | instskip(NEXT) | instid1(VALU_DEP_2)
	v_div_scale_f32 v16, vcc_lo, v4, v5, v4
	v_div_scale_f32 v10, null, v5, v5, v6
	v_div_scale_f32 v17, s4, v6, v5, v6
	s_waitcnt vmcnt(1)
	ds_load_b32 v7, v7 offset:4352
	s_waitcnt lgkmcnt(0)
	v_fma_mix_f32 v8, v0, v7, v9 op_sel_hi:[0,1,0]
	v_div_scale_f32 v9, null, v5, v5, v4
	v_fma_mix_f32 v7, v0, v7, v3 op_sel:[0,1,0] op_sel_hi:[0,1,0]
	s_waitcnt vmcnt(0)
	v_mad_u64_u32 v[2:3], null, v1, s9, v[13:14]
	v_div_scale_f32 v11, null, v5, v5, v8
	v_rcp_f32_e32 v3, v9
	v_div_scale_f32 v12, null, v5, v5, v7
	s_delay_alu instid0(VALU_DEP_2) | instskip(SKIP_2) | instid1(VALU_DEP_2)
	v_rcp_f32_e32 v14, v11
	v_rcp_f32_e32 v13, v10
	v_div_scale_f32 v18, s5, v8, v5, v8
	v_rcp_f32_e32 v15, v12
	v_div_scale_f32 v21, s6, v7, v5, v7
	v_fma_f32 v0, -v9, v3, 1.0
	s_delay_alu instid0(TRANS32_DEP_3)
	v_fma_f32 v19, -v11, v14, 1.0
	s_waitcnt_depctr 0xfff
	v_fma_f32 v1, -v10, v13, 1.0
	v_fmac_f32_e32 v3, v0, v3
	scratch_load_b32 v0, off, off offset:76 ; 4-byte Folded Reload
	v_fma_f32 v20, -v12, v15, 1.0
	v_dual_fmac_f32 v14, v19, v14 :: v_dual_fmac_f32 v13, v1, v13
	v_mul_f32_e32 v19, v16, v3
	s_delay_alu instid0(VALU_DEP_2) | instskip(NEXT) | instid1(VALU_DEP_3)
	v_dual_fmac_f32 v15, v20, v15 :: v_dual_mul_f32 v22, v18, v14
	v_mul_f32_e32 v20, v17, v13
	s_delay_alu instid0(VALU_DEP_2) | instskip(NEXT) | instid1(VALU_DEP_2)
	v_fma_f32 v25, -v11, v22, v18
	v_fma_f32 v24, -v10, v20, v17
	s_delay_alu instid0(VALU_DEP_4) | instskip(NEXT) | instid1(VALU_DEP_3)
	v_mul_f32_e32 v23, v21, v15
	v_fmac_f32_e32 v22, v25, v14
	s_delay_alu instid0(VALU_DEP_3) | instskip(NEXT) | instid1(VALU_DEP_3)
	v_fmac_f32_e32 v20, v24, v13
	v_fma_f32 v26, -v12, v23, v21
	s_delay_alu instid0(VALU_DEP_1) | instskip(SKIP_3) | instid1(VALU_DEP_2)
	v_fmac_f32_e32 v23, v26, v15
	s_waitcnt vmcnt(0)
	v_lshl_add_u32 v0, v2, 6, v0
	v_fma_f32 v2, -v9, v19, v16
	v_ashrrev_i32_e32 v1, 31, v0
	s_delay_alu instid0(VALU_DEP_2) | instskip(NEXT) | instid1(VALU_DEP_2)
	v_fmac_f32_e32 v19, v2, v3
	v_lshlrev_b64 v[0:1], 3, v[0:1]
	s_delay_alu instid0(VALU_DEP_2) | instskip(SKIP_3) | instid1(VALU_DEP_4)
	v_fma_f32 v2, -v9, v19, v16
	v_fma_f32 v9, -v10, v20, v17
	v_fma_f32 v10, -v11, v22, v18
	v_fma_f32 v11, -v12, v23, v21
	v_div_fmas_f32 v2, v2, v3, v19
	s_mov_b32 vcc_lo, s4
	v_div_fmas_f32 v3, v9, v13, v20
	s_mov_b32 vcc_lo, s5
	s_delay_alu instid0(VALU_DEP_2)
	v_div_fixup_f32 v2, v2, v5, v4
	v_div_fmas_f32 v9, v10, v14, v22
	s_mov_b32 vcc_lo, s6
	v_div_fixup_f32 v3, v3, v5, v6
	v_div_fmas_f32 v10, v11, v15, v23
	v_add_co_u32 v0, vcc_lo, s41, v0
	v_add_co_ci_u32_e32 v1, vcc_lo, s59, v1, vcc_lo
	v_div_fixup_f32 v4, v9, v5, v8
	s_delay_alu instid0(VALU_DEP_4)
	v_div_fixup_f32 v5, v10, v5, v7
	s_clause 0x1
	global_store_b64 v[0:1], v[2:3], off
	global_store_b64 v[0:1], v[4:5], off offset:256
.LBB24_269:                             ;   in Loop: Header=BB24_10 Depth=1
	s_or_b32 exec_lo, exec_lo, s56
	s_waitcnt_vscnt null, 0x0
	s_barrier
.LBB24_270:                             ;   in Loop: Header=BB24_10 Depth=1
	s_add_i32 s4, s50, s72
	s_mov_b32 s97, 0
	s_abs_i32 s5, s4
	s_waitcnt_vscnt null, 0x0
	buffer_gl0_inv
	s_mul_hi_u32 s6, s5, s75
	s_delay_alu instid0(SALU_CYCLE_1) | instskip(NEXT) | instid1(SALU_CYCLE_1)
	s_mul_i32 s6, s6, s73
	s_sub_i32 s5, s5, s6
	s_ashr_i32 s6, s4, 31
	s_sub_i32 s7, s5, s73
	s_cmp_ge_u32 s5, s73
	s_cselect_b32 s5, s7, s5
	s_delay_alu instid0(SALU_CYCLE_1) | instskip(SKIP_2) | instid1(SALU_CYCLE_1)
	s_sub_i32 s7, s5, s73
	s_cmp_ge_u32 s5, s73
	s_cselect_b32 s5, s7, s5
	s_xor_b32 s5, s5, s6
	s_delay_alu instid0(SALU_CYCLE_1) | instskip(NEXT) | instid1(SALU_CYCLE_1)
	s_sub_i32 s5, s6, s5
	s_add_i32 s50, s4, s5
	s_delay_alu instid0(SALU_CYCLE_1) | instskip(NEXT) | instid1(SALU_CYCLE_1)
	s_sub_i32 s5, s54, s50
	s_min_i32 s92, s72, s5
	s_cmp_gt_i32 s54, s50
	s_cselect_b32 s4, -1, 0
	s_cmp_le_i32 s72, s5
	s_cselect_b32 s5, -1, 0
	s_delay_alu instid0(SALU_CYCLE_1) | instskip(NEXT) | instid1(SALU_CYCLE_1)
	s_and_b32 s5, s5, s4
	s_and_b32 vcc_lo, exec_lo, s5
	s_cbranch_vccz .LBB24_272
; %bb.271:                              ;   in Loop: Header=BB24_10 Depth=1
	scratch_load_b32 v75, off, off offset:176 ; 4-byte Folded Reload
	s_branch .LBB24_10
.LBB24_272:
	s_clause 0xb
	scratch_load_b32 v251, off, off offset:76
	scratch_load_b32 v252, off, off offset:96
	;; [unrolled: 1-line block ×12, first 2 shown]
	s_and_not1_b32 vcc_lo, exec_lo, s4
	s_cbranch_vccnz .LBB24_8
.LBB24_273:
	s_abs_i32 s0, s71
	s_abs_i32 s3, s50
	v_cvt_f32_u32_e32 v0, s0
	s_sub_i32 s2, 0, s0
	v_mov_b32_e32 v16, s92
	s_delay_alu instid0(VALU_DEP_2) | instskip(SKIP_2) | instid1(VALU_DEP_1)
	v_rcp_iflag_f32_e32 v0, v0
	s_waitcnt_depctr 0xfff
	v_mul_f32_e32 v0, 0x4f7ffffe, v0
	v_cvt_u32_f32_e32 v0, v0
	s_delay_alu instid0(VALU_DEP_1) | instskip(NEXT) | instid1(VALU_DEP_1)
	v_readfirstlane_b32 s1, v0
	s_mul_i32 s2, s2, s1
	s_delay_alu instid0(SALU_CYCLE_1) | instskip(NEXT) | instid1(SALU_CYCLE_1)
	s_mul_hi_u32 s2, s1, s2
	s_add_i32 s1, s1, s2
	s_xor_b32 s2, s50, s71
	s_mul_hi_u32 s1, s3, s1
	s_ashr_i32 s2, s2, 31
	s_mul_i32 s4, s1, s0
	s_delay_alu instid0(SALU_CYCLE_1)
	s_sub_i32 s3, s3, s4
	s_add_i32 s4, s1, 1
	s_sub_i32 s5, s3, s0
	s_cmp_ge_u32 s3, s0
	s_cselect_b32 s1, s4, s1
	s_cselect_b32 s3, s5, s3
	s_add_i32 s4, s1, 1
	s_cmp_ge_u32 s3, s0
	s_cselect_b32 s0, s4, s1
	s_abs_i32 s1, s70
	s_xor_b32 s0, s0, s2
	v_cvt_f32_u32_e32 v0, s1
	s_sub_i32 s2, s0, s2
	s_sub_i32 s0, 0, s1
	s_mul_i32 s4, s2, s71
	s_delay_alu instid0(VALU_DEP_1) | instskip(SKIP_1) | instid1(SALU_CYCLE_1)
	v_rcp_iflag_f32_e32 v0, v0
	s_sub_i32 s4, s50, s4
	s_abs_i32 s5, s4
	s_waitcnt_depctr 0xfff
	v_mul_f32_e32 v0, 0x4f7ffffe, v0
	s_delay_alu instid0(VALU_DEP_1) | instskip(NEXT) | instid1(VALU_DEP_1)
	v_cvt_u32_f32_e32 v0, v0
	v_readfirstlane_b32 s3, v0
	s_delay_alu instid0(VALU_DEP_1) | instskip(NEXT) | instid1(SALU_CYCLE_1)
	s_mul_i32 s0, s0, s3
	s_mul_hi_u32 s0, s3, s0
	s_delay_alu instid0(SALU_CYCLE_1) | instskip(NEXT) | instid1(SALU_CYCLE_1)
	s_add_i32 s3, s3, s0
	s_mul_hi_u32 s0, s5, s3
	s_xor_b32 s3, s4, s70
	s_mul_i32 s6, s0, s1
	s_ashr_i32 s3, s3, 31
	s_sub_i32 s5, s5, s6
	s_add_i32 s6, s0, 1
	s_sub_i32 s7, s5, s1
	s_cmp_ge_u32 s5, s1
	s_cselect_b32 s0, s6, s0
	s_cselect_b32 s5, s7, s5
	s_add_i32 s6, s0, 1
	s_cmp_ge_u32 s5, s1
	s_cselect_b32 s0, s6, s0
	s_abs_i32 s5, s69
	s_xor_b32 s0, s0, s3
	v_cvt_f32_u32_e32 v0, s5
	s_sub_i32 s1, s0, s3
	s_sub_i32 s0, 0, s5
	s_mul_i32 s3, s1, s70
	s_delay_alu instid0(VALU_DEP_1) | instskip(SKIP_1) | instid1(SALU_CYCLE_1)
	v_rcp_iflag_f32_e32 v0, v0
	s_sub_i32 s3, s4, s3
	s_abs_i32 s4, s3
	s_waitcnt_depctr 0xfff
	v_mul_f32_e32 v0, 0x4f7ffffe, v0
	s_delay_alu instid0(VALU_DEP_1) | instskip(NEXT) | instid1(VALU_DEP_1)
	v_cvt_u32_f32_e32 v0, v0
	v_readfirstlane_b32 s6, v0
	s_delay_alu instid0(VALU_DEP_1) | instskip(NEXT) | instid1(SALU_CYCLE_1)
	s_mul_i32 s0, s0, s6
	s_mul_hi_u32 s0, s6, s0
	s_delay_alu instid0(SALU_CYCLE_1) | instskip(NEXT) | instid1(SALU_CYCLE_1)
	s_add_i32 s6, s6, s0
	s_mul_hi_u32 s0, s4, s6
	s_xor_b32 s6, s3, s69
	s_mul_i32 s7, s0, s5
	s_ashr_i32 s6, s6, 31
	s_sub_i32 s4, s4, s7
	s_add_i32 s7, s0, 1
	s_sub_i32 s9, s4, s5
	s_cmp_ge_u32 s4, s5
	s_cselect_b32 s0, s7, s0
	s_cselect_b32 s4, s9, s4
	s_add_i32 s7, s0, 1
	s_cmp_ge_u32 s4, s5
	s_cselect_b32 s0, s7, s0
	s_delay_alu instid0(SALU_CYCLE_1) | instskip(NEXT) | instid1(SALU_CYCLE_1)
	s_xor_b32 s0, s0, s6
	s_sub_i32 s0, s0, s6
	s_delay_alu instid0(SALU_CYCLE_1) | instskip(NEXT) | instid1(SALU_CYCLE_1)
	s_mul_i32 s4, s0, s69
	s_sub_i32 s3, s3, s4
	s_delay_alu instid0(SALU_CYCLE_1) | instskip(SKIP_4) | instid1(SALU_CYCLE_1)
	s_abs_i32 s4, s3
	s_ashr_i32 s3, s3, 31
	s_mul_hi_u32 s5, s4, s75
	s_xor_b32 s7, s3, s74
	s_mul_i32 s6, s5, s73
	s_sub_i32 s3, s4, s6
	s_add_i32 s4, s5, 1
	s_sub_i32 s6, s3, s73
	s_cmp_ge_u32 s3, s73
	s_cselect_b32 s4, s4, s5
	s_cselect_b32 s3, s6, s3
	s_add_i32 s5, s4, 1
	s_cmp_ge_u32 s3, s73
	s_cselect_b32 s4, s5, s4
	s_abs_i32 s3, s52
	s_xor_b32 s4, s4, s7
	v_cvt_f32_u32_e32 v0, s3
	s_sub_i32 s5, s4, s7
	s_cmp_eq_u64 s[26:27], 0
	s_delay_alu instid0(VALU_DEP_1) | instskip(SKIP_2) | instid1(VALU_DEP_1)
	v_rcp_iflag_f32_e32 v0, v0
	s_waitcnt_depctr 0xfff
	v_mul_f32_e32 v0, 0x4f7ffffe, v0
	v_cvt_u32_f32_e32 v0, v0
	s_delay_alu instid0(VALU_DEP_1)
	v_readfirstlane_b32 s9, v0
	s_cbranch_scc1 .LBB24_275
; %bb.274:
	s_mul_i32 s4, s2, s68
	v_mov_b32_e32 v0, 0
	s_add_i32 s6, s5, s4
	s_delay_alu instid0(SALU_CYCLE_1) | instskip(NEXT) | instid1(SALU_CYCLE_1)
	s_ashr_i32 s7, s6, 31
	s_lshl_b64 s[6:7], s[6:7], 2
	s_delay_alu instid0(SALU_CYCLE_1) | instskip(SKIP_4) | instid1(VALU_DEP_1)
	s_add_u32 s6, s26, s6
	s_addc_u32 s7, s27, s7
	global_load_b32 v0, v0, s[6:7]
	s_waitcnt vmcnt(0)
	v_ashrrev_i32_e32 v1, 31, v0
	v_lshrrev_b32_e32 v1, 27, v1
	s_delay_alu instid0(VALU_DEP_1) | instskip(NEXT) | instid1(VALU_DEP_1)
	v_add_nc_u32_e32 v0, v0, v1
	v_ashrrev_i32_e32 v0, 5, v0
	s_delay_alu instid0(VALU_DEP_1)
	v_min_i32_e32 v16, s92, v0
.LBB24_275:
	scratch_load_b32 v0, off, off offset:92 ; 4-byte Folded Reload
	s_mul_i32 s4, s1, s33
	s_lshl_b32 s7, s0, 3
	s_mul_i32 s0, s2, s49
	s_add_i32 s4, s7, s4
	s_ashr_i32 s6, s0, 31
	s_mul_i32 s4, s4, s48
	s_add_u32 s0, s16, s0
	s_addc_u32 s6, s17, s6
	s_ashr_i32 s11, s4, 31
	s_add_u32 s4, s0, s4
	s_addc_u32 s6, s6, s11
	s_lshl_b32 s11, s5, 1
	s_waitcnt vmcnt(4)
	v_or_b32_e32 v1, s7, v75
	s_delay_alu instid0(VALU_DEP_1) | instskip(SKIP_3) | instid1(VALU_DEP_1)
	v_cmp_gt_i32_e32 vcc_lo, s33, v1
	s_xor_b32 s16, vcc_lo, -1
	s_waitcnt vmcnt(0)
	v_add_nc_u32_e32 v0, s11, v0
	v_cmp_le_i32_e64 s0, s8, v0
	s_delay_alu instid0(VALU_DEP_1) | instskip(NEXT) | instid1(SALU_CYCLE_1)
	s_or_b32 s0, s0, s16
	s_and_saveexec_b32 s17, s0
	s_delay_alu instid0(SALU_CYCLE_1)
	s_xor_b32 s0, exec_lo, s17
	s_cbranch_execz .LBB24_277
; %bb.276:
	v_mad_u32_u24 v0, 0x44, v252, v251
	v_mov_b32_e32 v1, 0
	s_delay_alu instid0(VALU_DEP_2)
	v_lshl_add_u32 v0, v0, 2, 0
	ds_store_2addr_b32 v0, v1, v1 offset1:32
                                        ; implicit-def: $vgpr0
.LBB24_277:
	s_and_not1_saveexec_b32 s0, s0
	s_cbranch_execz .LBB24_279
; %bb.278:
	v_mul_lo_u32 v0, v0, s51
	v_mul_lo_u32 v1, v75, s55
	v_mad_u32_u24 v4, 0x44, v252, v251
	s_delay_alu instid0(VALU_DEP_2) | instskip(NEXT) | instid1(VALU_DEP_1)
	v_add3_u32 v0, v0, v1, v251
	v_ashrrev_i32_e32 v1, 31, v0
	s_delay_alu instid0(VALU_DEP_1) | instskip(NEXT) | instid1(VALU_DEP_1)
	v_lshlrev_b64 v[0:1], 3, v[0:1]
	v_add_co_u32 v0, vcc_lo, s4, v0
	s_delay_alu instid0(VALU_DEP_2)
	v_add_co_ci_u32_e32 v1, vcc_lo, s6, v1, vcc_lo
	s_clause 0x1
	global_load_b64 v[2:3], v[0:1], off
	global_load_b64 v[0:1], v[0:1], off offset:256
	s_waitcnt vmcnt(1)
	v_cvt_f16_f32_e32 v2, v2
	v_cvt_f16_f32_e32 v3, v3
	s_waitcnt vmcnt(0)
	v_cvt_f16_f32_e32 v0, v0
	v_cvt_f16_f32_e32 v1, v1
	s_delay_alu instid0(VALU_DEP_3)
	v_pack_b32_f16 v2, v2, v3
	scratch_load_b32 v3, off, off offset:80 ; 4-byte Folded Reload
	v_pack_b32_f16 v0, v0, v1
	v_lshl_add_u32 v1, v4, 2, 0
	s_waitcnt vmcnt(0)
	v_pk_mul_f16 v2, v3, v2
	s_delay_alu instid0(VALU_DEP_3)
	v_pk_mul_f16 v0, v3, v0
	ds_store_2addr_b32 v1, v2, v0 offset1:32
.LBB24_279:
	s_or_b32 exec_lo, exec_lo, s0
	v_lshrrev_b32_e32 v1, 3, v78
	v_and_b32_e32 v0, 7, v78
	s_delay_alu instid0(VALU_DEP_2) | instskip(NEXT) | instid1(VALU_DEP_2)
	v_add_nc_u32_e32 v1, s11, v1
	v_or_b32_e32 v2, s7, v0
	s_delay_alu instid0(VALU_DEP_2) | instskip(NEXT) | instid1(VALU_DEP_2)
	v_cmp_le_i32_e32 vcc_lo, s8, v1
	v_cmp_le_i32_e64 s0, s33, v2
	s_delay_alu instid0(VALU_DEP_1) | instskip(NEXT) | instid1(SALU_CYCLE_1)
	s_or_b32 s0, vcc_lo, s0
	s_and_saveexec_b32 s17, s0
	s_delay_alu instid0(SALU_CYCLE_1)
	s_xor_b32 s0, exec_lo, s17
	s_cbranch_execz .LBB24_281
; %bb.280:
	v_mad_u32_u24 v0, 0x44, v78, v251
	v_mov_b32_e32 v1, 0
                                        ; implicit-def: $vgpr78
	s_delay_alu instid0(VALU_DEP_2)
	v_lshl_add_u32 v0, v0, 2, 0
	ds_store_2addr_b32 v0, v1, v1 offset1:32
                                        ; implicit-def: $vgpr1
                                        ; implicit-def: $vgpr0
.LBB24_281:
	s_and_not1_saveexec_b32 s0, s0
	s_cbranch_execz .LBB24_283
; %bb.282:
	v_mul_lo_u32 v1, v1, s51
	v_mul_lo_u32 v0, v0, s55
	v_mad_u32_u24 v4, 0x44, v78, v251
	s_delay_alu instid0(VALU_DEP_2) | instskip(NEXT) | instid1(VALU_DEP_1)
	v_add3_u32 v0, v1, v0, v251
	v_ashrrev_i32_e32 v1, 31, v0
	s_delay_alu instid0(VALU_DEP_1) | instskip(NEXT) | instid1(VALU_DEP_1)
	v_lshlrev_b64 v[0:1], 3, v[0:1]
	v_add_co_u32 v0, vcc_lo, s4, v0
	s_delay_alu instid0(VALU_DEP_2)
	v_add_co_ci_u32_e32 v1, vcc_lo, s6, v1, vcc_lo
	s_clause 0x1
	global_load_b64 v[2:3], v[0:1], off
	global_load_b64 v[0:1], v[0:1], off offset:256
	s_waitcnt vmcnt(1)
	v_cvt_f16_f32_e32 v2, v2
	v_cvt_f16_f32_e32 v3, v3
	s_waitcnt vmcnt(0)
	v_cvt_f16_f32_e32 v0, v0
	v_cvt_f16_f32_e32 v1, v1
	s_delay_alu instid0(VALU_DEP_3)
	v_pack_b32_f16 v2, v2, v3
	scratch_load_b32 v3, off, off offset:80 ; 4-byte Folded Reload
	v_pack_b32_f16 v0, v0, v1
	v_lshl_add_u32 v1, v4, 2, 0
	s_waitcnt vmcnt(0)
	v_pk_mul_f16 v2, v3, v2
	s_delay_alu instid0(VALU_DEP_3)
	v_pk_mul_f16 v0, v3, v0
	ds_store_2addr_b32 v1, v2, v0 offset1:32
.LBB24_283:
	s_or_b32 exec_lo, exec_lo, s0
	v_lshrrev_b32_e32 v1, 3, v77
	v_and_b32_e32 v0, 7, v77
	s_delay_alu instid0(VALU_DEP_2) | instskip(NEXT) | instid1(VALU_DEP_2)
	v_add_nc_u32_e32 v1, s11, v1
	v_or_b32_e32 v2, s7, v0
	s_delay_alu instid0(VALU_DEP_2) | instskip(NEXT) | instid1(VALU_DEP_2)
	v_cmp_le_i32_e32 vcc_lo, s8, v1
	v_cmp_le_i32_e64 s0, s33, v2
	s_delay_alu instid0(VALU_DEP_1) | instskip(NEXT) | instid1(SALU_CYCLE_1)
	s_or_b32 s0, vcc_lo, s0
	s_and_saveexec_b32 s17, s0
	s_delay_alu instid0(SALU_CYCLE_1)
	s_xor_b32 s0, exec_lo, s17
	s_cbranch_execz .LBB24_285
; %bb.284:
	v_mad_u32_u24 v0, 0x44, v77, v251
	v_mov_b32_e32 v1, 0
                                        ; implicit-def: $vgpr77
	s_delay_alu instid0(VALU_DEP_2)
	v_lshl_add_u32 v0, v0, 2, 0
	ds_store_2addr_b32 v0, v1, v1 offset1:32
                                        ; implicit-def: $vgpr1
                                        ; implicit-def: $vgpr0
.LBB24_285:
	s_and_not1_saveexec_b32 s0, s0
	s_cbranch_execz .LBB24_287
; %bb.286:
	v_mul_lo_u32 v1, v1, s51
	v_mul_lo_u32 v0, v0, s55
	v_mad_u32_u24 v4, 0x44, v77, v251
	s_delay_alu instid0(VALU_DEP_2) | instskip(NEXT) | instid1(VALU_DEP_1)
	v_add3_u32 v0, v1, v0, v251
	v_ashrrev_i32_e32 v1, 31, v0
	s_delay_alu instid0(VALU_DEP_1) | instskip(NEXT) | instid1(VALU_DEP_1)
	v_lshlrev_b64 v[0:1], 3, v[0:1]
	v_add_co_u32 v0, vcc_lo, s4, v0
	s_delay_alu instid0(VALU_DEP_2)
	v_add_co_ci_u32_e32 v1, vcc_lo, s6, v1, vcc_lo
	s_clause 0x1
	global_load_b64 v[2:3], v[0:1], off
	global_load_b64 v[0:1], v[0:1], off offset:256
	s_waitcnt vmcnt(1)
	v_cvt_f16_f32_e32 v2, v2
	v_cvt_f16_f32_e32 v3, v3
	s_waitcnt vmcnt(0)
	v_cvt_f16_f32_e32 v0, v0
	v_cvt_f16_f32_e32 v1, v1
	s_delay_alu instid0(VALU_DEP_3)
	v_pack_b32_f16 v2, v2, v3
	scratch_load_b32 v3, off, off offset:80 ; 4-byte Folded Reload
	v_pack_b32_f16 v0, v0, v1
	v_lshl_add_u32 v1, v4, 2, 0
	s_waitcnt vmcnt(0)
	v_pk_mul_f16 v2, v3, v2
	s_delay_alu instid0(VALU_DEP_3)
	v_pk_mul_f16 v0, v3, v0
	ds_store_2addr_b32 v1, v2, v0 offset1:32
.LBB24_287:
	s_or_b32 exec_lo, exec_lo, s0
	v_lshrrev_b32_e32 v1, 3, v76
	v_and_b32_e32 v0, 7, v76
	s_delay_alu instid0(VALU_DEP_2) | instskip(NEXT) | instid1(VALU_DEP_2)
	v_add_nc_u32_e32 v1, s11, v1
	v_or_b32_e32 v2, s7, v0
	s_delay_alu instid0(VALU_DEP_2) | instskip(NEXT) | instid1(VALU_DEP_2)
	v_cmp_le_i32_e32 vcc_lo, s8, v1
	v_cmp_le_i32_e64 s0, s33, v2
	s_delay_alu instid0(VALU_DEP_1) | instskip(NEXT) | instid1(SALU_CYCLE_1)
	s_or_b32 s0, vcc_lo, s0
	s_and_saveexec_b32 s17, s0
	s_delay_alu instid0(SALU_CYCLE_1)
	s_xor_b32 s0, exec_lo, s17
	s_cbranch_execz .LBB24_289
; %bb.288:
	v_mad_u32_u24 v0, 0x44, v76, v251
	v_mov_b32_e32 v1, 0
                                        ; implicit-def: $vgpr76
	s_delay_alu instid0(VALU_DEP_2)
	v_lshl_add_u32 v0, v0, 2, 0
	ds_store_2addr_b32 v0, v1, v1 offset1:32
                                        ; implicit-def: $vgpr1
                                        ; implicit-def: $vgpr0
.LBB24_289:
	s_and_not1_saveexec_b32 s0, s0
	s_cbranch_execz .LBB24_291
; %bb.290:
	v_mul_lo_u32 v1, v1, s51
	v_mul_lo_u32 v0, v0, s55
	v_mad_u32_u24 v4, 0x44, v76, v251
	s_delay_alu instid0(VALU_DEP_2) | instskip(NEXT) | instid1(VALU_DEP_1)
	v_add3_u32 v0, v1, v0, v251
	v_ashrrev_i32_e32 v1, 31, v0
	s_delay_alu instid0(VALU_DEP_1) | instskip(NEXT) | instid1(VALU_DEP_1)
	v_lshlrev_b64 v[0:1], 3, v[0:1]
	v_add_co_u32 v0, vcc_lo, s4, v0
	s_delay_alu instid0(VALU_DEP_2)
	v_add_co_ci_u32_e32 v1, vcc_lo, s6, v1, vcc_lo
	s_clause 0x1
	global_load_b64 v[2:3], v[0:1], off
	global_load_b64 v[0:1], v[0:1], off offset:256
	s_waitcnt vmcnt(1)
	v_cvt_f16_f32_e32 v2, v2
	v_cvt_f16_f32_e32 v3, v3
	s_waitcnt vmcnt(0)
	v_cvt_f16_f32_e32 v0, v0
	v_cvt_f16_f32_e32 v1, v1
	s_delay_alu instid0(VALU_DEP_3)
	v_pack_b32_f16 v2, v2, v3
	scratch_load_b32 v3, off, off offset:80 ; 4-byte Folded Reload
	v_pack_b32_f16 v0, v0, v1
	v_lshl_add_u32 v1, v4, 2, 0
	s_waitcnt vmcnt(0)
	v_pk_mul_f16 v2, v3, v2
	s_delay_alu instid0(VALU_DEP_3)
	v_pk_mul_f16 v0, v3, v0
	ds_store_2addr_b32 v1, v2, v0 offset1:32
.LBB24_291:
	s_or_b32 exec_lo, exec_lo, s0
	v_lshrrev_b32_e32 v0, 3, v74
	s_delay_alu instid0(VALU_DEP_1) | instskip(NEXT) | instid1(VALU_DEP_1)
	v_add_nc_u32_e32 v0, s11, v0
	v_cmp_le_i32_e32 vcc_lo, s8, v0
	s_or_b32 s0, vcc_lo, s16
	s_delay_alu instid0(SALU_CYCLE_1) | instskip(NEXT) | instid1(SALU_CYCLE_1)
	s_and_saveexec_b32 s16, s0
	s_xor_b32 s0, exec_lo, s16
	s_cbranch_execz .LBB24_293
; %bb.292:
	v_mad_u32_u24 v0, 0x44, v74, v251
	v_mov_b32_e32 v1, 0
                                        ; implicit-def: $vgpr75
                                        ; implicit-def: $vgpr74
	s_delay_alu instid0(VALU_DEP_2)
	v_lshl_add_u32 v0, v0, 2, 0
	ds_store_2addr_b32 v0, v1, v1 offset1:32
                                        ; implicit-def: $vgpr0
.LBB24_293:
	s_and_not1_saveexec_b32 s0, s0
	s_cbranch_execz .LBB24_295
; %bb.294:
	v_mul_lo_u32 v0, v0, s51
	v_mul_lo_u32 v1, v75, s55
	v_mad_u32_u24 v4, 0x44, v74, v251
	s_delay_alu instid0(VALU_DEP_2) | instskip(NEXT) | instid1(VALU_DEP_1)
	v_add3_u32 v0, v0, v1, v251
	v_ashrrev_i32_e32 v1, 31, v0
	s_delay_alu instid0(VALU_DEP_1) | instskip(NEXT) | instid1(VALU_DEP_1)
	v_lshlrev_b64 v[0:1], 3, v[0:1]
	v_add_co_u32 v0, vcc_lo, s4, v0
	s_delay_alu instid0(VALU_DEP_2)
	v_add_co_ci_u32_e32 v1, vcc_lo, s6, v1, vcc_lo
	s_clause 0x1
	global_load_b64 v[2:3], v[0:1], off
	global_load_b64 v[0:1], v[0:1], off offset:256
	s_waitcnt vmcnt(1)
	v_cvt_f16_f32_e32 v2, v2
	v_cvt_f16_f32_e32 v3, v3
	s_waitcnt vmcnt(0)
	v_cvt_f16_f32_e32 v0, v0
	v_cvt_f16_f32_e32 v1, v1
	s_delay_alu instid0(VALU_DEP_3)
	v_pack_b32_f16 v2, v2, v3
	scratch_load_b32 v3, off, off offset:80 ; 4-byte Folded Reload
	v_pack_b32_f16 v0, v0, v1
	v_lshl_add_u32 v1, v4, 2, 0
	s_waitcnt vmcnt(0)
	v_pk_mul_f16 v2, v3, v2
	s_delay_alu instid0(VALU_DEP_3)
	v_pk_mul_f16 v0, v3, v0
	ds_store_2addr_b32 v1, v2, v0 offset1:32
.LBB24_295:
	s_or_b32 exec_lo, exec_lo, s0
	v_lshrrev_b32_e32 v1, 3, v73
	v_and_b32_e32 v0, 7, v73
	s_sub_i32 s16, 0, s3
	s_delay_alu instid0(VALU_DEP_2) | instskip(NEXT) | instid1(VALU_DEP_2)
	v_add_nc_u32_e32 v1, s11, v1
	v_or_b32_e32 v2, s7, v0
	s_delay_alu instid0(VALU_DEP_2) | instskip(NEXT) | instid1(VALU_DEP_2)
	v_cmp_le_i32_e32 vcc_lo, s8, v1
	v_cmp_le_i32_e64 s0, s33, v2
	s_delay_alu instid0(VALU_DEP_1) | instskip(NEXT) | instid1(SALU_CYCLE_1)
	s_or_b32 s0, vcc_lo, s0
	s_and_saveexec_b32 s17, s0
	s_delay_alu instid0(SALU_CYCLE_1)
	s_xor_b32 s0, exec_lo, s17
	s_cbranch_execz .LBB24_297
; %bb.296:
	v_mad_u32_u24 v0, 0x44, v73, v251
	v_mov_b32_e32 v1, 0
                                        ; implicit-def: $vgpr73
	s_delay_alu instid0(VALU_DEP_2)
	v_lshl_add_u32 v0, v0, 2, 0
	ds_store_2addr_b32 v0, v1, v1 offset1:32
                                        ; implicit-def: $vgpr1
                                        ; implicit-def: $vgpr0
.LBB24_297:
	s_or_saveexec_b32 s0, s0
	s_mul_i32 s16, s16, s9
	s_xor_b32 exec_lo, exec_lo, s0
	s_cbranch_execz .LBB24_299
; %bb.298:
	v_mul_lo_u32 v1, v1, s51
	v_mul_lo_u32 v0, v0, s55
	v_mad_u32_u24 v4, 0x44, v73, v251
	s_delay_alu instid0(VALU_DEP_2) | instskip(NEXT) | instid1(VALU_DEP_1)
	v_add3_u32 v0, v1, v0, v251
	v_ashrrev_i32_e32 v1, 31, v0
	s_delay_alu instid0(VALU_DEP_1) | instskip(NEXT) | instid1(VALU_DEP_1)
	v_lshlrev_b64 v[0:1], 3, v[0:1]
	v_add_co_u32 v0, vcc_lo, s4, v0
	s_delay_alu instid0(VALU_DEP_2)
	v_add_co_ci_u32_e32 v1, vcc_lo, s6, v1, vcc_lo
	s_clause 0x1
	global_load_b64 v[2:3], v[0:1], off
	global_load_b64 v[0:1], v[0:1], off offset:256
	s_waitcnt vmcnt(1)
	v_cvt_f16_f32_e32 v2, v2
	v_cvt_f16_f32_e32 v3, v3
	s_waitcnt vmcnt(0)
	v_cvt_f16_f32_e32 v0, v0
	v_cvt_f16_f32_e32 v1, v1
	s_delay_alu instid0(VALU_DEP_3)
	v_pack_b32_f16 v2, v2, v3
	scratch_load_b32 v3, off, off offset:80 ; 4-byte Folded Reload
	v_pack_b32_f16 v0, v0, v1
	v_lshl_add_u32 v1, v4, 2, 0
	s_waitcnt vmcnt(0)
	v_pk_mul_f16 v2, v3, v2
	s_delay_alu instid0(VALU_DEP_3)
	v_pk_mul_f16 v0, v3, v0
	ds_store_2addr_b32 v1, v2, v0 offset1:32
.LBB24_299:
	s_or_b32 exec_lo, exec_lo, s0
	v_lshrrev_b32_e32 v1, 3, v72
	v_and_b32_e32 v0, 7, v72
	s_mul_hi_u32 s16, s9, s16
	s_delay_alu instid0(VALU_DEP_2) | instskip(NEXT) | instid1(VALU_DEP_2)
	v_add_nc_u32_e32 v1, s11, v1
	v_or_b32_e32 v2, s7, v0
	s_delay_alu instid0(VALU_DEP_2) | instskip(NEXT) | instid1(VALU_DEP_2)
	v_cmp_le_i32_e32 vcc_lo, s8, v1
	v_cmp_le_i32_e64 s0, s33, v2
	s_delay_alu instid0(VALU_DEP_1) | instskip(NEXT) | instid1(SALU_CYCLE_1)
	s_or_b32 s0, vcc_lo, s0
	s_and_saveexec_b32 s17, s0
	s_delay_alu instid0(SALU_CYCLE_1)
	s_xor_b32 s0, exec_lo, s17
	s_cbranch_execz .LBB24_301
; %bb.300:
	v_mad_u32_u24 v0, 0x44, v72, v251
	v_mov_b32_e32 v1, 0
                                        ; implicit-def: $vgpr72
	s_delay_alu instid0(VALU_DEP_2)
	v_lshl_add_u32 v0, v0, 2, 0
	ds_store_2addr_b32 v0, v1, v1 offset1:32
                                        ; implicit-def: $vgpr1
                                        ; implicit-def: $vgpr0
.LBB24_301:
	s_or_saveexec_b32 s0, s0
	s_abs_i32 s24, s2
	s_add_i32 s9, s9, s16
	s_xor_b32 exec_lo, exec_lo, s0
	s_cbranch_execz .LBB24_303
; %bb.302:
	v_mul_lo_u32 v1, v1, s51
	v_mul_lo_u32 v0, v0, s55
	v_mad_u32_u24 v4, 0x44, v72, v251
	s_delay_alu instid0(VALU_DEP_2) | instskip(NEXT) | instid1(VALU_DEP_1)
	v_add3_u32 v0, v1, v0, v251
	v_ashrrev_i32_e32 v1, 31, v0
	s_delay_alu instid0(VALU_DEP_1) | instskip(NEXT) | instid1(VALU_DEP_1)
	v_lshlrev_b64 v[0:1], 3, v[0:1]
	v_add_co_u32 v0, vcc_lo, s4, v0
	s_delay_alu instid0(VALU_DEP_2)
	v_add_co_ci_u32_e32 v1, vcc_lo, s6, v1, vcc_lo
	s_clause 0x1
	global_load_b64 v[2:3], v[0:1], off
	global_load_b64 v[0:1], v[0:1], off offset:256
	s_waitcnt vmcnt(1)
	v_cvt_f16_f32_e32 v2, v2
	v_cvt_f16_f32_e32 v3, v3
	s_waitcnt vmcnt(0)
	v_cvt_f16_f32_e32 v0, v0
	v_cvt_f16_f32_e32 v1, v1
	s_delay_alu instid0(VALU_DEP_3)
	v_pack_b32_f16 v2, v2, v3
	scratch_load_b32 v3, off, off offset:80 ; 4-byte Folded Reload
	v_pack_b32_f16 v0, v0, v1
	v_lshl_add_u32 v1, v4, 2, 0
	s_waitcnt vmcnt(0)
	v_pk_mul_f16 v2, v3, v2
	s_delay_alu instid0(VALU_DEP_3)
	v_pk_mul_f16 v0, v3, v0
	ds_store_2addr_b32 v1, v2, v0 offset1:32
.LBB24_303:
	s_or_b32 exec_lo, exec_lo, s0
	v_lshrrev_b32_e32 v1, 3, v71
	v_and_b32_e32 v0, 7, v71
	s_delay_alu instid0(VALU_DEP_2) | instskip(NEXT) | instid1(VALU_DEP_2)
	v_add_nc_u32_e32 v1, s11, v1
	v_or_b32_e32 v2, s7, v0
	s_mul_hi_u32 s7, s24, s9
	s_delay_alu instid0(VALU_DEP_2) | instskip(NEXT) | instid1(VALU_DEP_2)
	v_cmp_le_i32_e32 vcc_lo, s8, v1
	v_cmp_le_i32_e64 s0, s33, v2
	s_delay_alu instid0(VALU_DEP_1) | instskip(NEXT) | instid1(SALU_CYCLE_1)
	s_or_b32 s0, vcc_lo, s0
	s_and_saveexec_b32 s9, s0
	s_delay_alu instid0(SALU_CYCLE_1)
	s_xor_b32 s0, exec_lo, s9
	s_cbranch_execz .LBB24_305
; %bb.304:
	v_mad_u32_u24 v0, 0x44, v71, v251
	v_mov_b32_e32 v1, 0
                                        ; implicit-def: $vgpr2
                                        ; kill: killed $vgpr2
                                        ; implicit-def: $vgpr71
	s_delay_alu instid0(VALU_DEP_2)
	v_lshl_add_u32 v0, v0, 2, 0
	ds_store_2addr_b32 v0, v1, v1 offset1:32
                                        ; implicit-def: $vgpr1
                                        ; implicit-def: $vgpr0
.LBB24_305:
	s_or_saveexec_b32 s9, s0
	s_ashr_i32 s0, s2, 31
	s_xor_b32 exec_lo, exec_lo, s9
	s_cbranch_execz .LBB24_307
; %bb.306:
	v_mul_lo_u32 v1, v1, s51
	v_mul_lo_u32 v0, v0, s55
	v_mad_u32_u24 v4, 0x44, v71, v251
	s_delay_alu instid0(VALU_DEP_2) | instskip(NEXT) | instid1(VALU_DEP_1)
	v_add3_u32 v0, v1, v0, v251
	v_ashrrev_i32_e32 v1, 31, v0
	s_delay_alu instid0(VALU_DEP_1) | instskip(NEXT) | instid1(VALU_DEP_1)
	v_lshlrev_b64 v[0:1], 3, v[0:1]
	v_add_co_u32 v0, vcc_lo, s4, v0
	s_delay_alu instid0(VALU_DEP_2)
	v_add_co_ci_u32_e32 v1, vcc_lo, s6, v1, vcc_lo
	s_clause 0x1
	global_load_b64 v[2:3], v[0:1], off
	global_load_b64 v[0:1], v[0:1], off offset:256
	s_waitcnt vmcnt(1)
	v_cvt_f16_f32_e32 v2, v2
	v_cvt_f16_f32_e32 v3, v3
	s_waitcnt vmcnt(0)
	v_cvt_f16_f32_e32 v0, v0
	v_cvt_f16_f32_e32 v1, v1
	s_delay_alu instid0(VALU_DEP_3)
	v_pack_b32_f16 v2, v2, v3
	scratch_load_b32 v3, off, off offset:80 ; 4-byte Folded Reload
	v_pack_b32_f16 v0, v0, v1
	v_lshl_add_u32 v1, v4, 2, 0
	s_waitcnt vmcnt(0)
	v_pk_mul_f16 v2, v3, v2
	s_delay_alu instid0(VALU_DEP_3)
	v_pk_mul_f16 v0, v3, v0
	ds_store_2addr_b32 v1, v2, v0 offset1:32
.LBB24_307:
	s_or_b32 exec_lo, exec_lo, s9
	v_dual_mov_b32 v254, v69 :: v_dual_and_b32 v17, 0x1ff0, v69
	v_dual_mov_b32 v71, 0 :: v_dual_and_b32 v142, 15, v251
	s_mul_i32 s4, s2, s37
	s_mul_hi_u32 s6, s2, s36
	s_mul_i32 s9, s2, s36
	s_add_i32 s4, s6, s4
	s_mul_i32 s6, s0, s36
	v_mul_u32_u24_e32 v0, 0x110, v17
	s_add_i32 s4, s4, s6
	v_mul_u32_u24_e32 v145, 0x110, v142
	s_add_u32 s6, s18, s9
	s_mul_i32 s9, s1, s47
	s_addc_u32 s4, s19, s4
	s_ashr_i32 s11, s9, 31
	s_mul_i32 s7, s7, s3
	s_add_u32 s16, s6, s9
	s_addc_u32 s17, s4, s11
	s_sub_i32 s4, s24, s7
	v_add3_u32 v18, 0, v0, v145
	s_sub_i32 s6, s4, s3
	s_cmp_ge_u32 s4, s3
	s_waitcnt lgkmcnt(0)
	s_waitcnt_vscnt null, 0x0
	s_cselect_b32 s4, s6, s4
	s_barrier
	buffer_gl0_inv
	ds_load_b128 v[8:11], v18
	ds_load_b128 v[12:15], v18 offset:16
	ds_load_b128 v[0:3], v18 offset:32
	;; [unrolled: 1-line block ×9, first 2 shown]
	s_sub_i32 s6, s4, s3
	s_cmp_ge_u32 s4, s3
	v_lshrrev_b32_e32 v143, 4, v251
	s_cselect_b32 s3, s6, s4
	ds_load_b128 v[80:83], v18 offset:160
	ds_load_b128 v[84:87], v18 offset:176
	;; [unrolled: 1-line block ×4, first 2 shown]
	s_xor_b32 s3, s3, s0
	ds_load_b128 v[72:75], v18 offset:224
	ds_load_b128 v[76:79], v18 offset:240
	s_sub_i32 s3, s3, s0
	v_lshl_add_u32 v148, v252, 1, v143
	s_mul_i32 s4, s3, s45
	s_mul_hi_u32 s6, s3, s44
	s_ashr_i32 s7, s3, 31
	s_add_i32 s4, s6, s4
	s_mul_i32 s7, s7, s44
	s_mul_i32 s3, s3, s44
	s_add_i32 s4, s4, s7
	v_mul_lo_u32 v105, s34, v148
	v_mul_lo_u32 v136, s10, v148
	s_add_u32 s18, s22, s3
	s_mul_i32 s3, s2, s43
	s_mul_hi_u32 s6, s2, s42
	v_add_nc_u32_e32 v135, -1, v16
	s_addc_u32 s19, s23, s4
	s_add_i32 s3, s6, s3
	s_mul_i32 s0, s0, s42
	s_mul_i32 s2, s2, s42
	s_add_i32 s3, s3, s0
	s_mul_i32 s1, s1, s39
	s_add_u32 s0, s20, s2
	v_cmp_ge_i32_e32 vcc_lo, s97, v135
	s_addc_u32 s2, s21, s3
	s_ashr_i32 s3, s1, 31
	s_add_u32 s9, s0, s1
	v_cmp_gt_u32_e64 s0, 2, v148
	v_ashrrev_i32_e32 v106, 31, v105
	v_and_or_b32 v147, v251, 8, v17
	v_lshlrev_b32_e32 v146, 1, v143
	v_xor_b32_e32 v144, 1, v143
	v_ashrrev_i32_e32 v137, 31, v136
	s_addc_u32 s11, s2, s3
	s_waitcnt lgkmcnt(0)
	s_barrier
	buffer_gl0_inv
	s_cbranch_vccnz .LBB24_314
; %bb.308:
	v_dual_mov_b32 v173, 0xfeffffff :: v_dual_add_nc_u32 v16, s5, v252
	v_dual_mov_b32 v96, 0 :: v_dual_lshlrev_b32 v17, 2, v251
	v_mad_u32_u24 v19, 0x50, v148, 0
	s_delay_alu instid0(VALU_DEP_3) | instskip(SKIP_1) | instid1(VALU_DEP_4)
	v_lshl_add_u32 v23, v16, 1, v143
	v_mul_u32_u24_e32 v41, 0xc0, v148
	v_and_b32_e32 v68, 60, v17
	v_mbcnt_lo_u32_b32 v42, -1, 0
	s_lshl_b32 s1, s34, 2
	v_mul_hi_u32 v21, s12, v23
	v_dual_mov_b32 v171, 0 :: v_dual_add_nc_u32 v16, s1, v105
	v_lshlrev_b32_e32 v44, 2, v68
	v_add_nc_u32_e32 v149, v19, v68
	v_xor_b32_e32 v40, 16, v42
	s_lshl_b32 s2, s10, 2
	v_lshrrev_b32_e32 v22, 3, v147
	v_add_nc_u32_e32 v17, v23, v21
	v_add3_u32 v150, v19, v41, v44
	v_cmp_gt_i32_e32 vcc_lo, 32, v40
	v_add_nc_u32_e32 v18, s2, v136
	v_and_b32_e32 v20, 16, v253
	v_lshrrev_b32_e32 v21, s13, v17
	v_ashrrev_i32_e32 v17, 31, v16
	v_cndmask_b32_e32 v65, v42, v40, vcc_lo
	v_mad_u32_u24 v43, 0x50, v22, 0
	v_mad_u32_u24 v63, 0x110, v20, 0
	v_mul_lo_u32 v45, v21, s8
	v_lshlrev_b64 v[109:110], 2, v[16:17]
	v_dual_mov_b32 v17, v96 :: v_dual_add_nc_u32 v22, s2, v18
	v_lshlrev_b32_e32 v47, 1, v20
	v_add_nc_u32_e32 v20, s1, v16
	v_lshl_add_u32 v69, v142, 2, v63
	v_add_nc_u32_e32 v160, v63, v145
	v_sub_nc_u32_e32 v19, v23, v45
	v_lshlrev_b32_e32 v162, 2, v65
	v_ashrrev_i32_e32 v21, 31, v20
	v_add_nc_u32_e32 v166, 64, v69
	v_add_nc_u32_e32 v167, 0x80, v69
	v_mad_i64_i32 v[56:57], null, v19, s40, 0
	s_delay_alu instid0(VALU_DEP_4)
	v_lshlrev_b64 v[111:112], 2, v[20:21]
	v_dual_mov_b32 v21, v96 :: v_dual_add_nc_u32 v40, s1, v20
	v_add_nc_u32_e32 v169, 0xc0, v69
	v_lshlrev_b64 v[107:108], 2, v[105:106]
	v_lshlrev_b64 v[123:124], 2, v[136:137]
	v_lshlrev_b64 v[56:57], 1, v[56:57]
	v_add_nc_u32_e32 v151, 0x440, v150
	v_add_nc_u32_e32 v152, 0x880, v150
	;; [unrolled: 1-line block ×5, first 2 shown]
	v_add_co_u32 v19, vcc_lo, s18, v56
	v_add_co_ci_u32_e32 v23, vcc_lo, s19, v57, vcc_lo
	v_add_nc_u32_e32 v156, 0x1980, v150
	s_delay_alu instid0(VALU_DEP_3) | instskip(NEXT) | instid1(VALU_DEP_3)
	v_add_co_u32 v158, vcc_lo, v19, v68
	v_add_co_ci_u32_e32 v159, vcc_lo, 0, v23, vcc_lo
	v_ashrrev_i32_e32 v23, 31, v22
	v_ashrrev_i32_e32 v19, 31, v18
	v_add_nc_u32_e32 v157, 0x1dc0, v150
	v_mad_i32_i24 v165, 0xfffffef4, v142, v160
	v_mov_b32_e32 v16, 0
	v_lshlrev_b64 v[127:128], 2, v[22:23]
	v_dual_mov_b32 v23, v96 :: v_dual_add_nc_u32 v42, s2, v22
	v_lshlrev_b64 v[125:126], 2, v[18:19]
	v_mov_b32_e32 v18, v96
	v_add3_u32 v161, v43, v47, v146
	v_mov_b32_e32 v19, v96
	v_ashrrev_i32_e32 v43, 31, v42
	v_lshlrev_b32_e32 v170, 2, v68
	v_mov_b32_e32 v20, v96
	v_mov_b32_e32 v22, v96
	;; [unrolled: 1-line block ×3, first 2 shown]
	v_lshlrev_b64 v[129:130], 2, v[42:43]
	v_dual_mov_b32 v43, v96 :: v_dual_add_nc_u32 v44, s1, v40
	v_ashrrev_i32_e32 v41, 31, v40
	v_mov_b32_e32 v70, v96
	s_lshl_b32 s6, s97, 5
	v_mov_b32_e32 v71, v96
	v_ashrrev_i32_e32 v45, 31, v44
	v_lshlrev_b64 v[113:114], 2, v[40:41]
	v_dual_mov_b32 v40, 0 :: v_dual_mov_b32 v41, v96
	v_mov_b32_e32 v69, v96
	s_delay_alu instid0(VALU_DEP_4) | instskip(SKIP_2) | instid1(VALU_DEP_2)
	v_lshlrev_b64 v[115:116], 2, v[44:45]
	v_dual_mov_b32 v45, v96 :: v_dual_add_nc_u32 v46, s2, v42
	v_mov_b32_e32 v42, v96
	v_ashrrev_i32_e32 v47, 31, v46
	s_delay_alu instid0(VALU_DEP_1) | instskip(SKIP_2) | instid1(VALU_DEP_2)
	v_lshlrev_b64 v[131:132], 2, v[46:47]
	v_dual_mov_b32 v47, v96 :: v_dual_add_nc_u32 v58, s1, v44
	v_mov_b32_e32 v44, v96
	v_add_nc_u32_e32 v60, s1, v58
	s_delay_alu instid0(VALU_DEP_1) | instskip(NEXT) | instid1(VALU_DEP_1)
	v_add_nc_u32_e32 v56, s1, v60
	v_ashrrev_i32_e32 v57, 31, v56
	s_delay_alu instid0(VALU_DEP_1) | instskip(SKIP_3) | instid1(VALU_DEP_3)
	v_lshlrev_b64 v[121:122], 2, v[56:57]
	v_dual_mov_b32 v57, v96 :: v_dual_add_nc_u32 v62, s2, v46
	v_mov_b32_e32 v46, v96
	v_mov_b32_e32 v56, 0
	v_add_nc_u32_e32 v64, s2, v62
	v_ashrrev_i32_e32 v63, 31, v62
	s_delay_alu instid0(VALU_DEP_2) | instskip(SKIP_1) | instid1(VALU_DEP_3)
	v_add_nc_u32_e32 v66, s2, v64
	v_ashrrev_i32_e32 v65, 31, v64
	v_lshlrev_b64 v[133:134], 2, v[62:63]
	v_mov_b32_e32 v62, v96
	v_mov_b32_e32 v63, v96
	v_ashrrev_i32_e32 v67, 31, v66
	v_lshlrev_b64 v[138:139], 2, v[64:65]
	v_dual_mov_b32 v64, 0 :: v_dual_mov_b32 v65, v96
	s_delay_alu instid0(VALU_DEP_3) | instskip(SKIP_3) | instid1(VALU_DEP_2)
	v_lshlrev_b64 v[140:141], 2, v[66:67]
	v_mov_b32_e32 v67, v96
	v_ashrrev_i32_e32 v61, 31, v60
	v_mov_b32_e32 v66, v96
	v_lshlrev_b64 v[119:120], 2, v[60:61]
	v_mov_b32_e32 v61, v96
	v_ashrrev_i32_e32 v59, 31, v58
	v_mov_b32_e32 v60, v96
	s_delay_alu instid0(VALU_DEP_2)
	v_lshlrev_b64 v[117:118], 2, v[58:59]
	v_mov_b32_e32 v58, v96
	v_mov_b32_e32 v59, v96
	s_ashr_i32 s7, s6, 31
	s_and_saveexec_b32 s1, s0
	s_cbranch_execz .LBB24_310
.LBB24_309:
	s_lshl_b64 s[2:3], s[6:7], 1
	s_delay_alu instid0(SALU_CYCLE_1)
	v_add_co_u32 v97, vcc_lo, v158, s2
	v_add_co_ci_u32_e32 v98, vcc_lo, s3, v159, vcc_lo
	global_load_b32 v97, v[97:98], off
	s_waitcnt vmcnt(0)
	ds_store_b32 v149, v97 offset:8704
.LBB24_310:                             ; =>This Inner Loop Header: Depth=1
	s_or_b32 exec_lo, exec_lo, s1
	s_mul_hi_i32 s3, s6, s34
	s_mul_i32 s2, s6, s34
	v_add_nc_u32_e32 v212, 0x800, v165
	s_lshl_b64 s[2:3], s[2:3], 2
	v_add_nc_u32_e32 v242, 0xc00, v165
	s_add_u32 s1, s16, s2
	s_addc_u32 s2, s17, s3
	v_add_co_u32 v97, vcc_lo, s1, v107
	v_add_co_ci_u32_e32 v98, vcc_lo, s2, v108, vcc_lo
	s_mul_hi_i32 s3, s6, s10
	s_delay_alu instid0(VALU_DEP_2) | instskip(NEXT) | instid1(VALU_DEP_2)
	v_add_co_u32 v97, vcc_lo, v97, v170
	v_add_co_ci_u32_e32 v98, vcc_lo, 0, v98, vcc_lo
	v_add_co_u32 v99, vcc_lo, s1, v109
	v_add_co_ci_u32_e32 v100, vcc_lo, s2, v110, vcc_lo
	v_add_nc_u32_e32 v213, 0x400, v165
	s_delay_alu instid0(VALU_DEP_3) | instskip(NEXT) | instid1(VALU_DEP_3)
	v_add_co_u32 v101, vcc_lo, v99, v170
	v_add_co_ci_u32_e32 v102, vcc_lo, 0, v100, vcc_lo
	s_clause 0x1
	global_load_b128 v[97:100], v[97:98], off
	global_load_b128 v[101:104], v[101:102], off
	s_waitcnt vmcnt(1)
	ds_store_b128 v150, v[97:100]
	s_waitcnt vmcnt(0)
	ds_store_b128 v151, v[101:104]
	v_add_co_u32 v97, vcc_lo, s1, v111
	v_add_co_ci_u32_e32 v98, vcc_lo, s2, v112, vcc_lo
	s_delay_alu instid0(VALU_DEP_2) | instskip(NEXT) | instid1(VALU_DEP_2)
	v_add_co_u32 v97, vcc_lo, v97, v170
	v_add_co_ci_u32_e32 v98, vcc_lo, 0, v98, vcc_lo
	v_add_co_u32 v99, vcc_lo, s1, v113
	v_add_co_ci_u32_e32 v100, vcc_lo, s2, v114, vcc_lo
	s_delay_alu instid0(VALU_DEP_2) | instskip(NEXT) | instid1(VALU_DEP_2)
	v_add_co_u32 v101, vcc_lo, v99, v170
	v_add_co_ci_u32_e32 v102, vcc_lo, 0, v100, vcc_lo
	s_clause 0x1
	global_load_b128 v[97:100], v[97:98], off
	global_load_b128 v[101:104], v[101:102], off
	s_waitcnt vmcnt(1)
	ds_store_b128 v152, v[97:100]
	s_waitcnt vmcnt(0)
	ds_store_b128 v153, v[101:104]
	v_add_co_u32 v97, vcc_lo, s1, v115
	v_add_co_ci_u32_e32 v98, vcc_lo, s2, v116, vcc_lo
	s_delay_alu instid0(VALU_DEP_2) | instskip(NEXT) | instid1(VALU_DEP_2)
	v_add_co_u32 v97, vcc_lo, v97, v170
	v_add_co_ci_u32_e32 v98, vcc_lo, 0, v98, vcc_lo
	v_add_co_u32 v99, vcc_lo, s1, v117
	v_add_co_ci_u32_e32 v100, vcc_lo, s2, v118, vcc_lo
	s_delay_alu instid0(VALU_DEP_2) | instskip(NEXT) | instid1(VALU_DEP_2)
	v_add_co_u32 v101, vcc_lo, v99, v170
	v_add_co_ci_u32_e32 v102, vcc_lo, 0, v100, vcc_lo
	s_clause 0x1
	global_load_b128 v[97:100], v[97:98], off
	global_load_b128 v[101:104], v[101:102], off
	s_waitcnt vmcnt(1)
	ds_store_b128 v154, v[97:100]
	s_waitcnt vmcnt(0)
	ds_store_b128 v155, v[101:104]
	v_add_co_u32 v97, vcc_lo, s1, v119
	v_add_co_ci_u32_e32 v98, vcc_lo, s2, v120, vcc_lo
	s_delay_alu instid0(VALU_DEP_2) | instskip(NEXT) | instid1(VALU_DEP_2)
	v_add_co_u32 v97, vcc_lo, v97, v170
	v_add_co_ci_u32_e32 v98, vcc_lo, 0, v98, vcc_lo
	v_add_co_u32 v99, vcc_lo, s1, v121
	v_add_co_ci_u32_e32 v100, vcc_lo, s2, v122, vcc_lo
	s_mul_i32 s2, s6, s10
	s_delay_alu instid0(VALU_DEP_2) | instskip(NEXT) | instid1(VALU_DEP_2)
	v_add_co_u32 v101, vcc_lo, v99, v170
	v_add_co_ci_u32_e32 v102, vcc_lo, 0, v100, vcc_lo
	s_clause 0x1
	global_load_b128 v[97:100], v[97:98], off
	global_load_b128 v[101:104], v[101:102], off
	s_waitcnt vmcnt(1)
	ds_store_b128 v156, v[97:100]
	s_waitcnt vmcnt(0)
	ds_store_b128 v157, v[101:104]
	s_waitcnt lgkmcnt(0)
	s_barrier
	buffer_gl0_inv
	ds_load_b128 v[174:177], v160
	ds_load_b128 v[178:181], v160 offset:16
	v_mov_b32_e32 v103, v96
	v_mov_b32_e32 v97, v96
	;; [unrolled: 1-line block ×8, first 2 shown]
	s_delay_alu instid0(VALU_DEP_2) | instskip(NEXT) | instid1(VALU_DEP_4)
	v_mov_b32_e32 v103, v102
	v_mov_b32_e32 v102, v101
	;; [unrolled: 1-line block ×7, first 2 shown]
	s_lshl_b64 s[2:3], s[2:3], 2
	s_delay_alu instid0(SALU_CYCLE_1)
	s_add_u32 s1, s9, s2
	s_addc_u32 s2, s11, s3
	s_waitcnt lgkmcnt(0)
	v_wmma_f32_16x16x16_f16 v[97:104], v[174:181], v[8:15], v[97:104]
	ds_load_b128 v[174:177], v160 offset:32
	ds_load_b128 v[178:181], v160 offset:48
	v_cmp_eq_u32_e64 s3, 1, v143
	s_add_i32 s97, s97, 1
	s_add_i32 s6, s6, 32
	s_waitcnt lgkmcnt(0)
	v_wmma_f32_16x16x16_f16 v[97:104], v[174:181], v[0:7], v[97:104]
	ds_load_b128 v[174:177], v160 offset:64
	ds_load_b128 v[178:181], v160 offset:80
	s_waitcnt lgkmcnt(0)
	v_wmma_f32_16x16x16_f16 v[97:104], v[174:181], v[24:31], v[97:104]
	ds_load_b128 v[174:177], v160 offset:96
	ds_load_b128 v[178:181], v160 offset:112
	;; [unrolled: 4-line block ×6, first 2 shown]
	s_waitcnt lgkmcnt(0)
	s_barrier
	buffer_gl0_inv
	v_wmma_f32_16x16x16_f16 v[97:104], v[174:181], v[72:79], v[97:104]
	ds_load_u16 v163, v161 offset:8704
	ds_load_u16 v164, v161 offset:8708
	;; [unrolled: 1-line block ×8, first 2 shown]
	s_waitcnt lgkmcnt(7)
	v_cvt_f32_f16_e64 v163, v163
	s_waitcnt lgkmcnt(6)
	v_cvt_f32_f16_e64 v164, v164
	;; [unrolled: 2-line block ×5, first 2 shown]
	v_add_f32_e32 v163, v97, v163
	v_add_co_u32 v97, vcc_lo, s1, v123
	v_add_f32_e32 v164, v98, v164
	v_add_co_ci_u32_e32 v98, vcc_lo, s2, v124, vcc_lo
	s_delay_alu instid0(VALU_DEP_3) | instskip(SKIP_1) | instid1(VALU_DEP_3)
	v_add_co_u32 v97, vcc_lo, v97, v170
	v_add_f32_e32 v168, v99, v168
	v_add_co_ci_u32_e32 v98, vcc_lo, 0, v98, vcc_lo
	v_add_co_u32 v99, vcc_lo, s1, v125
	s_waitcnt lgkmcnt(2)
	v_cvt_f32_f16_e64 v175, v175
	v_add_f32_e32 v178, v100, v172
	v_add_co_ci_u32_e32 v100, vcc_lo, s2, v126, vcc_lo
	v_add_f32_e32 v179, v101, v174
	v_add_co_u32 v101, vcc_lo, v99, v170
	s_waitcnt lgkmcnt(1)
	v_cvt_f32_f16_e64 v176, v176
	s_waitcnt lgkmcnt(0)
	v_cvt_f32_f16_e64 v177, v177
	v_add_f32_e32 v180, v102, v175
	v_add_co_ci_u32_e32 v102, vcc_lo, 0, v100, vcc_lo
	s_delay_alu instid0(VALU_DEP_3)
	v_dual_add_f32 v103, v103, v176 :: v_dual_add_f32 v104, v104, v177
	s_clause 0x1
	global_load_b128 v[97:100], v[97:98], off
	global_load_b128 v[174:177], v[101:102], off
	s_waitcnt vmcnt(1)
	ds_store_b128 v150, v[97:100]
	s_waitcnt vmcnt(0)
	ds_store_b128 v151, v[174:177]
	v_add_co_u32 v97, vcc_lo, s1, v127
	v_add_co_ci_u32_e32 v98, vcc_lo, s2, v128, vcc_lo
	s_delay_alu instid0(VALU_DEP_2) | instskip(NEXT) | instid1(VALU_DEP_2)
	v_add_co_u32 v97, vcc_lo, v97, v170
	v_add_co_ci_u32_e32 v98, vcc_lo, 0, v98, vcc_lo
	v_add_co_u32 v99, vcc_lo, s1, v129
	v_add_co_ci_u32_e32 v100, vcc_lo, s2, v130, vcc_lo
	s_delay_alu instid0(VALU_DEP_2) | instskip(NEXT) | instid1(VALU_DEP_2)
	v_add_co_u32 v101, vcc_lo, v99, v170
	v_add_co_ci_u32_e32 v102, vcc_lo, 0, v100, vcc_lo
	s_clause 0x1
	global_load_b128 v[97:100], v[97:98], off
	global_load_b128 v[174:177], v[101:102], off
	s_waitcnt vmcnt(1)
	ds_store_b128 v152, v[97:100]
	s_waitcnt vmcnt(0)
	ds_store_b128 v153, v[174:177]
	v_add_co_u32 v97, vcc_lo, s1, v131
	v_add_co_ci_u32_e32 v98, vcc_lo, s2, v132, vcc_lo
	s_delay_alu instid0(VALU_DEP_2) | instskip(NEXT) | instid1(VALU_DEP_2)
	v_add_co_u32 v97, vcc_lo, v97, v170
	v_add_co_ci_u32_e32 v98, vcc_lo, 0, v98, vcc_lo
	v_add_co_u32 v99, vcc_lo, s1, v133
	v_add_co_ci_u32_e32 v100, vcc_lo, s2, v134, vcc_lo
	s_delay_alu instid0(VALU_DEP_2) | instskip(NEXT) | instid1(VALU_DEP_2)
	v_add_co_u32 v101, vcc_lo, v99, v170
	v_add_co_ci_u32_e32 v102, vcc_lo, 0, v100, vcc_lo
	s_clause 0x1
	global_load_b128 v[97:100], v[97:98], off
	global_load_b128 v[174:177], v[101:102], off
	s_waitcnt vmcnt(1)
	ds_store_b128 v154, v[97:100]
	s_waitcnt vmcnt(0)
	ds_store_b128 v155, v[174:177]
	v_add_co_u32 v97, vcc_lo, s1, v138
	v_add_co_ci_u32_e32 v98, vcc_lo, s2, v139, vcc_lo
	s_delay_alu instid0(VALU_DEP_2) | instskip(NEXT) | instid1(VALU_DEP_2)
	v_add_co_u32 v97, vcc_lo, v97, v170
	v_add_co_ci_u32_e32 v98, vcc_lo, 0, v98, vcc_lo
	v_add_co_u32 v99, vcc_lo, s1, v140
	v_add_co_ci_u32_e32 v100, vcc_lo, s2, v141, vcc_lo
	v_cmp_eq_u32_e64 s2, 0, v143
	s_delay_alu instid0(VALU_DEP_3) | instskip(NEXT) | instid1(VALU_DEP_3)
	v_add_co_u32 v101, vcc_lo, v99, v170
	v_add_co_ci_u32_e32 v102, vcc_lo, 0, v100, vcc_lo
	s_clause 0x1
	global_load_b128 v[97:100], v[97:98], off
	global_load_b128 v[174:177], v[101:102], off
	s_waitcnt vmcnt(1)
	ds_store_b128 v156, v[97:100]
	s_waitcnt vmcnt(0)
	ds_store_b128 v157, v[174:177]
	v_dual_add_f32 v97, 0x40051340, v163 :: v_dual_add_f32 v98, 0x40051340, v164
	v_add_f32_e32 v99, 0x40051340, v178
	s_waitcnt lgkmcnt(0)
	s_barrier
	buffer_gl0_inv
	v_max3_f32 v97, v173, v97, v98
	v_add_f32_e32 v98, 0x40051340, v168
	s_delay_alu instid0(VALU_DEP_1) | instskip(SKIP_1) | instid1(VALU_DEP_1)
	v_max3_f32 v97, v97, v98, v99
	v_dual_add_f32 v98, 0x40051340, v179 :: v_dual_add_f32 v99, 0x40051340, v180
	v_max3_f32 v97, v97, v98, v99
	v_dual_add_f32 v98, 0x40051340, v103 :: v_dual_add_f32 v99, 0x40051340, v104
	s_delay_alu instid0(VALU_DEP_1) | instskip(SKIP_3) | instid1(VALU_DEP_1)
	v_max3_f32 v97, v97, v98, v99
	ds_bpermute_b32 v98, v162, v97
	s_waitcnt lgkmcnt(0)
	v_max_f32_e32 v98, v98, v98
	v_max_f32_e32 v172, v97, v98
	s_delay_alu instid0(VALU_DEP_1) | instskip(NEXT) | instid1(VALU_DEP_1)
	v_sub_f32_e32 v97, v164, v172
	v_mul_f32_e32 v98, 0x3fb8aa3b, v97
	v_cmp_ngt_f32_e32 vcc_lo, 0xc2ce8ed0, v97
	s_delay_alu instid0(VALU_DEP_2) | instskip(SKIP_1) | instid1(VALU_DEP_1)
	v_fma_f32 v99, 0x3fb8aa3b, v97, -v98
	v_rndne_f32_e32 v100, v98
	v_dual_fmac_f32 v99, 0x32a5705f, v97 :: v_dual_sub_f32 v98, v98, v100
	v_cvt_i32_f32_e32 v100, v100
	s_delay_alu instid0(VALU_DEP_2) | instskip(NEXT) | instid1(VALU_DEP_1)
	v_dual_add_f32 v98, v98, v99 :: v_dual_sub_f32 v99, v163, v172
	v_mul_f32_e32 v101, 0x3fb8aa3b, v99
	v_cmp_ngt_f32_e64 s1, 0xc2ce8ed0, v99
	v_sub_f32_e32 v103, v103, v172
	s_delay_alu instid0(VALU_DEP_3) | instskip(SKIP_1) | instid1(VALU_DEP_2)
	v_fma_f32 v102, 0x3fb8aa3b, v99, -v101
	v_rndne_f32_e32 v163, v101
	v_fmac_f32_e32 v102, 0x32a5705f, v99
	s_delay_alu instid0(VALU_DEP_2) | instskip(NEXT) | instid1(VALU_DEP_1)
	v_sub_f32_e32 v101, v101, v163
	v_add_f32_e32 v101, v101, v102
	v_exp_f32_e32 v98, v98
	s_waitcnt_depctr 0xfff
	v_ldexp_f32 v98, v98, v100
	v_exp_f32_e32 v100, v101
	v_cvt_i32_f32_e32 v101, v163
	s_delay_alu instid0(VALU_DEP_2)
	v_cndmask_b32_e32 v98, 0, v98, vcc_lo
	v_cmp_nlt_f32_e32 vcc_lo, 0x42b17218, v97
	s_waitcnt_depctr 0xfff
	v_ldexp_f32 v100, v100, v101
	v_cndmask_b32_e32 v175, 0x7f800000, v98, vcc_lo
	v_cmp_eq_u32_e32 vcc_lo, 1, v144
	s_delay_alu instid0(VALU_DEP_3)
	v_cndmask_b32_e64 v97, 0, v100, s1
	v_cmp_nlt_f32_e64 s1, 0x42b17218, v99
	ds_bpermute_b32 v99, v162, v175
	v_cndmask_b32_e64 v174, 0x7f800000, v97, s1
	v_cmp_eq_u32_e64 s1, 0, v144
	ds_bpermute_b32 v97, v162, v174
	s_waitcnt lgkmcnt(0)
	v_cndmask_b32_e32 v98, v174, v97, vcc_lo
	v_cndmask_b32_e64 v97, v174, v97, s1
	s_delay_alu instid0(VALU_DEP_2) | instskip(NEXT) | instid1(VALU_DEP_2)
	v_cndmask_b32_e64 v101, v98, v175, s3
	v_cndmask_b32_e64 v100, v97, v175, s2
	v_cvt_f16_f32_e32 v97, v97
	v_cvt_f16_f32_e32 v98, v98
	s_delay_alu instid0(VALU_DEP_3) | instskip(SKIP_1) | instid1(VALU_DEP_3)
	v_cndmask_b32_e64 v100, v100, v99, s1
	v_cndmask_b32_e32 v99, v101, v99, vcc_lo
	v_pack_b32_f16 v97, v97, v98
	s_delay_alu instid0(VALU_DEP_3) | instskip(NEXT) | instid1(VALU_DEP_3)
	v_cvt_f16_f32_e32 v101, v100
	v_cvt_f16_f32_e32 v102, v99
	s_delay_alu instid0(VALU_DEP_1) | instskip(SKIP_1) | instid1(VALU_DEP_1)
	v_pack_b32_f16 v98, v101, v102
	v_sub_f32_e32 v101, v168, v172
	v_mul_f32_e32 v102, 0x3fb8aa3b, v101
	v_cmp_ngt_f32_e64 s4, 0xc2ce8ed0, v101
	s_delay_alu instid0(VALU_DEP_2) | instskip(SKIP_1) | instid1(VALU_DEP_1)
	v_fma_f32 v163, 0x3fb8aa3b, v101, -v102
	v_rndne_f32_e32 v164, v102
	v_dual_fmac_f32 v163, 0x32a5705f, v101 :: v_dual_sub_f32 v102, v102, v164
	s_delay_alu instid0(VALU_DEP_1) | instskip(SKIP_1) | instid1(VALU_DEP_2)
	v_add_f32_e32 v102, v102, v163
	v_cvt_i32_f32_e32 v163, v164
	v_exp_f32_e32 v102, v102
	s_waitcnt_depctr 0xfff
	v_ldexp_f32 v102, v102, v163
	s_delay_alu instid0(VALU_DEP_1) | instskip(SKIP_1) | instid1(VALU_DEP_1)
	v_cndmask_b32_e64 v102, 0, v102, s4
	v_cmp_nlt_f32_e64 s4, 0x42b17218, v101
	v_cndmask_b32_e64 v176, 0x7f800000, v102, s4
	ds_bpermute_b32 v101, v162, v176
	v_cndmask_b32_e64 v99, v99, v176, s3
	v_cndmask_b32_e64 v100, v100, v176, s2
	s_waitcnt lgkmcnt(0)
	s_delay_alu instid0(VALU_DEP_1) | instskip(NEXT) | instid1(VALU_DEP_3)
	v_cndmask_b32_e64 v100, v100, v101, s1
	v_cndmask_b32_e32 v101, v99, v101, vcc_lo
	s_delay_alu instid0(VALU_DEP_2) | instskip(NEXT) | instid1(VALU_DEP_2)
	v_cvt_f16_f32_e32 v99, v100
	v_cvt_f16_f32_e32 v102, v101
	s_delay_alu instid0(VALU_DEP_1) | instskip(SKIP_1) | instid1(VALU_DEP_1)
	v_pack_b32_f16 v99, v99, v102
	v_sub_f32_e32 v102, v178, v172
	v_mul_f32_e32 v163, 0x3fb8aa3b, v102
	v_cmp_ngt_f32_e64 s4, 0xc2ce8ed0, v102
	s_delay_alu instid0(VALU_DEP_2) | instskip(SKIP_1) | instid1(VALU_DEP_1)
	v_fma_f32 v164, 0x3fb8aa3b, v102, -v163
	v_rndne_f32_e32 v168, v163
	v_dual_fmac_f32 v164, 0x32a5705f, v102 :: v_dual_sub_f32 v163, v163, v168
	s_delay_alu instid0(VALU_DEP_1) | instskip(SKIP_1) | instid1(VALU_DEP_2)
	v_add_f32_e32 v163, v163, v164
	v_cvt_i32_f32_e32 v164, v168
	v_exp_f32_e32 v163, v163
	s_waitcnt_depctr 0xfff
	v_ldexp_f32 v163, v163, v164
	s_delay_alu instid0(VALU_DEP_1) | instskip(SKIP_1) | instid1(VALU_DEP_1)
	v_cndmask_b32_e64 v163, 0, v163, s4
	v_cmp_nlt_f32_e64 s4, 0x42b17218, v102
	v_cndmask_b32_e64 v177, 0x7f800000, v163, s4
	ds_bpermute_b32 v102, v162, v177
	v_cndmask_b32_e64 v101, v101, v177, s3
	v_cndmask_b32_e64 v100, v100, v177, s2
	s_waitcnt lgkmcnt(0)
	s_delay_alu instid0(VALU_DEP_1) | instskip(NEXT) | instid1(VALU_DEP_3)
	v_cndmask_b32_e64 v163, v100, v102, s1
	v_cndmask_b32_e32 v101, v101, v102, vcc_lo
	s_delay_alu instid0(VALU_DEP_2) | instskip(NEXT) | instid1(VALU_DEP_2)
	v_cvt_f16_f32_e64 v100, v163
	v_cvt_f16_f32_e32 v102, v101
	s_delay_alu instid0(VALU_DEP_1) | instskip(SKIP_1) | instid1(VALU_DEP_1)
	v_pack_b32_f16 v100, v100, v102
	v_sub_f32_e32 v102, v179, v172
	v_mul_f32_e32 v164, 0x3fb8aa3b, v102
	v_cmp_ngt_f32_e64 s4, 0xc2ce8ed0, v102
	s_delay_alu instid0(VALU_DEP_2) | instskip(SKIP_1) | instid1(VALU_DEP_2)
	v_fma_f32 v168, 0x3fb8aa3b, v102, -v164
	v_rndne_f32_e32 v178, v164
	v_fmac_f32_e32 v168, 0x32a5705f, v102
	s_delay_alu instid0(VALU_DEP_2) | instskip(NEXT) | instid1(VALU_DEP_1)
	v_sub_f32_e32 v164, v164, v178
	v_add_f32_e32 v164, v164, v168
	v_cvt_i32_f32_e32 v168, v178
	s_delay_alu instid0(VALU_DEP_2) | instskip(SKIP_2) | instid1(VALU_DEP_1)
	v_exp_f32_e32 v164, v164
	s_waitcnt_depctr 0xfff
	v_ldexp_f32 v164, v164, v168
	v_cndmask_b32_e64 v164, 0, v164, s4
	v_cmp_nlt_f32_e64 s4, 0x42b17218, v102
	s_delay_alu instid0(VALU_DEP_1) | instskip(NEXT) | instid1(VALU_DEP_1)
	v_cndmask_b32_e64 v178, 0x7f800000, v164, s4
	v_cndmask_b32_e64 v102, v163, v178, s2
	ds_bpermute_b32 v163, v162, v178
	v_cndmask_b32_e64 v101, v101, v178, s3
	s_waitcnt lgkmcnt(0)
	v_cndmask_b32_e64 v102, v102, v163, s1
	s_delay_alu instid0(VALU_DEP_2) | instskip(NEXT) | instid1(VALU_DEP_2)
	v_cndmask_b32_e32 v163, v101, v163, vcc_lo
	v_cvt_f16_f32_e32 v101, v102
	s_delay_alu instid0(VALU_DEP_2) | instskip(NEXT) | instid1(VALU_DEP_1)
	v_cvt_f16_f32_e64 v164, v163
	v_pack_b32_f16 v101, v101, v164
	v_sub_f32_e32 v164, v180, v172
	s_delay_alu instid0(VALU_DEP_1) | instskip(SKIP_1) | instid1(VALU_DEP_2)
	v_mul_f32_e32 v168, 0x3fb8aa3b, v164
	v_cmp_ngt_f32_e64 s4, 0xc2ce8ed0, v164
	v_fma_f32 v179, 0x3fb8aa3b, v164, -v168
	v_rndne_f32_e32 v180, v168
	s_delay_alu instid0(VALU_DEP_2) | instskip(NEXT) | instid1(VALU_DEP_2)
	v_fmac_f32_e32 v179, 0x32a5705f, v164
	v_sub_f32_e32 v168, v168, v180
	s_delay_alu instid0(VALU_DEP_1) | instskip(SKIP_1) | instid1(VALU_DEP_2)
	v_add_f32_e32 v168, v168, v179
	v_cvt_i32_f32_e32 v179, v180
	v_exp_f32_e32 v168, v168
	s_waitcnt_depctr 0xfff
	v_ldexp_f32 v168, v168, v179
	s_delay_alu instid0(VALU_DEP_1) | instskip(SKIP_1) | instid1(VALU_DEP_1)
	v_cndmask_b32_e64 v168, 0, v168, s4
	v_cmp_nlt_f32_e64 s4, 0x42b17218, v164
	v_cndmask_b32_e64 v179, 0x7f800000, v168, s4
	v_cmp_ngt_f32_e64 s4, 0xc2ce8ed0, v103
	v_sub_f32_e32 v104, v104, v172
	ds_bpermute_b32 v164, v162, v179
	v_cndmask_b32_e64 v163, v163, v179, s3
	v_cndmask_b32_e64 v102, v102, v179, s2
	s_waitcnt lgkmcnt(0)
	s_delay_alu instid0(VALU_DEP_1) | instskip(NEXT) | instid1(VALU_DEP_3)
	v_cndmask_b32_e64 v168, v102, v164, s1
	v_cndmask_b32_e32 v163, v163, v164, vcc_lo
	s_delay_alu instid0(VALU_DEP_2) | instskip(NEXT) | instid1(VALU_DEP_2)
	v_cvt_f16_f32_e64 v102, v168
	v_cvt_f16_f32_e64 v164, v163
	s_delay_alu instid0(VALU_DEP_1) | instskip(SKIP_1) | instid1(VALU_DEP_1)
	v_pack_b32_f16 v102, v102, v164
	v_mul_f32_e32 v164, 0x3fb8aa3b, v103
	v_fma_f32 v180, 0x3fb8aa3b, v103, -v164
	v_rndne_f32_e32 v181, v164
	s_delay_alu instid0(VALU_DEP_2) | instskip(NEXT) | instid1(VALU_DEP_2)
	v_fmac_f32_e32 v180, 0x32a5705f, v103
	v_sub_f32_e32 v164, v164, v181
	s_delay_alu instid0(VALU_DEP_1) | instskip(SKIP_1) | instid1(VALU_DEP_2)
	v_add_f32_e32 v164, v164, v180
	v_cvt_i32_f32_e32 v180, v181
	v_exp_f32_e32 v164, v164
	s_waitcnt_depctr 0xfff
	v_ldexp_f32 v164, v164, v180
	s_delay_alu instid0(VALU_DEP_1) | instskip(SKIP_1) | instid1(VALU_DEP_1)
	v_cndmask_b32_e64 v164, 0, v164, s4
	v_cmp_nlt_f32_e64 s4, 0x42b17218, v103
	v_cndmask_b32_e64 v196, 0x7f800000, v164, s4
	v_cmp_ngt_f32_e64 s4, 0xc2ce8ed0, v104
	ds_bpermute_b32 v164, v162, v196
	v_cndmask_b32_e64 v103, v163, v196, s3
	v_cndmask_b32_e64 v163, v168, v196, s2
	s_waitcnt lgkmcnt(0)
	s_delay_alu instid0(VALU_DEP_1) | instskip(NEXT) | instid1(VALU_DEP_3)
	v_cndmask_b32_e64 v163, v163, v164, s1
	v_cndmask_b32_e32 v164, v103, v164, vcc_lo
	s_delay_alu instid0(VALU_DEP_2) | instskip(NEXT) | instid1(VALU_DEP_2)
	v_cvt_f16_f32_e64 v103, v163
	v_cvt_f16_f32_e64 v168, v164
	s_delay_alu instid0(VALU_DEP_1) | instskip(SKIP_1) | instid1(VALU_DEP_1)
	v_pack_b32_f16 v103, v103, v168
	v_mul_f32_e32 v168, 0x3fb8aa3b, v104
	v_fma_f32 v180, 0x3fb8aa3b, v104, -v168
	v_rndne_f32_e32 v181, v168
	s_delay_alu instid0(VALU_DEP_2) | instskip(NEXT) | instid1(VALU_DEP_2)
	v_fmac_f32_e32 v180, 0x32a5705f, v104
	v_sub_f32_e32 v168, v168, v181
	s_delay_alu instid0(VALU_DEP_1) | instskip(SKIP_1) | instid1(VALU_DEP_2)
	v_add_f32_e32 v168, v168, v180
	v_cvt_i32_f32_e32 v180, v181
	v_exp_f32_e32 v168, v168
	s_waitcnt_depctr 0xfff
	v_ldexp_f32 v168, v168, v180
	s_delay_alu instid0(VALU_DEP_1) | instskip(SKIP_1) | instid1(VALU_DEP_1)
	v_cndmask_b32_e64 v168, 0, v168, s4
	v_cmp_nlt_f32_e64 s4, 0x42b17218, v104
	v_cndmask_b32_e64 v168, 0x7f800000, v168, s4
	s_delay_alu instid0(VALU_DEP_1) | instskip(SKIP_3) | instid1(VALU_DEP_1)
	v_cndmask_b32_e64 v104, v164, v168, s3
	ds_bpermute_b32 v164, v162, v168
	v_cndmask_b32_e64 v163, v163, v168, s2
	s_waitcnt lgkmcnt(0)
	v_cndmask_b32_e64 v163, v163, v164, s1
	v_cndmask_b32_e32 v104, v104, v164, vcc_lo
	s_delay_alu instid0(VALU_DEP_2) | instskip(NEXT) | instid1(VALU_DEP_2)
	v_cvt_f16_f32_e64 v163, v163
	v_cvt_f16_f32_e32 v104, v104
	s_delay_alu instid0(VALU_DEP_1) | instskip(SKIP_1) | instid1(VALU_DEP_1)
	v_pack_b32_f16 v104, v163, v104
	v_sub_f32_e32 v163, v173, v172
	v_mul_f32_e32 v164, 0x3fb8aa3b, v163
	v_cmp_ngt_f32_e32 vcc_lo, 0xc2ce8ed0, v163
	s_delay_alu instid0(VALU_DEP_2) | instskip(SKIP_1) | instid1(VALU_DEP_1)
	v_fma_f32 v173, 0x3fb8aa3b, v163, -v164
	v_rndne_f32_e32 v180, v164
	v_dual_fmac_f32 v173, 0x32a5705f, v163 :: v_dual_sub_f32 v164, v164, v180
	s_delay_alu instid0(VALU_DEP_1) | instskip(SKIP_1) | instid1(VALU_DEP_2)
	v_add_f32_e32 v164, v164, v173
	v_cvt_i32_f32_e32 v173, v180
	v_exp_f32_e32 v164, v164
	s_waitcnt_depctr 0xfff
	v_ldexp_f32 v164, v164, v173
	s_delay_alu instid0(VALU_DEP_1) | instskip(SKIP_1) | instid1(VALU_DEP_2)
	v_cndmask_b32_e32 v164, 0, v164, vcc_lo
	v_cmp_nlt_f32_e32 vcc_lo, 0x42b17218, v163
	v_cndmask_b32_e32 v164, 0x7f800000, v164, vcc_lo
	v_cmp_le_f32_e32 vcc_lo, 0xc1a00000, v163
	s_delay_alu instid0(VALU_DEP_2)
	v_cndmask_b32_e32 v197, 0, v164, vcc_lo
	ds_load_2addr_b32 v[163:164], v165 offset1:16
	ds_load_2addr_b32 v[188:189], v165 offset0:68 offset1:84
	ds_load_2addr_b32 v[190:191], v165 offset0:136 offset1:152
	;; [unrolled: 1-line block ×13, first 2 shown]
	v_cvt_f16_f32_e64 v173, v197
	ds_load_2addr_b32 v[218:219], v213 offset0:168 offset1:184
	ds_load_2addr_b32 v[220:221], v213 offset0:236 offset1:252
	v_cmp_lt_i32_e32 vcc_lo, s97, v135
	v_pk_mul_f16 v64, v173, v64 op_sel_hi:[0,1]
	v_pk_mul_f16 v65, v173, v65 op_sel_hi:[0,1]
	;; [unrolled: 1-line block ×8, first 2 shown]
	s_waitcnt lgkmcnt(14)
	v_perm_b32 v180, v188, v163, 0x5040100
	s_waitcnt lgkmcnt(12)
	v_perm_b32 v181, v192, v190, 0x5040100
	;; [unrolled: 2-line block ×8, first 2 shown]
	v_pk_mul_f16 v56, v173, v56 op_sel_hi:[0,1]
	v_pk_mul_f16 v57, v173, v57 op_sel_hi:[0,1]
	;; [unrolled: 1-line block ×4, first 2 shown]
	v_wmma_f16_16x16x16_f16 v[64:71], v[180:187], v[97:104], v[64:71]
	v_add_nc_u32_e32 v182, 0x1000, v165
	ds_load_2addr_b32 v[222:223], v182 offset0:12 offset1:28
	ds_load_2addr_b32 v[224:225], v242 offset0:200 offset1:216
	ds_load_2addr_b32 v[226:227], v213 offset0:100 offset1:116
	ds_load_b32 v213, v166 offset:1088
	ds_load_b32 v244, v167 offset:1088
	;; [unrolled: 1-line block ×7, first 2 shown]
	ds_load_2addr_b32 v[228:229], v242 offset0:132 offset1:148
	ds_load_2addr_b32 v[230:231], v165 offset0:32 offset1:48
	;; [unrolled: 1-line block ×5, first 2 shown]
	ds_load_b32 v250, v167 offset:3264
	ds_load_2addr_b32 v[238:239], v212 offset0:132 offset1:148
	ds_load_2addr_b32 v[240:241], v212 offset0:200 offset1:216
	ds_load_2addr_b32 v[242:243], v242 offset0:12 offset1:28
	v_pk_mul_f16 v60, v173, v60 op_sel_hi:[0,1]
	v_pk_mul_f16 v61, v173, v61 op_sel_hi:[0,1]
	;; [unrolled: 1-line block ×20, first 2 shown]
	ds_load_b32 v173, v169 offset:2176
	ds_load_b32 v212, v169 offset:3264
	v_perm_b32 v180, v189, v164, 0x5040100
	v_perm_b32 v181, v193, v191, 0x5040100
	s_waitcnt lgkmcnt(21)
	v_perm_b32 v183, v220, v218, 0x5040100
	v_perm_b32 v185, v199, v195, 0x5040100
	s_waitcnt lgkmcnt(19)
	v_perm_b32 v187, v222, v224, 0x5040100
	s_waitcnt lgkmcnt(17)
	v_perm_b32 v182, v226, v213, 0x5040100
	s_waitcnt lgkmcnt(10)
	v_perm_b32 v186, v228, v249, 0x5040100
	v_perm_b32 v184, v203, v247, 0x5040100
	s_and_b32 vcc_lo, exec_lo, vcc_lo
	s_waitcnt lgkmcnt(0)
	s_barrier
	buffer_gl0_inv
	v_wmma_f16_16x16x16_f16 v[56:63], v[180:187], v[97:104], v[56:63]
	v_perm_b32 v180, v232, v230, 0x5040100
	v_perm_b32 v181, v236, v234, 0x5040100
	v_perm_b32 v183, v221, v219, 0x5040100
	v_perm_b32 v187, v223, v225, 0x5040100
	v_perm_b32 v182, v227, v244, 0x5040100
	v_perm_b32 v186, v229, v250, 0x5040100
	v_perm_b32 v184, v238, v246, 0x5040100
	v_perm_b32 v185, v242, v240, 0x5040100
	s_delay_alu instid0(VALU_DEP_1)
	v_wmma_f16_16x16x16_f16 v[40:47], v[180:187], v[97:104], v[40:47]
	v_perm_b32 v180, v233, v231, 0x5040100
	v_perm_b32 v181, v237, v235, 0x5040100
	v_perm_b32 v182, v208, v245, 0x5040100
	v_perm_b32 v183, v204, v210, 0x5040100
	v_perm_b32 v184, v239, v173, 0x5040100
	v_perm_b32 v185, v243, v241, 0x5040100
	v_perm_b32 v186, v214, v212, 0x5040100
	v_perm_b32 v187, v248, v216, 0x5040100
	s_delay_alu instid0(VALU_DEP_1)
	;; [unrolled: 10-line block ×3, first 2 shown]
	v_wmma_f16_16x16x16_f16 v[64:71], v[180:187], v[97:104], v[64:71] op_sel:[0,0,1]
	v_perm_b32 v180, v189, v164, 0x7060302
	v_perm_b32 v181, v193, v191, 0x7060302
	;; [unrolled: 1-line block ×8, first 2 shown]
	s_delay_alu instid0(VALU_DEP_1)
	v_wmma_f16_16x16x16_f16 v[56:63], v[180:187], v[97:104], v[56:63] op_sel:[0,0,1]
	v_perm_b32 v183, v221, v219, 0x7060302
	v_perm_b32 v187, v223, v225, 0x7060302
	;; [unrolled: 1-line block ×8, first 2 shown]
	s_delay_alu instid0(VALU_DEP_1)
	v_wmma_f16_16x16x16_f16 v[40:47], v[180:187], v[97:104], v[40:47] op_sel:[0,0,1]
	v_perm_b32 v180, v233, v231, 0x7060302
	v_perm_b32 v181, v237, v235, 0x7060302
	;; [unrolled: 1-line block ×8, first 2 shown]
	s_delay_alu instid0(VALU_DEP_1) | instskip(SKIP_1) | instid1(VALU_DEP_1)
	v_wmma_f16_16x16x16_f16 v[16:23], v[180:187], v[97:104], v[16:23] op_sel:[0,0,1]
	v_add_f32_e32 v97, v174, v175
	v_add_f32_e32 v97, v176, v97
	s_delay_alu instid0(VALU_DEP_1) | instskip(NEXT) | instid1(VALU_DEP_1)
	v_add_f32_e32 v97, v177, v97
	v_add_f32_e32 v97, v178, v97
	s_delay_alu instid0(VALU_DEP_1) | instskip(NEXT) | instid1(VALU_DEP_1)
	;; [unrolled: 3-line block ×3, first 2 shown]
	v_add_f32_e32 v173, v168, v97
	v_fmac_f32_e32 v173, v171, v197
	s_cbranch_vccz .LBB24_315
; %bb.311:                              ;   in Loop: Header=BB24_310 Depth=1
	s_delay_alu instid0(VALU_DEP_1)
	v_mov_b32_e32 v171, v173
	v_mov_b32_e32 v173, v172
	s_ashr_i32 s7, s6, 31
	s_and_saveexec_b32 s1, s0
	s_cbranch_execnz .LBB24_309
	s_branch .LBB24_310
.LBB24_312:
                                        ; implicit-def: $sgpr50_sgpr51
	s_load_b64 s[48:49], s[0:1], 0x74
	v_cvt_f32_u32_e32 v2, s14
	s_branch .LBB24_2
.LBB24_313:
                                        ; implicit-def: $sgpr54_sgpr55
	s_load_b64 s[12:13], s[0:1], 0x5c
	s_branch .LBB24_5
.LBB24_314:
	v_dual_mov_b32 v173, 0 :: v_dual_mov_b32 v172, 0xfeffffff
	v_dual_mov_b32 v70, 0 :: v_dual_mov_b32 v69, 0
	v_dual_mov_b32 v68, 0 :: v_dual_mov_b32 v67, 0
	v_dual_mov_b32 v66, 0 :: v_dual_mov_b32 v65, 0
	v_dual_mov_b32 v64, 0 :: v_dual_mov_b32 v63, 0
	v_dual_mov_b32 v62, 0 :: v_dual_mov_b32 v61, 0
	v_dual_mov_b32 v60, 0 :: v_dual_mov_b32 v59, 0
	v_dual_mov_b32 v58, 0 :: v_dual_mov_b32 v57, 0
	v_dual_mov_b32 v56, 0 :: v_dual_mov_b32 v47, 0
	v_dual_mov_b32 v46, 0 :: v_dual_mov_b32 v45, 0
	v_dual_mov_b32 v44, 0 :: v_dual_mov_b32 v43, 0
	v_dual_mov_b32 v42, 0 :: v_dual_mov_b32 v41, 0
	v_dual_mov_b32 v40, 0 :: v_dual_mov_b32 v23, 0
	v_dual_mov_b32 v22, 0 :: v_dual_mov_b32 v21, 0
	v_dual_mov_b32 v20, 0 :: v_dual_mov_b32 v19, 0
	v_dual_mov_b32 v18, 0 :: v_dual_mov_b32 v17, 0
	v_mov_b32_e32 v16, 0
.LBB24_315:
	s_lshl_b32 s0, s97, 5
	s_mov_b32 s2, exec_lo
	s_ashr_i32 s1, s0, 31
	v_cmpx_gt_u32_e32 2, v148
	s_cbranch_execz .LBB24_317
; %bb.316:
	v_add_nc_u32_e32 v96, s5, v252
	s_lshl_b64 s[4:5], s[0:1], 1
	s_delay_alu instid0(SALU_CYCLE_1) | instskip(SKIP_1) | instid1(VALU_DEP_1)
	s_add_u32 s1, s18, s4
	s_addc_u32 s3, s19, s5
	v_lshl_or_b32 v96, v96, 1, v143
	s_delay_alu instid0(VALU_DEP_1) | instskip(NEXT) | instid1(VALU_DEP_1)
	v_mul_hi_u32 v97, s12, v96
	v_add_nc_u32_e32 v97, v96, v97
	s_delay_alu instid0(VALU_DEP_1) | instskip(NEXT) | instid1(VALU_DEP_1)
	v_lshrrev_b32_e32 v97, s13, v97
	v_mul_lo_u32 v97, v97, s8
	s_delay_alu instid0(VALU_DEP_1) | instskip(NEXT) | instid1(VALU_DEP_1)
	v_sub_nc_u32_e32 v98, v96, v97
	v_mad_i64_i32 v[96:97], null, v98, s40, 0
	v_lshlrev_b32_e32 v98, 2, v251
	s_delay_alu instid0(VALU_DEP_1) | instskip(NEXT) | instid1(VALU_DEP_3)
	v_and_b32_e32 v98, 60, v98
	v_lshlrev_b64 v[96:97], 1, v[96:97]
	s_delay_alu instid0(VALU_DEP_1) | instskip(NEXT) | instid1(VALU_DEP_2)
	v_add_co_u32 v96, vcc_lo, s1, v96
	v_add_co_ci_u32_e32 v97, vcc_lo, s3, v97, vcc_lo
	s_delay_alu instid0(VALU_DEP_2) | instskip(NEXT) | instid1(VALU_DEP_2)
	v_add_co_u32 v96, vcc_lo, v96, v98
	v_add_co_ci_u32_e32 v97, vcc_lo, 0, v97, vcc_lo
	global_load_b32 v96, v[96:97], off
	v_mul_u32_u24_e32 v97, 0x50, v148
	s_delay_alu instid0(VALU_DEP_1)
	v_add3_u32 v97, 0, v97, v98
	s_waitcnt vmcnt(0)
	ds_store_b32 v97, v96 offset:8704
.LBB24_317:
	s_or_b32 exec_lo, exec_lo, s2
	s_mul_hi_i32 s3, s0, s34
	s_mul_i32 s2, s0, s34
	v_lshlrev_b32_e32 v97, 4, v251
	s_lshl_b64 s[2:3], s[2:3], 2
	v_lshlrev_b64 v[98:99], 2, v[105:106]
	s_add_u32 s1, s16, s2
	s_addc_u32 s2, s17, s3
	s_lshl_b32 s3, s34, 2
	v_and_b32_e32 v138, 0xf0, v97
	v_add_nc_u32_e32 v96, s3, v105
	v_add_co_u32 v100, vcc_lo, s1, v98
	v_add_co_ci_u32_e32 v101, vcc_lo, s2, v99, vcc_lo
	s_delay_alu instid0(VALU_DEP_3) | instskip(NEXT) | instid1(VALU_DEP_3)
	v_ashrrev_i32_e32 v97, 31, v96
	v_add_co_u32 v99, vcc_lo, v100, v138
	s_delay_alu instid0(VALU_DEP_3) | instskip(NEXT) | instid1(VALU_DEP_3)
	v_add_co_ci_u32_e32 v100, vcc_lo, 0, v101, vcc_lo
	v_lshlrev_b64 v[97:98], 2, v[96:97]
	v_add_nc_u32_e32 v96, s3, v96
	v_lshrrev_b32_e32 v147, 3, v147
	v_mul_u32_u24_e32 v139, 0x110, v148
	v_lshlrev_b64 v[140:141], 2, v[136:137]
	v_add_co_u32 v101, vcc_lo, s1, v97
	v_add_co_ci_u32_e32 v98, vcc_lo, s2, v98, vcc_lo
	v_ashrrev_i32_e32 v97, 31, v96
	s_delay_alu instid0(VALU_DEP_3) | instskip(NEXT) | instid1(VALU_DEP_3)
	v_add_co_u32 v101, vcc_lo, v101, v138
	v_add_co_ci_u32_e32 v102, vcc_lo, 0, v98, vcc_lo
	v_add_nc_u32_e32 v98, s3, v96
	s_delay_alu instid0(VALU_DEP_4)
	v_lshlrev_b64 v[96:97], 2, v[96:97]
	s_clause 0x1
	global_load_b128 v[104:107], v[99:100], off
	global_load_b128 v[108:111], v[101:102], off
	v_mad_u32_u24 v137, 0x50, v147, 0
	v_ashrrev_i32_e32 v99, 31, v98
	v_add_co_u32 v100, vcc_lo, s1, v96
	v_add_co_ci_u32_e32 v101, vcc_lo, s2, v97, vcc_lo
	s_delay_alu instid0(VALU_DEP_3) | instskip(SKIP_1) | instid1(VALU_DEP_4)
	v_lshlrev_b64 v[96:97], 2, v[98:99]
	v_add_nc_u32_e32 v98, s3, v98
	v_add_co_u32 v100, vcc_lo, v100, v138
	s_delay_alu instid0(VALU_DEP_4) | instskip(NEXT) | instid1(VALU_DEP_3)
	v_add_co_ci_u32_e32 v101, vcc_lo, 0, v101, vcc_lo
	v_ashrrev_i32_e32 v99, 31, v98
	v_add_co_u32 v102, vcc_lo, s1, v96
	v_add_co_ci_u32_e32 v103, vcc_lo, s2, v97, vcc_lo
	s_delay_alu instid0(VALU_DEP_3) | instskip(SKIP_1) | instid1(VALU_DEP_4)
	v_lshlrev_b64 v[96:97], 2, v[98:99]
	v_add_nc_u32_e32 v98, s3, v98
	v_add_co_u32 v102, vcc_lo, v102, v138
	s_delay_alu instid0(VALU_DEP_4) | instskip(NEXT) | instid1(VALU_DEP_3)
	v_add_co_ci_u32_e32 v103, vcc_lo, 0, v103, vcc_lo
	;; [unrolled: 9-line block ×3, first 2 shown]
	v_add_nc_u32_e32 v112, s3, v98
	v_ashrrev_i32_e32 v99, 31, v98
	v_add_co_u32 v114, vcc_lo, s1, v96
	v_add_co_ci_u32_e32 v115, vcc_lo, s2, v97, vcc_lo
	s_delay_alu instid0(VALU_DEP_4) | instskip(NEXT) | instid1(VALU_DEP_4)
	v_ashrrev_i32_e32 v113, 31, v112
	v_lshlrev_b64 v[96:97], 2, v[98:99]
	s_delay_alu instid0(VALU_DEP_4) | instskip(NEXT) | instid1(VALU_DEP_4)
	v_add_co_u32 v98, vcc_lo, v114, v138
	v_add_co_ci_u32_e32 v99, vcc_lo, 0, v115, vcc_lo
	s_delay_alu instid0(VALU_DEP_4) | instskip(NEXT) | instid1(VALU_DEP_4)
	v_lshlrev_b64 v[112:113], 2, v[112:113]
	v_add_co_u32 v96, vcc_lo, s1, v96
	v_add_co_ci_u32_e32 v97, vcc_lo, s2, v97, vcc_lo
	s_delay_alu instid0(VALU_DEP_3) | instskip(NEXT) | instid1(VALU_DEP_4)
	v_add_co_u32 v112, vcc_lo, s1, v112
	v_add_co_ci_u32_e32 v113, vcc_lo, s2, v113, vcc_lo
	s_delay_alu instid0(VALU_DEP_4) | instskip(NEXT) | instid1(VALU_DEP_4)
	v_add_co_u32 v96, vcc_lo, v96, v138
	v_add_co_ci_u32_e32 v97, vcc_lo, 0, v97, vcc_lo
	s_delay_alu instid0(VALU_DEP_4) | instskip(NEXT) | instid1(VALU_DEP_4)
	v_add_co_u32 v132, vcc_lo, v112, v138
	v_add_co_ci_u32_e32 v133, vcc_lo, 0, v113, vcc_lo
	s_clause 0x5
	global_load_b128 v[112:115], v[100:101], off
	global_load_b128 v[116:119], v[102:103], off
	;; [unrolled: 1-line block ×6, first 2 shown]
	s_mul_hi_i32 s1, s0, s10
	s_mul_i32 s0, s0, s10
	v_dual_mov_b32 v96, 0 :: v_dual_and_b32 v103, 16, v253
	s_lshl_b64 s[0:1], s[0:1], 2
	s_delay_alu instid0(SALU_CYCLE_1) | instskip(NEXT) | instid1(VALU_DEP_1)
	s_add_u32 s0, s9, s0
	v_mov_b32_e32 v98, v96
	s_addc_u32 s1, s11, s1
	s_lshl_b32 s2, s10, 2
	s_delay_alu instid0(SALU_CYCLE_1)
	v_dual_mov_b32 v100, v96 :: v_dual_add_nc_u32 v147, s2, v136
	v_lshlrev_b32_e32 v148, 1, v103
	v_mad_u32_u24 v165, 0x110, v103, 0
	v_mov_b32_e32 v97, v96
	v_mov_b32_e32 v102, v96
	v_add3_u32 v136, 0, v139, v138
	v_add_nc_u32_e32 v139, s2, v147
	v_add3_u32 v167, v137, v148, v146
	v_ashrrev_i32_e32 v148, 31, v147
	v_add_co_u32 v137, vcc_lo, s0, v140
	v_add_nc_u32_e32 v166, v165, v145
	v_add_co_ci_u32_e32 v141, vcc_lo, s1, v141, vcc_lo
	s_delay_alu instid0(VALU_DEP_4) | instskip(SKIP_2) | instid1(VALU_DEP_4)
	v_lshlrev_b64 v[145:146], 2, v[147:148]
	v_ashrrev_i32_e32 v140, 31, v139
	v_add_co_u32 v153, vcc_lo, v137, v138
	v_add_co_ci_u32_e32 v154, vcc_lo, 0, v141, vcc_lo
	v_add_nc_u32_e32 v147, s2, v139
	v_add_co_u32 v137, vcc_lo, s0, v145
	v_lshlrev_b64 v[139:140], 2, v[139:140]
	v_add_co_ci_u32_e32 v141, vcc_lo, s1, v146, vcc_lo
	s_delay_alu instid0(VALU_DEP_4) | instskip(NEXT) | instid1(VALU_DEP_4)
	v_ashrrev_i32_e32 v148, 31, v147
	v_add_co_u32 v155, vcc_lo, v137, v138
	s_delay_alu instid0(VALU_DEP_3) | instskip(SKIP_4) | instid1(VALU_DEP_4)
	v_add_co_ci_u32_e32 v156, vcc_lo, 0, v141, vcc_lo
	v_add_nc_u32_e32 v149, s2, v147
	v_add_co_u32 v137, vcc_lo, s0, v139
	v_lshlrev_b64 v[145:146], 2, v[147:148]
	v_add_co_ci_u32_e32 v141, vcc_lo, s1, v140, vcc_lo
	v_ashrrev_i32_e32 v150, 31, v149
	s_delay_alu instid0(VALU_DEP_4) | instskip(NEXT) | instid1(VALU_DEP_3)
	v_add_co_u32 v157, vcc_lo, v137, v138
	v_add_co_ci_u32_e32 v158, vcc_lo, 0, v141, vcc_lo
	v_add_nc_u32_e32 v147, s2, v149
	v_add_co_u32 v137, vcc_lo, s0, v145
	v_lshlrev_b64 v[139:140], 2, v[149:150]
	v_add_co_ci_u32_e32 v141, vcc_lo, s1, v146, vcc_lo
	s_delay_alu instid0(VALU_DEP_4) | instskip(NEXT) | instid1(VALU_DEP_4)
	v_ashrrev_i32_e32 v148, 31, v147
	v_add_co_u32 v159, vcc_lo, v137, v138
	s_delay_alu instid0(VALU_DEP_3) | instskip(SKIP_4) | instid1(VALU_DEP_4)
	v_add_co_ci_u32_e32 v160, vcc_lo, 0, v141, vcc_lo
	v_add_nc_u32_e32 v149, s2, v147
	v_add_co_u32 v137, vcc_lo, s0, v139
	v_lshlrev_b64 v[145:146], 2, v[147:148]
	v_add_co_ci_u32_e32 v141, vcc_lo, s1, v140, vcc_lo
	v_ashrrev_i32_e32 v150, 31, v149
	s_delay_alu instid0(VALU_DEP_4) | instskip(NEXT) | instid1(VALU_DEP_3)
	v_add_co_u32 v161, vcc_lo, v137, v138
	v_add_co_ci_u32_e32 v162, vcc_lo, 0, v141, vcc_lo
	v_add_nc_u32_e32 v147, s2, v149
	v_add_co_u32 v137, vcc_lo, s0, v145
	v_lshlrev_b64 v[139:140], 2, v[149:150]
	v_add_co_ci_u32_e32 v141, vcc_lo, s1, v146, vcc_lo
	s_delay_alu instid0(VALU_DEP_4) | instskip(NEXT) | instid1(VALU_DEP_4)
	v_ashrrev_i32_e32 v148, 31, v147
	v_add_co_u32 v163, vcc_lo, v137, v138
	s_delay_alu instid0(VALU_DEP_3) | instskip(SKIP_1) | instid1(VALU_DEP_4)
	v_add_co_ci_u32_e32 v164, vcc_lo, 0, v141, vcc_lo
	v_add_co_u32 v137, vcc_lo, s0, v139
	v_lshlrev_b64 v[145:146], 2, v[147:148]
	v_add_co_ci_u32_e32 v140, vcc_lo, s1, v140, vcc_lo
	s_delay_alu instid0(VALU_DEP_3) | instskip(SKIP_1) | instid1(VALU_DEP_3)
	v_add_co_u32 v139, vcc_lo, v137, v138
	v_mov_b32_e32 v99, v96
	v_add_co_ci_u32_e32 v140, vcc_lo, 0, v140, vcc_lo
	v_mov_b32_e32 v101, v96
	v_mov_b32_e32 v103, v96
	v_cmp_eq_u32_e64 s2, 1, v143
	s_waitcnt vmcnt(7)
	ds_store_b128 v136, v[104:107]
	s_waitcnt vmcnt(6)
	ds_store_b128 v136, v[108:111] offset:1088
	s_waitcnt vmcnt(5)
	ds_store_b128 v136, v[112:115] offset:2176
	;; [unrolled: 2-line block ×7, first 2 shown]
	s_waitcnt lgkmcnt(0)
	s_barrier
	buffer_gl0_inv
	ds_load_b128 v[104:107], v166
	ds_load_b128 v[108:111], v166 offset:16
	ds_load_b128 v[112:115], v166 offset:32
	;; [unrolled: 1-line block ×3, first 2 shown]
	v_add_co_u32 v128, vcc_lo, s0, v145
	ds_load_b128 v[120:123], v166 offset:64
	ds_load_b128 v[124:127], v166 offset:80
	v_add_co_ci_u32_e32 v129, vcc_lo, s1, v146, vcc_lo
	v_add_co_u32 v137, vcc_lo, v128, v138
	v_cmp_eq_u32_e64 s0, 1, v144
	s_delay_alu instid0(VALU_DEP_3)
	v_add_co_ci_u32_e32 v138, vcc_lo, 0, v129, vcc_lo
	ds_load_b128 v[128:131], v166 offset:96
	ds_load_b128 v[132:135], v166 offset:112
	;; [unrolled: 1-line block ×4, first 2 shown]
	v_cmp_eq_u32_e64 s1, 0, v143
	s_waitcnt lgkmcnt(8)
	v_wmma_f32_16x16x16_f16 v[96:103], v[104:111], v[8:15], v[96:103]
	ds_load_b128 v[8:11], v166 offset:160
	ds_load_b128 v[12:15], v166 offset:176
	;; [unrolled: 1-line block ×4, first 2 shown]
	s_waitcnt lgkmcnt(10)
	v_wmma_f32_16x16x16_f16 v[96:103], v[112:119], v[0:7], v[96:103]
	ds_load_b128 v[0:3], v166 offset:224
	ds_load_b128 v[4:7], v166 offset:240
	s_waitcnt lgkmcnt(0)
	s_barrier
	buffer_gl0_inv
	v_wmma_f32_16x16x16_f16 v[96:103], v[120:127], v[24:31], v[96:103]
	ds_load_u16 v24, v167 offset:8704
	ds_load_u16 v25, v167 offset:8708
	;; [unrolled: 1-line block ×8, first 2 shown]
	s_clause 0x3
	global_load_b128 v[112:115], v[153:154], off
	global_load_b128 v[116:119], v[155:156], off
	;; [unrolled: 1-line block ×4, first 2 shown]
	v_wmma_f32_16x16x16_f16 v[96:103], v[128:135], v[32:39], v[96:103]
	s_delay_alu instid0(VALU_DEP_1)
	v_wmma_f32_16x16x16_f16 v[96:103], v[145:152], v[48:55], v[96:103]
	s_clause 0x3
	global_load_b128 v[48:51], v[161:162], off
	global_load_b128 v[52:55], v[163:164], off
	;; [unrolled: 1-line block ×4, first 2 shown]
	s_waitcnt vmcnt(7)
	ds_store_b128 v136, v[112:115]
	s_waitcnt vmcnt(6)
	ds_store_b128 v136, v[116:119] offset:1088
	s_waitcnt vmcnt(5)
	ds_store_b128 v136, v[120:123] offset:2176
	;; [unrolled: 2-line block ×7, first 2 shown]
	v_wmma_f32_16x16x16_f16 v[96:103], v[8:15], v[80:87], v[96:103]
	s_waitcnt lgkmcnt(15)
	v_cvt_f32_f16_e32 v9, v24
	s_waitcnt lgkmcnt(14)
	v_cvt_f32_f16_e32 v10, v25
	;; [unrolled: 2-line block ×3, first 2 shown]
	v_mbcnt_lo_u32_b32 v14, -1, 0
	v_wmma_f32_16x16x16_f16 v[96:103], v[104:111], v[88:95], v[96:103]
	s_waitcnt lgkmcnt(0)
	s_barrier
	buffer_gl0_inv
	v_xor_b32_e32 v8, 16, v14
	v_wmma_f32_16x16x16_f16 v[96:103], v[0:7], v[72:79], v[96:103]
	v_cvt_f32_f16_e32 v0, v27
	v_cvt_f32_f16_e32 v1, v28
	;; [unrolled: 1-line block ×4, first 2 shown]
	v_dual_add_f32 v4, v96, v9 :: v_dual_add_f32 v5, v97, v10
	v_dual_add_f32 v7, v98, v11 :: v_dual_add_f32 v0, v99, v0
	v_cvt_f32_f16_e32 v6, v31
	s_delay_alu instid0(VALU_DEP_3) | instskip(NEXT) | instid1(VALU_DEP_3)
	v_dual_add_f32 v9, 0x40051340, v4 :: v_dual_add_f32 v10, 0x40051340, v5
	v_dual_add_f32 v1, v100, v1 :: v_dual_add_f32 v12, 0x40051340, v0
	s_delay_alu instid0(VALU_DEP_4) | instskip(NEXT) | instid1(VALU_DEP_3)
	v_dual_add_f32 v2, v101, v2 :: v_dual_add_f32 v11, 0x40051340, v7
	v_max3_f32 v9, v172, v9, v10
	v_dual_add_f32 v3, v102, v3 :: v_dual_add_f32 v6, v103, v6
	s_delay_alu instid0(VALU_DEP_3) | instskip(NEXT) | instid1(VALU_DEP_3)
	v_dual_add_f32 v10, 0x40051340, v1 :: v_dual_add_f32 v13, 0x40051340, v2
	v_max3_f32 v9, v9, v11, v12
	s_delay_alu instid0(VALU_DEP_3)
	v_add_f32_e32 v11, 0x40051340, v3
	v_cmp_gt_i32_e32 vcc_lo, 32, v8
	v_add_f32_e32 v12, 0x40051340, v6
	v_lshl_add_u32 v72, v142, 2, v165
	v_max3_f32 v9, v9, v10, v13
	v_cndmask_b32_e32 v8, v14, v8, vcc_lo
	s_delay_alu instid0(VALU_DEP_1) | instskip(NEXT) | instid1(VALU_DEP_3)
	v_lshlrev_b32_e32 v104, 2, v8
	v_max3_f32 v8, v9, v11, v12
	ds_bpermute_b32 v9, v104, v8
	s_waitcnt lgkmcnt(0)
	v_max_f32_e32 v9, v9, v9
	s_delay_alu instid0(VALU_DEP_1) | instskip(SKIP_3) | instid1(VALU_DEP_4)
	v_max_f32_e32 v105, v8, v9
	v_add_nc_u32_e32 v73, 0x400, v72
	v_add_nc_u32_e32 v74, 0x800, v72
	;; [unrolled: 1-line block ×3, first 2 shown]
	v_dual_sub_f32 v1, v1, v105 :: v_dual_add_nc_u32 v76, 0xe00, v72
	v_sub_f32_e32 v4, v4, v105
	v_sub_f32_e32 v7, v7, v105
	;; [unrolled: 1-line block ×4, first 2 shown]
	s_delay_alu instid0(VALU_DEP_4) | instskip(NEXT) | instid1(VALU_DEP_3)
	v_dual_sub_f32 v8, v172, v105 :: v_dual_mul_f32 v9, 0x3fb8aa3b, v4
	v_dual_mul_f32 v11, 0x3fb8aa3b, v7 :: v_dual_mul_f32 v12, 0x3fb8aa3b, v0
	v_mul_f32_e32 v13, 0x3fb8aa3b, v1
	v_sub_f32_e32 v5, v5, v105
	s_delay_alu instid0(VALU_DEP_4) | instskip(SKIP_4) | instid1(VALU_DEP_4)
	v_fma_f32 v26, 0x3fb8aa3b, v4, -v9
	v_rndne_f32_e32 v27, v9
	v_mul_f32_e32 v24, 0x3fb8aa3b, v6
	v_rndne_f32_e32 v31, v11
	v_fma_f32 v34, 0x3fb8aa3b, v1, -v13
	v_dual_fmac_f32 v26, 0x32a5705f, v4 :: v_dual_sub_f32 v9, v9, v27
	v_dual_sub_f32 v3, v3, v105 :: v_dual_add_nc_u32 v78, 0x1000, v72
	v_mul_f32_e32 v10, 0x3fb8aa3b, v5
	v_fma_f32 v30, 0x3fb8aa3b, v7, -v11
	v_dual_sub_f32 v11, v11, v31 :: v_dual_fmac_f32 v34, 0x32a5705f, v1
	v_add_f32_e32 v9, v9, v26
	v_dual_sub_f32 v2, v2, v105 :: v_dual_add_nc_u32 v77, 0x600, v72
	v_mul_f32_e32 v15, 0x3fb8aa3b, v3
	v_fma_f32 v28, 0x3fb8aa3b, v5, -v10
	v_rndne_f32_e32 v29, v10
	v_exp_f32_e32 v9, v9
	v_dual_mul_f32 v14, 0x3fb8aa3b, v2 :: v_dual_mul_f32 v25, 0x3fb8aa3b, v8
	v_rndne_f32_e32 v35, v13
	v_fma_f32 v38, 0x3fb8aa3b, v3, -v15
	v_rndne_f32_e32 v39, v15
	v_cvt_i32_f32_e32 v27, v27
	s_delay_alu instid0(VALU_DEP_4) | instskip(NEXT) | instid1(VALU_DEP_3)
	v_dual_fmac_f32 v28, 0x32a5705f, v5 :: v_dual_sub_f32 v13, v13, v35
	v_dual_sub_f32 v10, v10, v29 :: v_dual_sub_f32 v15, v15, v39
	v_rndne_f32_e32 v37, v14
	v_fma_f32 v79, 0x3fb8aa3b, v6, -v24
	v_rndne_f32_e32 v80, v24
	v_fmac_f32_e32 v30, 0x32a5705f, v7
	v_dual_fmac_f32 v38, 0x32a5705f, v3 :: v_dual_add_f32 v13, v13, v34
	v_ldexp_f32 v9, v9, v27
	v_cmp_ngt_f32_e32 vcc_lo, 0xc2ce8ed0, v4
	v_add_f32_e32 v10, v10, v28
	v_fma_f32 v36, 0x3fb8aa3b, v2, -v14
	v_dual_fmac_f32 v79, 0x32a5705f, v6 :: v_dual_sub_f32 v14, v14, v37
	v_dual_add_f32 v11, v11, v30 :: v_dual_sub_f32 v24, v24, v80
	v_add_f32_e32 v15, v15, v38
	v_cndmask_b32_e32 v9, 0, v9, vcc_lo
	v_exp_f32_e32 v10, v10
	v_fma_f32 v32, 0x3fb8aa3b, v0, -v12
	v_rndne_f32_e32 v33, v12
	v_cvt_i32_f32_e32 v29, v29
	v_exp_f32_e32 v11, v11
	v_exp_f32_e32 v15, v15
	v_fma_f32 v81, 0x3fb8aa3b, v8, -v25
	v_rndne_f32_e32 v82, v25
	v_cvt_i32_f32_e32 v31, v31
	v_fmac_f32_e32 v32, 0x32a5705f, v0
	s_delay_alu instid0(VALU_DEP_4)
	v_dual_sub_f32 v12, v12, v33 :: v_dual_fmac_f32 v81, 0x32a5705f, v8
	v_cvt_i32_f32_e32 v39, v39
	v_ldexp_f32 v10, v10, v29
	v_cmp_ngt_f32_e32 vcc_lo, 0xc2ce8ed0, v5
	v_sub_f32_e32 v25, v25, v82
	v_ldexp_f32 v11, v11, v31
	v_ldexp_f32 v15, v15, v39
	v_cvt_i32_f32_e32 v33, v33
	v_cndmask_b32_e32 v10, 0, v10, vcc_lo
	v_cmp_ngt_f32_e32 vcc_lo, 0xc2ce8ed0, v7
	v_add_f32_e32 v12, v12, v32
	v_exp_f32_e32 v13, v13
	v_cvt_i32_f32_e32 v35, v35
	v_dual_fmac_f32 v36, 0x32a5705f, v2 :: v_dual_add_f32 v25, v25, v81
	v_cndmask_b32_e32 v11, 0, v11, vcc_lo
	v_exp_f32_e32 v12, v12
	v_cmp_ngt_f32_e32 vcc_lo, 0xc2ce8ed0, v0
	v_cvt_i32_f32_e32 v26, v82
	v_exp_f32_e32 v25, v25
	v_cvt_i32_f32_e32 v37, v37
	s_delay_alu instid0(TRANS32_DEP_3) | instskip(SKIP_1) | instid1(TRANS32_DEP_2)
	v_ldexp_f32 v13, v13, v35
	v_cvt_i32_f32_e32 v80, v80
	v_ldexp_f32 v12, v12, v33
	s_waitcnt_depctr 0xfff
	v_ldexp_f32 v25, v25, v26
	v_add_f32_e32 v24, v24, v79
	v_cndmask_b32_e32 v12, 0, v12, vcc_lo
	v_cmp_ngt_f32_e32 vcc_lo, 0xc2ce8ed0, v1
	v_add_f32_e32 v14, v14, v36
	s_delay_alu instid0(VALU_DEP_4) | instskip(SKIP_1) | instid1(VALU_DEP_2)
	v_exp_f32_e32 v24, v24
	v_cndmask_b32_e32 v13, 0, v13, vcc_lo
	v_exp_f32_e32 v14, v14
	v_cmp_ngt_f32_e32 vcc_lo, 0xc2ce8ed0, v2
	s_waitcnt_depctr 0xfff
	v_ldexp_f32 v24, v24, v80
	v_ldexp_f32 v14, v14, v37
	s_delay_alu instid0(VALU_DEP_1)
	v_cndmask_b32_e32 v14, 0, v14, vcc_lo
	v_cmp_ngt_f32_e32 vcc_lo, 0xc2ce8ed0, v3
	v_cndmask_b32_e32 v15, 0, v15, vcc_lo
	v_cmp_ngt_f32_e32 vcc_lo, 0xc2ce8ed0, v6
	;; [unrolled: 2-line block ×3, first 2 shown]
	v_cndmask_b32_e32 v25, 0, v25, vcc_lo
	v_cmp_nlt_f32_e32 vcc_lo, 0x42b17218, v4
	v_cndmask_b32_e32 v26, 0x7f800000, v9, vcc_lo
	v_cmp_nlt_f32_e32 vcc_lo, 0x42b17218, v5
	;; [unrolled: 2-line block ×4, first 2 shown]
	ds_bpermute_b32 v30, v104, v28
	v_cndmask_b32_e32 v32, 0x7f800000, v12, vcc_lo
	v_cmp_nlt_f32_e32 vcc_lo, 0x42b17218, v1
	v_add_f32_e32 v1, v26, v27
	v_cndmask_b32_e32 v33, 0x7f800000, v13, vcc_lo
	v_cmp_nlt_f32_e32 vcc_lo, 0x42b17218, v2
	v_cndmask_b32_e32 v34, 0x7f800000, v14, vcc_lo
	v_cmp_nlt_f32_e32 vcc_lo, 0x42b17218, v3
	ds_bpermute_b32 v80, v104, v34
	v_cndmask_b32_e32 v35, 0x7f800000, v15, vcc_lo
	v_cmp_nlt_f32_e32 vcc_lo, 0x42b17218, v8
	v_cndmask_b32_e32 v0, 0x7f800000, v25, vcc_lo
	v_cmp_nlt_f32_e32 vcc_lo, 0x42b17218, v6
	v_cndmask_b32_e32 v36, 0x7f800000, v24, vcc_lo
	v_cmp_le_f32_e32 vcc_lo, 0xc1a00000, v8
	ds_bpermute_b32 v82, v104, v36
	v_dual_cndmask_b32 v37, 0, v0 :: v_dual_add_f32 v0, v28, v1
	ds_bpermute_b32 v24, v104, v27
	v_cmp_eq_u32_e32 vcc_lo, 0, v144
	v_cvt_f16_f32_e32 v79, v37
	v_add_f32_e32 v83, v32, v0
	ds_bpermute_b32 v12, v104, v26
	v_pk_mul_f16 v8, v79, v56 op_sel_hi:[0,1]
	v_pk_mul_f16 v9, v79, v57 op_sel_hi:[0,1]
	;; [unrolled: 1-line block ×17, first 2 shown]
	s_waitcnt lgkmcnt(0)
	v_cndmask_b32_e32 v56, v26, v12, vcc_lo
	v_cndmask_b32_e64 v57, v26, v12, s0
	v_pk_mul_f16 v12, v79, v60 op_sel_hi:[0,1]
	v_pk_mul_f16 v17, v79, v17 op_sel_hi:[0,1]
	;; [unrolled: 1-line block ×3, first 2 shown]
	v_cndmask_b32_e64 v25, v56, v27, s1
	v_cndmask_b32_e64 v26, v57, v27, s2
	v_pk_mul_f16 v27, v79, v43 op_sel_hi:[0,1]
	v_add_f32_e32 v43, v33, v83
	ds_bpermute_b32 v38, v104, v32
	v_cndmask_b32_e32 v58, v25, v24, vcc_lo
	v_cndmask_b32_e64 v59, v26, v24, s0
	v_pk_mul_f16 v24, v79, v40 op_sel_hi:[0,1]
	v_pk_mul_f16 v25, v79, v41 op_sel_hi:[0,1]
	;; [unrolled: 1-line block ×3, first 2 shown]
	v_cndmask_b32_e64 v31, v58, v28, s1
	v_cndmask_b32_e64 v40, v59, v28, s2
	v_pk_mul_f16 v28, v79, v44 op_sel_hi:[0,1]
	v_cvt_f16_f32_e32 v44, v57
	v_pk_mul_f16 v19, v79, v19 op_sel_hi:[0,1]
	v_cndmask_b32_e32 v41, v31, v30, vcc_lo
	v_cndmask_b32_e64 v40, v40, v30, s0
	v_pk_mul_f16 v31, v79, v47 op_sel_hi:[0,1]
	v_pk_mul_f16 v30, v79, v46 op_sel_hi:[0,1]
	;; [unrolled: 1-line block ×3, first 2 shown]
	v_cndmask_b32_e64 v42, v41, v32, s1
	v_cndmask_b32_e64 v32, v40, v32, s2
	v_cvt_f16_f32_e32 v41, v41
	v_cvt_f16_f32_e32 v40, v40
	v_pk_mul_f16 v21, v79, v21 op_sel_hi:[0,1]
	s_waitcnt lgkmcnt(0)
	v_cndmask_b32_e32 v42, v42, v38, vcc_lo
	v_cndmask_b32_e64 v38, v32, v38, s0
	v_add_f32_e32 v32, v34, v43
	ds_bpermute_b32 v39, v104, v33
	v_pk_mul_f16 v22, v79, v22 op_sel_hi:[0,1]
	v_cndmask_b32_e64 v43, v42, v33, s1
	v_cndmask_b32_e64 v33, v38, v33, s2
	v_add_f32_e32 v32, v35, v32
	v_cvt_f16_f32_e32 v38, v38
	v_pk_mul_f16 v23, v79, v23 op_sel_hi:[0,1]
	s_delay_alu instid0(VALU_DEP_3)
	v_add_f32_e32 v106, v36, v32
	ds_bpermute_b32 v81, v104, v35
	v_fmac_f32_e32 v106, v173, v37
	ds_bpermute_b32 v107, v104, v106
	s_waitcnt lgkmcnt(2)
	v_cndmask_b32_e32 v43, v43, v39, vcc_lo
	v_cndmask_b32_e64 v39, v33, v39, s0
	v_cvt_f16_f32_e32 v33, v56
	s_delay_alu instid0(VALU_DEP_3) | instskip(NEXT) | instid1(VALU_DEP_3)
	v_cndmask_b32_e64 v45, v43, v34, s1
	v_cndmask_b32_e64 v34, v39, v34, s2
	s_delay_alu instid0(VALU_DEP_3)
	v_pack_b32_f16 v32, v33, v44
	v_cvt_f16_f32_e32 v33, v58
	v_cvt_f16_f32_e32 v39, v39
	v_cndmask_b32_e32 v37, v45, v80, vcc_lo
	v_cndmask_b32_e64 v44, v34, v80, s0
	v_cvt_f16_f32_e32 v34, v59
	ds_load_2addr_b32 v[47:48], v72 offset1:16
	ds_load_2addr_b32 v[49:50], v72 offset0:68 offset1:84
	ds_load_2addr_b32 v[51:52], v72 offset0:136 offset1:152
	;; [unrolled: 1-line block ×31, first 2 shown]
	s_waitcnt lgkmcnt(30)
	v_perm_b32 v72, v49, v47, 0x5040100
	v_cndmask_b32_e64 v45, v37, v35, s1
	v_cndmask_b32_e64 v35, v44, v35, s2
	v_pack_b32_f16 v33, v33, v34
	v_pack_b32_f16 v34, v41, v40
	v_cvt_f16_f32_e32 v40, v42
	v_cndmask_b32_e32 v45, v45, v81, vcc_lo
	v_cndmask_b32_e64 v35, v35, v81, s0
	v_cvt_f16_f32_e32 v42, v43
	v_cvt_f16_f32_e32 v37, v37
	;; [unrolled: 1-line block ×3, first 2 shown]
	v_cndmask_b32_e64 v41, v45, v36, s1
	v_cndmask_b32_e64 v36, v35, v36, s2
	v_cvt_f16_f32_e32 v44, v45
	v_cvt_f16_f32_e32 v45, v35
	v_pack_b32_f16 v35, v40, v38
	v_cndmask_b32_e32 v41, v41, v82, vcc_lo
	v_cndmask_b32_e64 v36, v36, v82, s0
	v_pack_b32_f16 v37, v37, v43
	v_pack_b32_f16 v38, v44, v45
	v_perm_b32 v40, v49, v47, 0x7060302
	v_cvt_f16_f32_e32 v41, v41
	v_cvt_f16_f32_e32 v46, v36
	v_pack_b32_f16 v36, v42, v39
	s_waitcnt lgkmcnt(28)
	v_perm_b32 v73, v53, v51, 0x5040100
	s_waitcnt lgkmcnt(26)
	v_perm_b32 v74, v57, v55, 0x5040100
	v_perm_b32 v42, v57, v55, 0x7060302
	v_pack_b32_f16 v39, v41, v46
	v_perm_b32 v41, v53, v51, 0x7060302
	s_waitcnt lgkmcnt(24)
	v_perm_b32 v75, v61, v59, 0x5040100
	v_perm_b32 v43, v61, v59, 0x7060302
	s_waitcnt lgkmcnt(22)
	v_perm_b32 v76, v65, v63, 0x5040100
	;; [unrolled: 3-line block ×5, first 2 shown]
	v_perm_b32 v47, v92, v90, 0x7060302
	v_perm_b32 v80, v50, v48, 0x5040100
	v_perm_b32 v48, v50, v48, 0x7060302
	v_perm_b32 v81, v54, v52, 0x5040100
	v_perm_b32 v49, v54, v52, 0x7060302
	v_perm_b32 v82, v58, v56, 0x5040100
	v_perm_b32 v50, v58, v56, 0x7060302
	v_perm_b32 v83, v62, v60, 0x5040100
	v_perm_b32 v51, v62, v60, 0x7060302
	v_perm_b32 v84, v66, v64, 0x5040100
	v_perm_b32 v52, v66, v64, 0x7060302
	v_perm_b32 v85, v70, v68, 0x5040100
	v_perm_b32 v53, v70, v68, 0x7060302
	v_perm_b32 v86, v89, v87, 0x5040100
	v_perm_b32 v54, v89, v87, 0x7060302
	v_perm_b32 v87, v93, v91, 0x5040100
	v_perm_b32 v55, v93, v91, 0x7060302
	s_waitcnt lgkmcnt(14)
	v_perm_b32 v88, v98, v96, 0x5040100
	v_perm_b32 v56, v98, v96, 0x7060302
	s_waitcnt lgkmcnt(12)
	v_perm_b32 v89, v102, v100, 0x5040100
	v_perm_b32 v57, v102, v100, 0x7060302
	;; [unrolled: 3-line block ×8, first 2 shown]
	v_perm_b32 v96, v99, v97, 0x5040100
	v_perm_b32 v64, v99, v97, 0x7060302
	;; [unrolled: 1-line block ×16, first 2 shown]
	v_cmp_gt_u32_e32 vcc_lo, 16, v251
	s_barrier
	buffer_gl0_inv
	s_and_saveexec_b32 s0, vcc_lo
	s_cbranch_execz .LBB24_319
; %bb.318:
	v_or_b32_e32 v108, v253, v251
	v_add_f32_e32 v106, v106, v107
	s_delay_alu instid0(VALU_DEP_2)
	v_mad_u32_u24 v108, 0x110, v108, 0
	ds_store_2addr_b32 v108, v105, v106 offset0:64 offset1:65
.LBB24_319:
	s_or_b32 exec_lo, exec_lo, s0
	v_wmma_f16_16x16x16_f16 v[0:7], v[72:79], v[32:39], v[0:7]
	scratch_load_b32 v72, off, off offset:448 ; 4-byte Folded Reload
	v_wmma_f16_16x16x16_f16 v[8:15], v[80:87], v[32:39], v[8:15]
	v_wmma_f16_16x16x16_f16 v[24:31], v[88:95], v[32:39], v[24:31]
	;; [unrolled: 1-line block ×3, first 2 shown]
	s_waitcnt vmcnt(0) lgkmcnt(0)
	s_barrier
	buffer_gl0_inv
	v_cmp_eq_u32_e64 s0, 0, v72
	v_cmp_eq_u32_e64 s1, 1, v72
	s_delay_alu instid0(VALU_DEP_1) | instskip(NEXT) | instid1(SALU_CYCLE_1)
	s_and_saveexec_b32 s2, s1
	s_xor_b32 s1, exec_lo, s2
	s_cbranch_execz .LBB24_321
; %bb.320:
	s_barrier
	buffer_gl0_inv
                                        ; implicit-def: $vgpr104
                                        ; implicit-def: $vgpr254
.LBB24_321:
	s_or_saveexec_b32 s4, s1
	v_wmma_f16_16x16x16_f16 v[0:7], v[40:47], v[32:39], v[0:7] op_sel:[0,0,1]
	v_wmma_f16_16x16x16_f16 v[8:15], v[48:55], v[32:39], v[8:15] op_sel:[0,0,1]
	;; [unrolled: 1-line block ×4, first 2 shown]
	s_xor_b32 exec_lo, exec_lo, s4
	s_cbranch_execz .LBB24_325
; %bb.322:
	v_add_nc_u32_e32 v32, v253, v251
	s_mov_b32 s3, 0
	s_delay_alu instid0(VALU_DEP_1)
	v_mad_u32_u24 v36, 0x110, v32, 0
	ds_load_b64 v[34:35], v36 offset:256
	s_waitcnt lgkmcnt(0)
	s_barrier
	buffer_gl0_inv
	v_max_f32_e32 v33, v34, v34
	ds_bpermute_b32 v32, v104, v34
	s_waitcnt lgkmcnt(0)
	v_max_f32_e32 v32, v32, v32
	s_delay_alu instid0(VALU_DEP_1) | instskip(NEXT) | instid1(VALU_DEP_1)
	v_max_f32_e32 v32, v33, v32
	v_sub_f32_e32 v33, v34, v32
	s_delay_alu instid0(VALU_DEP_1) | instskip(SKIP_1) | instid1(VALU_DEP_2)
	v_mul_f32_e32 v34, 0x3fb8aa3b, v33
	v_cmp_ngt_f32_e64 s1, 0xc2ce8ed0, v33
	v_fma_f32 v37, 0x3fb8aa3b, v33, -v34
	v_rndne_f32_e32 v38, v34
	s_delay_alu instid0(VALU_DEP_1) | instskip(NEXT) | instid1(VALU_DEP_1)
	v_dual_fmamk_f32 v37, v33, 0x32a5705f, v37 :: v_dual_sub_f32 v34, v34, v38
	v_add_f32_e32 v34, v34, v37
	v_cvt_i32_f32_e32 v37, v38
	s_delay_alu instid0(VALU_DEP_2) | instskip(SKIP_2) | instid1(VALU_DEP_1)
	v_exp_f32_e32 v34, v34
	s_waitcnt_depctr 0xfff
	v_ldexp_f32 v34, v34, v37
	v_cndmask_b32_e64 v34, 0, v34, s1
	v_cmp_nlt_f32_e64 s1, 0x42b17218, v33
	s_delay_alu instid0(VALU_DEP_1) | instskip(NEXT) | instid1(VALU_DEP_1)
	v_cndmask_b32_e64 v33, 0x7f800000, v34, s1
	v_mul_f32_e32 v34, v35, v33
	ds_bpermute_b32 v34, v104, v34
	s_waitcnt lgkmcnt(0)
	v_fmac_f32_e32 v34, v35, v33
	ds_store_b64 v36, v[33:34] offset:256
	s_and_saveexec_b32 s1, vcc_lo
	s_cbranch_execz .LBB24_324
; %bb.323:
	v_or_b32_e32 v33, v254, v251
	s_add_i32 s2, s14, s15
	s_delay_alu instid0(SALU_CYCLE_1) | instskip(NEXT) | instid1(SALU_CYCLE_1)
	s_lshl_b32 s2, s2, 4
	s_lshl_b64 s[2:3], s[2:3], 3
	s_delay_alu instid0(VALU_DEP_1)
	v_lshlrev_b32_e32 v35, 3, v33
	v_mov_b32_e32 v33, v34
	s_add_u32 s2, s30, s2
	s_addc_u32 s3, s31, s3
	global_store_b64 v35, v[32:33], s[2:3]
.LBB24_324:
	s_or_b32 exec_lo, exec_lo, s1
.LBB24_325:
	s_delay_alu instid0(SALU_CYCLE_1) | instskip(SKIP_2) | instid1(VALU_DEP_1)
	s_or_b32 exec_lo, exec_lo, s4
	v_or_b32_e32 v32, v253, v142
	s_mov_b32 s1, 0
	v_mad_u32_u24 v32, 0x44, v32, v143
	s_delay_alu instid0(VALU_DEP_1)
	v_lshl_add_u32 v32, v32, 2, 0
	ds_store_2addr_b32 v32, v0, v1 offset1:2
	ds_store_2addr_b32 v32, v2, v3 offset0:4 offset1:6
	ds_store_2addr_b32 v32, v4, v5 offset0:8 offset1:10
	;; [unrolled: 1-line block ×15, first 2 shown]
	s_waitcnt lgkmcnt(0)
	s_waitcnt_vscnt null, 0x0
	s_barrier
	buffer_gl0_inv
	s_and_saveexec_b32 s2, s0
	s_cbranch_execz .LBB24_327
; %bb.326:
	v_lshrrev_b32_e32 v0, 1, v252
	v_bfe_u32 v1, v252, 1, 4
	v_lshlrev_b32_e32 v8, 5, v252
	s_lshl_b32 s0, s14, 5
	s_delay_alu instid0(SALU_CYCLE_1)
	s_lshl_b64 s[4:5], s[0:1], 3
	v_add_nc_u32_e32 v14, 1, v0
	v_and_or_b32 v2, 0x3e0, v252, v1
	v_lshlrev_b32_e32 v1, 2, v251
	v_add_nc_u32_e32 v18, 2, v0
	v_add_lshl_u32 v19, v251, v8, 3
	v_lshlrev_b32_e32 v3, 1, v14
	v_and_b32_e32 v4, 15, v14
	v_mad_u32_u24 v2, 0x110, v2, 0
	v_lshlrev_b32_e32 v10, 1, v18
	v_and_b32_e32 v11, 15, v18
	v_lshlrev_b32_e32 v21, 6, v14
	v_and_or_b32 v7, 0x7e0, v3, v4
	v_add_nc_u32_e32 v6, v2, v1
	ds_load_2addr_stride64_b32 v[2:3], v2 offset0:1 offset1:18
	ds_load_2addr_b32 v[4:5], v6 offset1:32
	v_mad_u32_u24 v9, 0x110, v7, 0
	v_add_nc_u32_e32 v6, 0x1000, v6
	v_and_or_b32 v13, 0x7e0, v10, v11
	s_add_u32 s3, s30, s4
	s_addc_u32 s4, s31, s5
	v_add_nc_u32_e32 v12, v9, v1
	ds_load_2addr_b32 v[6:7], v6 offset0:64 offset1:96
	ds_load_2addr_stride64_b32 v[8:9], v9 offset0:1 offset1:18
	ds_load_2addr_b32 v[10:11], v12 offset1:32
	v_add_nc_u32_e32 v12, 0x1000, v12
	v_mad_u32_u24 v16, 0x110, v13, 0
	s_lshl_b32 s0, s15, 10
	v_add_nc_u32_e32 v20, 3, v0
	s_lshl_b64 s[0:1], s[0:1], 3
	ds_load_2addr_b32 v[12:13], v12 offset0:64 offset1:96
	ds_load_2addr_stride64_b32 v[14:15], v16 offset0:1 offset1:18
	v_add_nc_u32_e32 v22, v16, v1
	s_add_u32 s0, s3, s0
	s_waitcnt lgkmcnt(5)
	v_fma_mix_f32 v16, v2, v4, 0 op_sel_hi:[0,1,0]
	v_fma_mix_f32 v17, v2, v4, 0 op_sel:[0,1,0] op_sel_hi:[0,1,0]
	v_fma_mix_f32 v23, v2, v5, 0 op_sel_hi:[0,1,0]
	v_fma_mix_f32 v24, v2, v5, 0 op_sel:[0,1,0] op_sel_hi:[0,1,0]
	ds_load_2addr_b32 v[4:5], v22 offset1:32
	s_addc_u32 s1, s4, s1
	v_add_nc_u32_e32 v22, 0x1000, v22
	s_waitcnt lgkmcnt(5)
	v_fma_mix_f32 v16, v3, v6, v16 op_sel_hi:[0,1,0]
	v_fma_mix_f32 v17, v3, v6, v17 op_sel:[0,1,0] op_sel_hi:[0,1,0]
	v_fma_mix_f32 v2, v3, v7, v23 op_sel_hi:[0,1,0]
	s_waitcnt lgkmcnt(3)
	v_fma_mix_f32 v6, v8, v10, 0 op_sel_hi:[0,1,0]
	v_fma_mix_f32 v3, v3, v7, v24 op_sel:[0,1,0] op_sel_hi:[0,1,0]
	v_fma_mix_f32 v7, v8, v10, 0 op_sel:[0,1,0] op_sel_hi:[0,1,0]
	s_clause 0x1
	global_store_b64 v19, v[16:17], s[0:1]
	global_store_b64 v19, v[2:3], s[0:1] offset:256
	s_waitcnt lgkmcnt(2)
	v_fma_mix_f32 v2, v9, v12, v6 op_sel_hi:[0,1,0]
	v_add_co_u32 v6, s3, v251, v21
	v_fma_mix_f32 v10, v8, v11, 0 op_sel_hi:[0,1,0]
	v_fma_mix_f32 v3, v9, v12, v7 op_sel:[0,1,0] op_sel_hi:[0,1,0]
	v_add_co_ci_u32_e64 v7, null, 0, 0, s3
	v_lshlrev_b32_e32 v12, 1, v20
	v_and_b32_e32 v19, 15, v20
	ds_load_2addr_b32 v[16:17], v22 offset0:64 offset1:96
	v_fma_mix_f32 v11, v8, v11, 0 op_sel:[0,1,0] op_sel_hi:[0,1,0]
	v_lshlrev_b64 v[6:7], 3, v[6:7]
	v_fma_mix_f32 v8, v9, v13, v10 op_sel_hi:[0,1,0]
	v_and_or_b32 v10, 0x7e0, v12, v19
	v_add_lshl_u32 v21, v251, v21, 3
	v_fma_mix_f32 v9, v9, v13, v11 op_sel:[0,1,0] op_sel_hi:[0,1,0]
	v_lshlrev_b32_e32 v18, 6, v18
	v_add_co_u32 v6, vcc_lo, s0, v6
	v_mad_u32_u24 v10, 0x110, v10, 0
	v_add_co_ci_u32_e32 v7, vcc_lo, s1, v7, vcc_lo
	global_store_b64 v21, v[2:3], s[0:1]
	s_waitcnt lgkmcnt(1)
	v_fma_mix_f32 v2, v14, v4, 0 op_sel_hi:[0,1,0]
	v_fma_mix_f32 v3, v14, v4, 0 op_sel:[0,1,0] op_sel_hi:[0,1,0]
	v_add_nc_u32_e32 v4, v10, v1
	global_store_b64 v[6:7], v[8:9], off offset:256
	ds_load_2addr_stride64_b32 v[6:7], v10 offset0:1 offset1:18
	ds_load_2addr_b32 v[8:9], v4 offset1:32
	v_add_nc_u32_e32 v19, 4, v0
	v_add_co_u32 v10, s3, v251, v18
	v_add_nc_u32_e32 v4, 0x1000, v4
	s_waitcnt lgkmcnt(2)
	v_fma_mix_f32 v2, v15, v16, v2 op_sel_hi:[0,1,0]
	v_fma_mix_f32 v3, v15, v16, v3 op_sel:[0,1,0] op_sel_hi:[0,1,0]
	v_fma_mix_f32 v16, v14, v5, 0 op_sel_hi:[0,1,0]
	v_add_co_ci_u32_e64 v11, null, 0, 0, s3
	v_fma_mix_f32 v14, v14, v5, 0 op_sel:[0,1,0] op_sel_hi:[0,1,0]
	v_lshlrev_b32_e32 v21, 1, v19
	v_and_b32_e32 v22, 15, v19
	ds_load_2addr_b32 v[12:13], v4 offset0:64 offset1:96
	v_lshlrev_b64 v[4:5], 3, v[10:11]
	v_fma_mix_f32 v11, v15, v17, v14 op_sel:[0,1,0] op_sel_hi:[0,1,0]
	v_add_lshl_u32 v18, v251, v18, 3
	v_and_or_b32 v14, 0x7e0, v21, v22
	v_fma_mix_f32 v10, v15, v17, v16 op_sel_hi:[0,1,0]
	v_add_co_u32 v4, vcc_lo, s0, v4
	s_delay_alu instid0(VALU_DEP_3)
	v_mad_u32_u24 v14, 0x110, v14, 0
	v_add_co_ci_u32_e32 v5, vcc_lo, s1, v5, vcc_lo
	global_store_b64 v18, v[2:3], s[0:1]
	s_waitcnt lgkmcnt(1)
	v_fma_mix_f32 v2, v6, v8, 0 op_sel_hi:[0,1,0]
	v_fma_mix_f32 v3, v6, v8, 0 op_sel:[0,1,0] op_sel_hi:[0,1,0]
	v_add_nc_u32_e32 v8, v14, v1
	v_lshlrev_b32_e32 v18, 6, v20
	global_store_b64 v[4:5], v[10:11], off offset:256
	ds_load_2addr_stride64_b32 v[4:5], v14 offset0:1 offset1:18
	ds_load_2addr_b32 v[10:11], v8 offset1:32
	v_add_nc_u32_e32 v20, 5, v0
	v_add_co_u32 v14, s3, v251, v18
	s_waitcnt lgkmcnt(2)
	v_fma_mix_f32 v2, v7, v12, v2 op_sel_hi:[0,1,0]
	v_fma_mix_f32 v3, v7, v12, v3 op_sel:[0,1,0] op_sel_hi:[0,1,0]
	v_fma_mix_f32 v12, v6, v9, 0 op_sel_hi:[0,1,0]
	v_add_nc_u32_e32 v8, 0x1000, v8
	v_add_co_ci_u32_e64 v15, null, 0, 0, s3
	v_lshlrev_b32_e32 v22, 1, v20
	v_and_b32_e32 v23, 15, v20
	ds_load_2addr_b32 v[16:17], v8 offset0:64 offset1:96
	v_fma_mix_f32 v21, v6, v9, 0 op_sel:[0,1,0] op_sel_hi:[0,1,0]
	v_lshlrev_b64 v[8:9], 3, v[14:15]
	v_fma_mix_f32 v6, v7, v13, v12 op_sel_hi:[0,1,0]
	v_and_or_b32 v12, 0x7e0, v22, v23
	v_add_lshl_u32 v14, v251, v18, 3
	v_fma_mix_f32 v7, v7, v13, v21 op_sel:[0,1,0] op_sel_hi:[0,1,0]
	v_lshlrev_b32_e32 v18, 6, v19
	v_add_co_u32 v8, vcc_lo, s0, v8
	v_mad_u32_u24 v12, 0x110, v12, 0
	v_add_co_ci_u32_e32 v9, vcc_lo, s1, v9, vcc_lo
	global_store_b64 v14, v[2:3], s[0:1]
	s_waitcnt lgkmcnt(1)
	v_fma_mix_f32 v2, v4, v10, 0 op_sel_hi:[0,1,0]
	v_fma_mix_f32 v3, v4, v10, 0 op_sel:[0,1,0] op_sel_hi:[0,1,0]
	v_add_nc_u32_e32 v10, v12, v1
	global_store_b64 v[8:9], v[6:7], off offset:256
	ds_load_2addr_stride64_b32 v[6:7], v12 offset0:1 offset1:18
	ds_load_2addr_b32 v[8:9], v10 offset1:32
	v_add_nc_u32_e32 v19, 6, v0
	v_add_co_u32 v12, s3, v251, v18
	v_add_nc_u32_e32 v10, 0x1000, v10
	v_add_co_ci_u32_e64 v13, null, 0, 0, s3
	s_delay_alu instid0(VALU_DEP_4)
	v_lshlrev_b32_e32 v22, 1, v19
	v_and_b32_e32 v23, 15, v19
	s_waitcnt lgkmcnt(2)
	v_fma_mix_f32 v2, v5, v16, v2 op_sel_hi:[0,1,0]
	v_fma_mix_f32 v3, v5, v16, v3 op_sel:[0,1,0] op_sel_hi:[0,1,0]
	v_fma_mix_f32 v16, v4, v11, 0 op_sel_hi:[0,1,0]
	ds_load_2addr_b32 v[14:15], v10 offset0:64 offset1:96
	v_fma_mix_f32 v21, v4, v11, 0 op_sel:[0,1,0] op_sel_hi:[0,1,0]
	v_lshlrev_b64 v[10:11], 3, v[12:13]
	v_add_lshl_u32 v12, v251, v18, 3
	v_and_or_b32 v13, 0x7e0, v22, v23
	v_fma_mix_f32 v4, v5, v17, v16 op_sel_hi:[0,1,0]
	v_fma_mix_f32 v5, v5, v17, v21 op_sel:[0,1,0] op_sel_hi:[0,1,0]
	v_lshlrev_b32_e32 v18, 6, v20
	global_store_b64 v12, v[2:3], s[0:1]
	v_mad_u32_u24 v12, 0x110, v13, 0
	v_add_co_u32 v10, vcc_lo, s0, v10
	v_add_co_ci_u32_e32 v11, vcc_lo, s1, v11, vcc_lo
	s_waitcnt lgkmcnt(1)
	v_fma_mix_f32 v2, v6, v8, 0 op_sel_hi:[0,1,0]
	v_fma_mix_f32 v3, v6, v8, 0 op_sel:[0,1,0] op_sel_hi:[0,1,0]
	v_add_nc_u32_e32 v8, v12, v1
	global_store_b64 v[10:11], v[4:5], off offset:256
	ds_load_2addr_stride64_b32 v[4:5], v12 offset0:1 offset1:18
	ds_load_2addr_b32 v[10:11], v8 offset1:32
	v_add_nc_u32_e32 v20, 7, v0
	v_add_co_u32 v12, s3, v251, v18
	v_add_nc_u32_e32 v8, 0x1000, v8
	v_add_co_ci_u32_e64 v13, null, 0, 0, s3
	s_delay_alu instid0(VALU_DEP_4)
	v_lshlrev_b32_e32 v22, 1, v20
	v_and_b32_e32 v23, 15, v20
	s_waitcnt lgkmcnt(2)
	v_fma_mix_f32 v2, v7, v14, v2 op_sel_hi:[0,1,0]
	v_fma_mix_f32 v3, v7, v14, v3 op_sel:[0,1,0] op_sel_hi:[0,1,0]
	v_fma_mix_f32 v14, v6, v9, 0 op_sel_hi:[0,1,0]
	ds_load_2addr_b32 v[16:17], v8 offset0:64 offset1:96
	v_fma_mix_f32 v21, v6, v9, 0 op_sel:[0,1,0] op_sel_hi:[0,1,0]
	v_lshlrev_b64 v[8:9], 3, v[12:13]
	v_add_lshl_u32 v12, v251, v18, 3
	v_and_or_b32 v13, 0x7e0, v22, v23
	v_fma_mix_f32 v6, v7, v15, v14 op_sel_hi:[0,1,0]
	v_fma_mix_f32 v7, v7, v15, v21 op_sel:[0,1,0] op_sel_hi:[0,1,0]
	v_lshlrev_b32_e32 v18, 6, v19
	global_store_b64 v12, v[2:3], s[0:1]
	v_mad_u32_u24 v12, 0x110, v13, 0
	v_add_co_u32 v8, vcc_lo, s0, v8
	v_add_co_ci_u32_e32 v9, vcc_lo, s1, v9, vcc_lo
	;; [unrolled: 30-line block ×5, first 2 shown]
	s_waitcnt lgkmcnt(1)
	v_fma_mix_f32 v2, v6, v8, 0 op_sel_hi:[0,1,0]
	v_fma_mix_f32 v3, v6, v8, 0 op_sel:[0,1,0] op_sel_hi:[0,1,0]
	v_add_nc_u32_e32 v8, v12, v1
	global_store_b64 v[10:11], v[4:5], off offset:256
	ds_load_2addr_stride64_b32 v[4:5], v12 offset0:1 offset1:18
	ds_load_2addr_b32 v[10:11], v8 offset1:32
	v_add_nc_u32_e32 v20, 11, v0
	v_add_co_u32 v12, s3, v251, v18
	v_add_nc_u32_e32 v8, 0x1000, v8
	v_add_co_ci_u32_e64 v13, null, 0, 0, s3
	s_delay_alu instid0(VALU_DEP_4)
	v_lshlrev_b32_e32 v22, 1, v20
	v_and_b32_e32 v23, 15, v20
	s_waitcnt lgkmcnt(2)
	v_fma_mix_f32 v2, v7, v14, v2 op_sel_hi:[0,1,0]
	v_fma_mix_f32 v3, v7, v14, v3 op_sel:[0,1,0] op_sel_hi:[0,1,0]
	v_fma_mix_f32 v14, v6, v9, 0 op_sel_hi:[0,1,0]
	ds_load_2addr_b32 v[16:17], v8 offset0:64 offset1:96
	v_fma_mix_f32 v21, v6, v9, 0 op_sel:[0,1,0] op_sel_hi:[0,1,0]
	v_lshlrev_b64 v[8:9], 3, v[12:13]
	v_and_or_b32 v13, 0x7e0, v22, v23
	v_add_lshl_u32 v12, v251, v18, 3
	v_fma_mix_f32 v6, v7, v15, v14 op_sel_hi:[0,1,0]
	v_fma_mix_f32 v7, v7, v15, v21 op_sel:[0,1,0] op_sel_hi:[0,1,0]
	v_lshlrev_b32_e32 v18, 6, v19
	v_mad_u32_u24 v13, 0x110, v13, 0
	v_add_co_u32 v8, vcc_lo, s0, v8
	v_add_co_ci_u32_e32 v9, vcc_lo, s1, v9, vcc_lo
	global_store_b64 v12, v[2:3], s[0:1]
	s_waitcnt lgkmcnt(1)
	v_fma_mix_f32 v2, v4, v10, 0 op_sel_hi:[0,1,0]
	v_fma_mix_f32 v3, v4, v10, 0 op_sel:[0,1,0] op_sel_hi:[0,1,0]
	v_add_nc_u32_e32 v10, v13, v1
	global_store_b64 v[8:9], v[6:7], off offset:256
	ds_load_2addr_stride64_b32 v[6:7], v13 offset0:1 offset1:18
	ds_load_2addr_b32 v[8:9], v10 offset1:32
	v_add_nc_u32_e32 v10, 0x1000, v10
	v_add_nc_u32_e32 v19, 12, v0
	v_add_co_u32 v12, s3, v251, v18
	s_delay_alu instid0(VALU_DEP_1)
	v_add_co_ci_u32_e64 v13, null, 0, 0, s3
	ds_load_2addr_b32 v[14:15], v10 offset0:64 offset1:96
	v_lshlrev_b32_e32 v22, 1, v19
	v_and_b32_e32 v23, 15, v19
	s_waitcnt lgkmcnt(3)
	v_fma_mix_f32 v2, v5, v16, v2 op_sel_hi:[0,1,0]
	v_fma_mix_f32 v3, v5, v16, v3 op_sel:[0,1,0] op_sel_hi:[0,1,0]
	v_fma_mix_f32 v16, v4, v11, 0 op_sel_hi:[0,1,0]
	v_fma_mix_f32 v21, v4, v11, 0 op_sel:[0,1,0] op_sel_hi:[0,1,0]
	v_lshlrev_b64 v[10:11], 3, v[12:13]
	v_add_lshl_u32 v12, v251, v18, 3
	v_and_or_b32 v13, 0x7e0, v22, v23
	v_fma_mix_f32 v4, v5, v17, v16 op_sel_hi:[0,1,0]
	v_fma_mix_f32 v5, v5, v17, v21 op_sel:[0,1,0] op_sel_hi:[0,1,0]
	global_store_b64 v12, v[2:3], s[0:1]
	s_waitcnt lgkmcnt(1)
	v_fma_mix_f32 v2, v6, v8, 0 op_sel_hi:[0,1,0]
	v_fma_mix_f32 v3, v6, v8, 0 op_sel:[0,1,0] op_sel_hi:[0,1,0]
	v_mad_u32_u24 v12, 0x110, v13, 0
	v_add_co_u32 v10, vcc_lo, s0, v10
	v_add_co_ci_u32_e32 v11, vcc_lo, s1, v11, vcc_lo
	v_lshlrev_b32_e32 v8, 6, v20
	s_waitcnt lgkmcnt(0)
	v_fma_mix_f32 v2, v7, v14, v2 op_sel_hi:[0,1,0]
	v_fma_mix_f32 v3, v7, v14, v3 op_sel:[0,1,0] op_sel_hi:[0,1,0]
	v_add_nc_u32_e32 v14, 13, v0
	v_add_nc_u32_e32 v13, v12, v1
	global_store_b64 v[10:11], v[4:5], off offset:256
	ds_load_2addr_stride64_b32 v[4:5], v12 offset0:1 offset1:18
	ds_load_2addr_b32 v[10:11], v13 offset1:32
	v_lshlrev_b32_e32 v20, 1, v14
	v_and_b32_e32 v21, 15, v14
	v_add_co_u32 v12, s3, v251, v8
	v_add_nc_u32_e32 v16, 0x1000, v13
	v_add_co_ci_u32_e64 v13, null, 0, 0, s3
	s_delay_alu instid0(VALU_DEP_4)
	v_and_or_b32 v20, 0x7e0, v20, v21
	v_add_lshl_u32 v18, v251, v8, 3
	ds_load_2addr_b32 v[16:17], v16 offset0:64 offset1:96
	v_fma_mix_f32 v22, v6, v9, 0 op_sel_hi:[0,1,0]
	v_fma_mix_f32 v6, v6, v9, 0 op_sel:[0,1,0] op_sel_hi:[0,1,0]
	v_lshlrev_b64 v[8:9], 3, v[12:13]
	v_mad_u32_u24 v12, 0x110, v20, 0
	global_store_b64 v18, v[2:3], s[0:1]
	v_fma_mix_f32 v2, v7, v15, v22 op_sel_hi:[0,1,0]
	v_fma_mix_f32 v3, v7, v15, v6 op_sel:[0,1,0] op_sel_hi:[0,1,0]
	v_lshlrev_b32_e32 v18, 6, v19
	v_add_co_u32 v6, vcc_lo, s0, v8
	v_add_co_ci_u32_e32 v7, vcc_lo, s1, v9, vcc_lo
	v_add_nc_u32_e32 v15, v12, v1
	ds_load_2addr_stride64_b32 v[8:9], v12 offset0:1 offset1:18
	ds_load_2addr_b32 v[12:13], v15 offset1:32
	global_store_b64 v[6:7], v[2:3], off offset:256
	v_add_nc_u32_e32 v6, 0x1000, v15
	s_waitcnt lgkmcnt(3)
	v_fma_mix_f32 v19, v4, v10, 0 op_sel_hi:[0,1,0]
	v_fma_mix_f32 v10, v4, v10, 0 op_sel:[0,1,0] op_sel_hi:[0,1,0]
	v_fma_mix_f32 v15, v4, v11, 0 op_sel_hi:[0,1,0]
	v_add_nc_u32_e32 v20, 14, v0
	ds_load_2addr_b32 v[6:7], v6 offset0:64 offset1:96
	s_waitcnt lgkmcnt(3)
	v_fma_mix_f32 v2, v5, v16, v19 op_sel_hi:[0,1,0]
	v_fma_mix_f32 v19, v4, v11, 0 op_sel:[0,1,0] op_sel_hi:[0,1,0]
	v_fma_mix_f32 v3, v5, v16, v10 op_sel:[0,1,0] op_sel_hi:[0,1,0]
	v_add_co_u32 v10, s3, v251, v18
	s_delay_alu instid0(VALU_DEP_1)
	v_add_co_ci_u32_e64 v11, null, 0, 0, s3
	v_fma_mix_f32 v4, v5, v17, v15 op_sel_hi:[0,1,0]
	v_fma_mix_f32 v5, v5, v17, v19 op_sel:[0,1,0] op_sel_hi:[0,1,0]
	v_lshlrev_b32_e32 v15, 1, v20
	v_and_b32_e32 v17, 15, v20
	v_lshlrev_b64 v[10:11], 3, v[10:11]
	v_add_lshl_u32 v16, v251, v18, 3
	v_lshlrev_b32_e32 v18, 6, v14
	s_waitcnt lgkmcnt(1)
	v_fma_mix_f32 v14, v8, v12, 0 op_sel_hi:[0,1,0]
	v_and_or_b32 v15, 0x7e0, v15, v17
	v_fma_mix_f32 v12, v8, v12, 0 op_sel:[0,1,0] op_sel_hi:[0,1,0]
	v_add_co_u32 v10, vcc_lo, s0, v10
	v_add_co_ci_u32_e32 v11, vcc_lo, s1, v11, vcc_lo
	s_delay_alu instid0(VALU_DEP_4)
	v_mad_u32_u24 v17, 0x110, v15, 0
	s_waitcnt lgkmcnt(0)
	v_fma_mix_f32 v14, v9, v6, v14 op_sel_hi:[0,1,0]
	v_fma_mix_f32 v15, v9, v6, v12 op_sel:[0,1,0] op_sel_hi:[0,1,0]
	v_add_lshl_u32 v6, v251, v18, 3
	v_add_nc_u32_e32 v19, 15, v0
	v_add_nc_u32_e32 v12, v17, v1
	s_clause 0x2
	global_store_b64 v16, v[2:3], s[0:1]
	global_store_b64 v[10:11], v[4:5], off offset:256
	global_store_b64 v6, v[14:15], s[0:1]
	ds_load_2addr_stride64_b32 v[2:3], v17 offset0:1 offset1:18
	ds_load_2addr_b32 v[4:5], v12 offset1:32
	v_lshlrev_b32_e32 v0, 1, v19
	v_and_b32_e32 v6, 15, v19
	v_add_co_u32 v10, s3, v251, v18
	s_delay_alu instid0(VALU_DEP_1) | instskip(NEXT) | instid1(VALU_DEP_3)
	v_add_co_ci_u32_e64 v11, null, 0, 0, s3
	v_and_or_b32 v0, 0x7e0, v0, v6
	v_add_nc_u32_e32 v12, 0x1000, v12
	v_fma_mix_f32 v14, v8, v13, 0 op_sel_hi:[0,1,0]
	v_fma_mix_f32 v8, v8, v13, 0 op_sel:[0,1,0] op_sel_hi:[0,1,0]
	v_lshlrev_b64 v[10:11], 3, v[10:11]
	v_mad_u32_u24 v0, 0x110, v0, 0
	ds_load_2addr_b32 v[12:13], v12 offset0:64 offset1:96
	v_fma_mix_f32 v6, v9, v7, v14 op_sel_hi:[0,1,0]
	v_lshlrev_b32_e32 v18, 6, v20
	v_fma_mix_f32 v7, v9, v7, v8 op_sel:[0,1,0] op_sel_hi:[0,1,0]
	v_add_nc_u32_e32 v14, v0, v1
	v_add_co_u32 v8, vcc_lo, s0, v10
	v_add_co_ci_u32_e32 v9, vcc_lo, s1, v11, vcc_lo
	s_waitcnt lgkmcnt(1)
	v_fma_mix_f32 v20, v2, v4, 0 op_sel_hi:[0,1,0]
	v_fma_mix_f32 v21, v2, v4, 0 op_sel:[0,1,0] op_sel_hi:[0,1,0]
	ds_load_2addr_stride64_b32 v[0:1], v0 offset0:1 offset1:18
	ds_load_2addr_b32 v[10:11], v14 offset1:32
	v_add_nc_u32_e32 v4, 0x1000, v14
	v_add_co_u32 v14, s3, v251, v18
	s_delay_alu instid0(VALU_DEP_1)
	v_add_co_ci_u32_e64 v15, null, 0, 0, s3
	ds_load_2addr_b32 v[16:17], v4 offset0:64 offset1:96
	v_lshlrev_b32_e32 v19, 6, v19
	v_fma_mix_f32 v22, v2, v5, 0 op_sel:[0,1,0] op_sel_hi:[0,1,0]
	v_lshlrev_b64 v[14:15], 3, v[14:15]
	s_waitcnt lgkmcnt(3)
	v_fma_mix_f32 v4, v3, v12, v20 op_sel_hi:[0,1,0]
	v_fma_mix_f32 v20, v2, v5, 0 op_sel_hi:[0,1,0]
	v_fma_mix_f32 v5, v3, v12, v21 op_sel:[0,1,0] op_sel_hi:[0,1,0]
	v_add_lshl_u32 v18, v251, v18, 3
	v_add_co_u32 v12, vcc_lo, s0, v14
	v_add_co_u32 v14, s3, v251, v19
	v_fma_mix_f32 v2, v3, v13, v20 op_sel_hi:[0,1,0]
	v_fma_mix_f32 v3, v3, v13, v22 op_sel:[0,1,0] op_sel_hi:[0,1,0]
	v_add_co_ci_u32_e32 v13, vcc_lo, s1, v15, vcc_lo
	v_add_co_ci_u32_e64 v15, null, 0, 0, s3
	s_waitcnt lgkmcnt(1)
	v_fma_mix_f32 v20, v0, v10, 0 op_sel_hi:[0,1,0]
	v_fma_mix_f32 v21, v0, v10, 0 op_sel:[0,1,0] op_sel_hi:[0,1,0]
	v_fma_mix_f32 v22, v0, v11, 0 op_sel:[0,1,0] op_sel_hi:[0,1,0]
	v_lshlrev_b64 v[14:15], 3, v[14:15]
	s_waitcnt lgkmcnt(0)
	v_fma_mix_f32 v10, v1, v16, v20 op_sel_hi:[0,1,0]
	v_fma_mix_f32 v20, v0, v11, 0 op_sel_hi:[0,1,0]
	v_fma_mix_f32 v11, v1, v16, v21 op_sel:[0,1,0] op_sel_hi:[0,1,0]
	v_add_lshl_u32 v16, v251, v19, 3
	v_add_co_u32 v14, vcc_lo, s0, v14
	s_delay_alu instid0(VALU_DEP_4)
	v_fma_mix_f32 v0, v1, v17, v20 op_sel_hi:[0,1,0]
	v_fma_mix_f32 v1, v1, v17, v22 op_sel:[0,1,0] op_sel_hi:[0,1,0]
	v_add_co_ci_u32_e32 v15, vcc_lo, s1, v15, vcc_lo
	s_clause 0x4
	global_store_b64 v[8:9], v[6:7], off offset:256
	global_store_b64 v18, v[4:5], s[0:1]
	global_store_b64 v[12:13], v[2:3], off offset:256
	global_store_b64 v16, v[10:11], s[0:1]
	global_store_b64 v[14:15], v[0:1], off offset:256
.LBB24_327:
	s_or_b32 exec_lo, exec_lo, s2
	s_waitcnt_vscnt null, 0x0
	s_barrier
	buffer_gl0_inv
	s_endpgm
	.section	.rodata,"a",@progbits
	.p2align	6, 0x0
	.amdhsa_kernel _ZL18flash_attn_ext_f16ILi128ELi128ELi2ELi8ELb0ELb0EEvPKcS1_S1_S1_S1_PKiPfP15HIP_vector_typeIfLj2EEffffjfiS5_IjLj3EEiiiiiiiiiiiliiliiiiil
		.amdhsa_group_segment_fixed_size 0
		.amdhsa_private_segment_fixed_size 784
		.amdhsa_kernarg_size 464
		.amdhsa_user_sgpr_count 15
		.amdhsa_user_sgpr_dispatch_ptr 0
		.amdhsa_user_sgpr_queue_ptr 0
		.amdhsa_user_sgpr_kernarg_segment_ptr 1
		.amdhsa_user_sgpr_dispatch_id 0
		.amdhsa_user_sgpr_private_segment_size 0
		.amdhsa_wavefront_size32 1
		.amdhsa_uses_dynamic_stack 0
		.amdhsa_enable_private_segment 1
		.amdhsa_system_sgpr_workgroup_id_x 1
		.amdhsa_system_sgpr_workgroup_id_y 0
		.amdhsa_system_sgpr_workgroup_id_z 0
		.amdhsa_system_sgpr_workgroup_info 0
		.amdhsa_system_vgpr_workitem_id 1
		.amdhsa_next_free_vgpr 256
		.amdhsa_next_free_sgpr 105
		.amdhsa_reserve_vcc 1
		.amdhsa_float_round_mode_32 0
		.amdhsa_float_round_mode_16_64 0
		.amdhsa_float_denorm_mode_32 3
		.amdhsa_float_denorm_mode_16_64 3
		.amdhsa_dx10_clamp 1
		.amdhsa_ieee_mode 1
		.amdhsa_fp16_overflow 0
		.amdhsa_workgroup_processor_mode 1
		.amdhsa_memory_ordered 1
		.amdhsa_forward_progress 0
		.amdhsa_shared_vgpr_count 0
		.amdhsa_exception_fp_ieee_invalid_op 0
		.amdhsa_exception_fp_denorm_src 0
		.amdhsa_exception_fp_ieee_div_zero 0
		.amdhsa_exception_fp_ieee_overflow 0
		.amdhsa_exception_fp_ieee_underflow 0
		.amdhsa_exception_fp_ieee_inexact 0
		.amdhsa_exception_int_div_zero 0
	.end_amdhsa_kernel
	.section	.text._ZL18flash_attn_ext_f16ILi128ELi128ELi2ELi8ELb0ELb0EEvPKcS1_S1_S1_S1_PKiPfP15HIP_vector_typeIfLj2EEffffjfiS5_IjLj3EEiiiiiiiiiiiliiliiiiil,"axG",@progbits,_ZL18flash_attn_ext_f16ILi128ELi128ELi2ELi8ELb0ELb0EEvPKcS1_S1_S1_S1_PKiPfP15HIP_vector_typeIfLj2EEffffjfiS5_IjLj3EEiiiiiiiiiiiliiliiiiil,comdat
.Lfunc_end24:
	.size	_ZL18flash_attn_ext_f16ILi128ELi128ELi2ELi8ELb0ELb0EEvPKcS1_S1_S1_S1_PKiPfP15HIP_vector_typeIfLj2EEffffjfiS5_IjLj3EEiiiiiiiiiiiliiliiiiil, .Lfunc_end24-_ZL18flash_attn_ext_f16ILi128ELi128ELi2ELi8ELb0ELb0EEvPKcS1_S1_S1_S1_PKiPfP15HIP_vector_typeIfLj2EEffffjfiS5_IjLj3EEiiiiiiiiiiiliiliiiiil
                                        ; -- End function
	.section	.AMDGPU.csdata,"",@progbits
; Kernel info:
; codeLenInByte = 70392
; NumSgprs: 107
; NumVgprs: 256
; ScratchSize: 784
; MemoryBound: 0
; FloatMode: 240
; IeeeMode: 1
; LDSByteSize: 0 bytes/workgroup (compile time only)
; SGPRBlocks: 13
; VGPRBlocks: 31
; NumSGPRsForWavesPerEU: 107
; NumVGPRsForWavesPerEU: 256
; Occupancy: 5
; WaveLimiterHint : 1
; COMPUTE_PGM_RSRC2:SCRATCH_EN: 1
; COMPUTE_PGM_RSRC2:USER_SGPR: 15
; COMPUTE_PGM_RSRC2:TRAP_HANDLER: 0
; COMPUTE_PGM_RSRC2:TGID_X_EN: 1
; COMPUTE_PGM_RSRC2:TGID_Y_EN: 0
; COMPUTE_PGM_RSRC2:TGID_Z_EN: 0
; COMPUTE_PGM_RSRC2:TIDIG_COMP_CNT: 1
	.section	.text._ZL18flash_attn_ext_f16ILi128ELi128ELi2ELi8ELb1ELb0EEvPKcS1_S1_S1_S1_PKiPfP15HIP_vector_typeIfLj2EEffffjfiS5_IjLj3EEiiiiiiiiiiiliiliiiiil,"axG",@progbits,_ZL18flash_attn_ext_f16ILi128ELi128ELi2ELi8ELb1ELb0EEvPKcS1_S1_S1_S1_PKiPfP15HIP_vector_typeIfLj2EEffffjfiS5_IjLj3EEiiiiiiiiiiiliiliiiiil,comdat
	.globl	_ZL18flash_attn_ext_f16ILi128ELi128ELi2ELi8ELb1ELb0EEvPKcS1_S1_S1_S1_PKiPfP15HIP_vector_typeIfLj2EEffffjfiS5_IjLj3EEiiiiiiiiiiiliiliiiiil ; -- Begin function _ZL18flash_attn_ext_f16ILi128ELi128ELi2ELi8ELb1ELb0EEvPKcS1_S1_S1_S1_PKiPfP15HIP_vector_typeIfLj2EEffffjfiS5_IjLj3EEiiiiiiiiiiiliiliiiiil
	.p2align	8
	.type	_ZL18flash_attn_ext_f16ILi128ELi128ELi2ELi8ELb1ELb0EEvPKcS1_S1_S1_S1_PKiPfP15HIP_vector_typeIfLj2EEffffjfiS5_IjLj3EEiiiiiiiiiiiliiliiiiil,@function
_ZL18flash_attn_ext_f16ILi128ELi128ELi2ELi8ELb1ELb0EEvPKcS1_S1_S1_S1_PKiPfP15HIP_vector_typeIfLj2EEffffjfiS5_IjLj3EEiiiiiiiiiiiliiliiiiil: ; @_ZL18flash_attn_ext_f16ILi128ELi128ELi2ELi8ELb1ELb0EEvPKcS1_S1_S1_S1_PKiPfP15HIP_vector_typeIfLj2EEffffjfiS5_IjLj3EEiiiiiiiiiiiliiliiiiil
; %bb.0:
	s_clause 0x2
	s_load_b64 s[2:3], s[0:1], 0x80
	s_load_b128 s[8:11], s[0:1], 0x64
	s_load_b32 s14, s[0:1], 0xd0
	s_waitcnt lgkmcnt(0)
	s_abs_i32 s4, s3
	s_abs_i32 s7, s9
	v_cvt_f32_u32_e32 v1, s4
	s_sub_i32 s6, 0, s4
	v_cvt_f32_u32_e32 v3, s14
	s_delay_alu instid0(VALU_DEP_2) | instskip(SKIP_2) | instid1(VALU_DEP_1)
	v_rcp_iflag_f32_e32 v1, v1
	s_waitcnt_depctr 0xfff
	v_mul_f32_e32 v1, 0x4f7ffffe, v1
	v_cvt_u32_f32_e32 v1, v1
	s_delay_alu instid0(VALU_DEP_1) | instskip(SKIP_1) | instid1(VALU_DEP_2)
	v_readfirstlane_b32 s5, v1
	v_cvt_f32_ubyte0_e32 v1, 0
	s_mul_i32 s6, s6, s5
	s_delay_alu instid0(SALU_CYCLE_1) | instskip(NEXT) | instid1(SALU_CYCLE_1)
	s_mul_hi_u32 s6, s5, s6
	s_add_i32 s5, s5, s6
	s_xor_b32 s6, s9, s3
	s_mul_hi_u32 s5, s7, s5
	s_ashr_i32 s6, s6, 31
	s_mul_i32 s12, s5, s4
	s_delay_alu instid0(SALU_CYCLE_1)
	s_sub_i32 s7, s7, s12
	s_add_i32 s12, s5, 1
	s_sub_i32 s13, s7, s4
	s_cmp_ge_u32 s7, s4
	s_cselect_b32 s5, s12, s5
	s_cselect_b32 s7, s13, s7
	s_add_i32 s12, s5, 1
	s_cmp_ge_u32 s7, s4
	s_cselect_b32 s4, s12, s5
	s_add_i32 s2, s2, 31
	s_xor_b32 s4, s4, s6
	s_add_i32 s5, s8, 1
	s_sub_i32 s68, s4, s6
	s_ashr_i32 s7, s2, 31
	s_add_i32 s4, s68, 7
	s_lshr_b32 s69, s5, 1
	s_lshr_b32 s5, s7, 27
	s_ashr_i32 s6, s4, 31
	s_add_i32 s2, s2, s5
	s_lshr_b32 s5, s6, 29
	s_ashr_i32 s73, s2, 5
	s_add_i32 s4, s4, s5
	s_mul_i32 s70, s69, s73
	s_ashr_i32 s2, s4, 3
	s_delay_alu instid0(SALU_CYCLE_1) | instskip(SKIP_2) | instid1(SALU_CYCLE_1)
	s_mul_i32 s71, s70, s2
	s_mov_b32 s2, 0
	s_mul_i32 s72, s71, s3
	s_mul_i32 s4, s72, s10
	s_delay_alu instid0(SALU_CYCLE_1) | instskip(SKIP_2) | instid1(SALU_CYCLE_1)
	s_ashr_i32 s5, s4, 31
	s_mul_hi_u32 s3, s4, s15
	s_mul_i32 s6, s5, s15
	s_add_i32 s3, s3, s6
	s_mul_i32 s6, s4, s15
	s_cmp_lg_u64 s[2:3], 0
	s_cbranch_scc0 .LBB25_472
; %bb.1:
	v_fmamk_f32 v2, v1, 0x4f800000, v3
	s_sub_u32 s12, 0, s14
	s_subb_u32 s13, 0, 0
	s_delay_alu instid0(VALU_DEP_1) | instskip(SKIP_2) | instid1(VALU_DEP_1)
	v_rcp_f32_e32 v2, v2
	s_waitcnt_depctr 0xfff
	v_mul_f32_e32 v2, 0x5f7ffffc, v2
	v_mul_f32_e32 v4, 0x2f800000, v2
	s_delay_alu instid0(VALU_DEP_1) | instskip(NEXT) | instid1(VALU_DEP_1)
	v_trunc_f32_e32 v4, v4
	v_fmamk_f32 v2, v4, 0xcf800000, v2
	v_cvt_u32_f32_e32 v4, v4
	s_delay_alu instid0(VALU_DEP_2) | instskip(NEXT) | instid1(VALU_DEP_2)
	v_cvt_u32_f32_e32 v2, v2
	v_readfirstlane_b32 s7, v4
	s_delay_alu instid0(VALU_DEP_2) | instskip(NEXT) | instid1(VALU_DEP_2)
	v_readfirstlane_b32 s10, v2
	s_mul_i32 s16, s12, s7
	s_delay_alu instid0(VALU_DEP_1)
	s_mul_hi_u32 s18, s12, s10
	s_mul_i32 s17, s13, s10
	s_add_i32 s16, s18, s16
	s_mul_i32 s19, s12, s10
	s_add_i32 s16, s16, s17
	s_mul_hi_u32 s18, s10, s19
	s_mul_hi_u32 s20, s7, s19
	s_mul_i32 s17, s7, s19
	s_mul_hi_u32 s19, s10, s16
	s_mul_i32 s10, s10, s16
	s_mul_hi_u32 s21, s7, s16
	s_add_u32 s10, s18, s10
	s_addc_u32 s18, 0, s19
	s_add_u32 s10, s10, s17
	s_mul_i32 s16, s7, s16
	s_addc_u32 s10, s18, s20
	s_addc_u32 s17, s21, 0
	s_add_u32 s10, s10, s16
	s_addc_u32 s16, 0, s17
	v_add_co_u32 v2, s10, v2, s10
	s_delay_alu instid0(VALU_DEP_1) | instskip(SKIP_1) | instid1(VALU_DEP_1)
	s_cmp_lg_u32 s10, 0
	s_addc_u32 s7, s7, s16
	v_readfirstlane_b32 s10, v2
	s_mul_i32 s16, s12, s7
	s_delay_alu instid0(VALU_DEP_1)
	s_mul_hi_u32 s17, s12, s10
	s_mul_i32 s13, s13, s10
	s_add_i32 s16, s17, s16
	s_mul_i32 s12, s12, s10
	s_add_i32 s16, s16, s13
	s_mul_hi_u32 s17, s7, s12
	s_mul_i32 s18, s7, s12
	s_mul_hi_u32 s12, s10, s12
	s_mul_hi_u32 s19, s10, s16
	s_mul_i32 s10, s10, s16
	s_mul_hi_u32 s13, s7, s16
	s_add_u32 s10, s12, s10
	s_addc_u32 s12, 0, s19
	s_add_u32 s10, s10, s18
	s_mul_i32 s16, s7, s16
	s_addc_u32 s10, s12, s17
	s_addc_u32 s12, s13, 0
	s_add_u32 s10, s10, s16
	s_addc_u32 s12, 0, s12
	v_add_co_u32 v2, s10, v2, s10
	s_delay_alu instid0(VALU_DEP_1) | instskip(SKIP_2) | instid1(SALU_CYCLE_1)
	s_cmp_lg_u32 s10, 0
	s_addc_u32 s7, s7, s12
	s_ashr_i32 s12, s3, 31
	s_add_u32 s16, s6, s12
	s_addc_u32 s17, s3, s12
	v_readfirstlane_b32 s3, v2
	s_mov_b32 s13, s12
	s_delay_alu instid0(SALU_CYCLE_1) | instskip(NEXT) | instid1(SALU_CYCLE_1)
	s_xor_b64 s[16:17], s[16:17], s[12:13]
	s_mul_i32 s18, s16, s7
	s_delay_alu instid0(VALU_DEP_1)
	s_mul_hi_u32 s19, s16, s3
	s_mul_hi_u32 s10, s16, s7
	;; [unrolled: 1-line block ×3, first 2 shown]
	s_mul_i32 s3, s17, s3
	s_add_u32 s18, s19, s18
	s_addc_u32 s10, 0, s10
	s_mul_hi_u32 s20, s17, s7
	s_add_u32 s3, s18, s3
	s_mul_i32 s7, s17, s7
	s_addc_u32 s3, s10, s21
	s_addc_u32 s10, s20, 0
	s_add_u32 s3, s3, s7
	s_addc_u32 s7, 0, s10
	s_mul_i32 s18, s14, s3
	s_add_u32 s10, s3, 1
	v_sub_co_u32 v2, s16, s16, s18
	s_mul_hi_u32 s18, s14, s3
	s_addc_u32 s19, s7, 0
	s_mul_i32 s20, s14, s7
	s_delay_alu instid0(VALU_DEP_1)
	v_sub_co_u32 v4, s21, v2, s14
	s_add_u32 s22, s3, 2
	s_addc_u32 s23, s7, 0
	s_add_i32 s18, s18, s20
	s_cmp_lg_u32 s16, 0
	v_readfirstlane_b32 s16, v4
	s_subb_u32 s17, s17, s18
	s_cmp_lg_u32 s21, 0
	s_subb_u32 s18, s17, 0
	s_delay_alu instid0(VALU_DEP_1) | instskip(SKIP_4) | instid1(SALU_CYCLE_1)
	s_cmp_ge_u32 s16, s14
	s_cselect_b32 s16, -1, 0
	s_cmp_eq_u32 s18, 0
	v_readfirstlane_b32 s18, v2
	s_cselect_b32 s16, s16, -1
	s_cmp_lg_u32 s16, 0
	s_cselect_b32 s10, s22, s10
	s_cselect_b32 s16, s23, s19
	s_cmp_ge_u32 s18, s14
	s_cselect_b32 s18, -1, 0
	s_cmp_eq_u32 s17, 0
	s_cselect_b32 s17, s18, -1
	s_delay_alu instid0(SALU_CYCLE_1) | instskip(SKIP_2) | instid1(SALU_CYCLE_1)
	s_cmp_lg_u32 s17, 0
	s_cselect_b32 s17, s16, s7
	s_cselect_b32 s16, s10, s3
	s_xor_b64 s[16:17], s[16:17], s[12:13]
	s_delay_alu instid0(SALU_CYCLE_1)
	s_sub_u32 s50, s16, s12
	s_load_b64 s[48:49], s[0:1], 0x74
	v_cvt_f32_u32_e32 v2, s14
	s_and_not1_b32 vcc_lo, exec_lo, s2
	s_cbranch_vccnz .LBB25_3
.LBB25_2:
	s_delay_alu instid0(VALU_DEP_1) | instskip(SKIP_3) | instid1(VALU_DEP_1)
	v_rcp_iflag_f32_e32 v4, v2
	s_sub_i32 s3, 0, s14
	s_waitcnt_depctr 0xfff
	v_mul_f32_e32 v4, 0x4f7ffffe, v4
	v_cvt_u32_f32_e32 v4, v4
	s_delay_alu instid0(VALU_DEP_1) | instskip(NEXT) | instid1(VALU_DEP_1)
	v_readfirstlane_b32 s2, v4
	s_mul_i32 s3, s3, s2
	s_delay_alu instid0(SALU_CYCLE_1) | instskip(NEXT) | instid1(SALU_CYCLE_1)
	s_mul_hi_u32 s3, s2, s3
	s_add_i32 s2, s2, s3
	s_delay_alu instid0(SALU_CYCLE_1) | instskip(NEXT) | instid1(SALU_CYCLE_1)
	s_mul_hi_u32 s2, s6, s2
	s_mul_i32 s3, s2, s14
	s_delay_alu instid0(SALU_CYCLE_1)
	s_sub_i32 s3, s6, s3
	s_add_i32 s6, s2, 1
	s_sub_i32 s7, s3, s14
	s_cmp_ge_u32 s3, s14
	s_cselect_b32 s2, s6, s2
	s_cselect_b32 s3, s7, s3
	s_add_i32 s6, s2, 1
	s_cmp_ge_u32 s3, s14
	s_cselect_b32 s50, s6, s2
.LBB25_3:
	s_add_i32 s6, s15, 1
	s_delay_alu instid0(SALU_CYCLE_1) | instskip(SKIP_4) | instid1(SALU_CYCLE_1)
	s_mul_i32 s2, s5, s6
	s_mul_hi_u32 s3, s4, s6
	s_mul_i32 s4, s4, s6
	s_add_i32 s3, s3, s2
	s_mov_b32 s2, 0
	s_cmp_lg_u64 s[2:3], 0
	s_cbranch_scc0 .LBB25_473
; %bb.4:
	v_fmamk_f32 v1, v1, 0x4f800000, v3
	s_sub_u32 s7, 0, s14
	s_subb_u32 s10, 0, 0
	s_delay_alu instid0(VALU_DEP_1) | instskip(SKIP_2) | instid1(VALU_DEP_1)
	v_rcp_f32_e32 v1, v1
	s_waitcnt_depctr 0xfff
	v_mul_f32_e32 v1, 0x5f7ffffc, v1
	v_mul_f32_e32 v3, 0x2f800000, v1
	s_delay_alu instid0(VALU_DEP_1) | instskip(NEXT) | instid1(VALU_DEP_1)
	v_trunc_f32_e32 v3, v3
	v_fmamk_f32 v1, v3, 0xcf800000, v1
	v_cvt_u32_f32_e32 v3, v3
	s_delay_alu instid0(VALU_DEP_2) | instskip(NEXT) | instid1(VALU_DEP_2)
	v_cvt_u32_f32_e32 v1, v1
	v_readfirstlane_b32 s5, v3
	s_delay_alu instid0(VALU_DEP_2) | instskip(NEXT) | instid1(VALU_DEP_2)
	v_readfirstlane_b32 s6, v1
	s_mul_i32 s12, s7, s5
	s_delay_alu instid0(VALU_DEP_1)
	s_mul_hi_u32 s16, s7, s6
	s_mul_i32 s13, s10, s6
	s_add_i32 s12, s16, s12
	s_mul_i32 s17, s7, s6
	s_add_i32 s12, s12, s13
	s_mul_hi_u32 s16, s6, s17
	s_mul_hi_u32 s18, s5, s17
	s_mul_i32 s13, s5, s17
	s_mul_hi_u32 s17, s6, s12
	s_mul_i32 s6, s6, s12
	s_mul_hi_u32 s19, s5, s12
	s_add_u32 s6, s16, s6
	s_addc_u32 s16, 0, s17
	s_add_u32 s6, s6, s13
	s_mul_i32 s12, s5, s12
	s_addc_u32 s6, s16, s18
	s_addc_u32 s13, s19, 0
	s_add_u32 s6, s6, s12
	s_addc_u32 s12, 0, s13
	v_add_co_u32 v1, s6, v1, s6
	s_delay_alu instid0(VALU_DEP_1) | instskip(SKIP_1) | instid1(VALU_DEP_1)
	s_cmp_lg_u32 s6, 0
	s_addc_u32 s5, s5, s12
	v_readfirstlane_b32 s6, v1
	s_mul_i32 s12, s7, s5
	s_delay_alu instid0(VALU_DEP_1)
	s_mul_hi_u32 s13, s7, s6
	s_mul_i32 s10, s10, s6
	s_add_i32 s12, s13, s12
	s_mul_i32 s7, s7, s6
	s_add_i32 s12, s12, s10
	s_mul_hi_u32 s13, s5, s7
	s_mul_i32 s16, s5, s7
	s_mul_hi_u32 s7, s6, s7
	s_mul_hi_u32 s17, s6, s12
	s_mul_i32 s6, s6, s12
	s_mul_hi_u32 s10, s5, s12
	s_add_u32 s6, s7, s6
	s_addc_u32 s7, 0, s17
	s_add_u32 s6, s6, s16
	s_mul_i32 s12, s5, s12
	s_addc_u32 s6, s7, s13
	s_addc_u32 s7, s10, 0
	s_add_u32 s6, s6, s12
	s_addc_u32 s7, 0, s7
	v_add_co_u32 v1, s6, v1, s6
	s_delay_alu instid0(VALU_DEP_1) | instskip(SKIP_2) | instid1(SALU_CYCLE_1)
	s_cmp_lg_u32 s6, 0
	s_addc_u32 s5, s5, s7
	s_ashr_i32 s6, s3, 31
	s_add_u32 s12, s4, s6
	s_addc_u32 s13, s3, s6
	v_readfirstlane_b32 s3, v1
	s_mov_b32 s7, s6
	s_delay_alu instid0(SALU_CYCLE_1) | instskip(NEXT) | instid1(SALU_CYCLE_1)
	s_xor_b64 s[12:13], s[12:13], s[6:7]
	s_mul_i32 s16, s12, s5
	s_delay_alu instid0(VALU_DEP_1)
	s_mul_hi_u32 s17, s12, s3
	s_mul_hi_u32 s10, s12, s5
	;; [unrolled: 1-line block ×3, first 2 shown]
	s_mul_i32 s3, s13, s3
	s_add_u32 s16, s17, s16
	s_addc_u32 s10, 0, s10
	s_mul_hi_u32 s18, s13, s5
	s_add_u32 s3, s16, s3
	s_mul_i32 s5, s13, s5
	s_addc_u32 s3, s10, s19
	s_addc_u32 s10, s18, 0
	s_add_u32 s3, s3, s5
	s_addc_u32 s5, 0, s10
	s_mul_i32 s16, s14, s3
	s_add_u32 s10, s3, 1
	v_sub_co_u32 v1, s12, s12, s16
	s_mul_hi_u32 s16, s14, s3
	s_addc_u32 s17, s5, 0
	s_mul_i32 s18, s14, s5
	s_delay_alu instid0(VALU_DEP_1)
	v_sub_co_u32 v3, s19, v1, s14
	s_add_u32 s20, s3, 2
	s_addc_u32 s21, s5, 0
	s_add_i32 s16, s16, s18
	s_cmp_lg_u32 s12, 0
	v_readfirstlane_b32 s12, v3
	s_subb_u32 s13, s13, s16
	s_cmp_lg_u32 s19, 0
	s_subb_u32 s16, s13, 0
	s_delay_alu instid0(VALU_DEP_1) | instskip(SKIP_4) | instid1(SALU_CYCLE_1)
	s_cmp_ge_u32 s12, s14
	s_cselect_b32 s12, -1, 0
	s_cmp_eq_u32 s16, 0
	v_readfirstlane_b32 s16, v1
	s_cselect_b32 s12, s12, -1
	s_cmp_lg_u32 s12, 0
	s_cselect_b32 s10, s20, s10
	s_cselect_b32 s12, s21, s17
	s_cmp_ge_u32 s16, s14
	s_cselect_b32 s16, -1, 0
	s_cmp_eq_u32 s13, 0
	s_cselect_b32 s13, s16, -1
	s_delay_alu instid0(SALU_CYCLE_1) | instskip(SKIP_2) | instid1(SALU_CYCLE_1)
	s_cmp_lg_u32 s13, 0
	s_cselect_b32 s13, s12, s5
	s_cselect_b32 s12, s10, s3
	s_xor_b64 s[12:13], s[12:13], s[6:7]
	s_delay_alu instid0(SALU_CYCLE_1)
	s_sub_u32 s54, s12, s6
	s_load_b64 s[12:13], s[0:1], 0x5c
	s_and_not1_b32 vcc_lo, exec_lo, s2
	s_cbranch_vccnz .LBB25_6
.LBB25_5:
	v_rcp_iflag_f32_e32 v1, v2
	s_sub_i32 s3, 0, s14
	s_waitcnt_depctr 0xfff
	v_mul_f32_e32 v1, 0x4f7ffffe, v1
	s_delay_alu instid0(VALU_DEP_1) | instskip(NEXT) | instid1(VALU_DEP_1)
	v_cvt_u32_f32_e32 v1, v1
	v_readfirstlane_b32 s2, v1
	s_delay_alu instid0(VALU_DEP_1) | instskip(NEXT) | instid1(SALU_CYCLE_1)
	s_mul_i32 s3, s3, s2
	s_mul_hi_u32 s3, s2, s3
	s_delay_alu instid0(SALU_CYCLE_1) | instskip(NEXT) | instid1(SALU_CYCLE_1)
	s_add_i32 s2, s2, s3
	s_mul_hi_u32 s2, s4, s2
	s_delay_alu instid0(SALU_CYCLE_1) | instskip(NEXT) | instid1(SALU_CYCLE_1)
	s_mul_i32 s3, s2, s14
	s_sub_i32 s3, s4, s3
	s_add_i32 s4, s2, 1
	s_sub_i32 s5, s3, s14
	s_cmp_ge_u32 s3, s14
	s_cselect_b32 s2, s4, s2
	s_cselect_b32 s3, s5, s3
	s_add_i32 s4, s2, 1
	s_cmp_ge_u32 s3, s14
	s_cselect_b32 s54, s4, s2
.LBB25_6:
	s_abs_i32 s74, s73
	s_clause 0x5
	s_load_b32 s2, s[0:1], 0x40
	s_load_b32 s33, s[0:1], 0x54
	s_load_b64 s[46:47], s[0:1], 0x8c
	s_load_b128 s[36:39], s[0:1], 0x98
	s_load_b64 s[42:43], s[0:1], 0xa8
	s_load_b64 s[58:59], s[0:1], 0xb8
	v_cvt_f32_u32_e32 v1, s74
	s_clause 0x1
	s_load_b512 s[16:31], s[0:1], 0x0
	s_load_b64 s[44:45], s[0:1], 0xc8
	s_sub_i32 s1, 0, s74
	s_abs_i32 s3, s50
	v_rcp_iflag_f32_e32 v1, v1
	s_ashr_i32 s51, s11, 3
	s_waitcnt lgkmcnt(0)
	s_ashr_i32 s55, s48, 3
	s_ashr_i32 s0, s50, 31
	;; [unrolled: 1-line block ×3, first 2 shown]
	v_bfe_u32 v237, v0, 10, 10
	v_and_b32_e32 v236, 0x3ff, v0
	s_mov_b32 s57, 0
	s_delay_alu instid0(VALU_DEP_2)
	v_lshrrev_b32_e32 v0, 3, v237
	s_waitcnt_depctr 0xfff
	v_mul_f32_e32 v1, 0x4f7ffffe, v1
	s_ashr_i32 s34, s46, 2
	s_ashr_i32 s10, s38, 2
	;; [unrolled: 1-line block ×3, first 2 shown]
	scratch_store_b32 off, v0, off offset:100 ; 4-byte Folded Spill
	v_cvt_u32_f32_e32 v1, v1
	v_cvt_f16_f32_e32 v0, s2
	v_lshlrev_b32_e32 v239, 3, v237
	v_lshlrev_b32_e32 v238, 4, v237
	v_and_b32_e32 v240, 1, v237
	v_readfirstlane_b32 s76, v1
	v_and_b32_e32 v73, 7, v237
	v_add_nc_u32_e32 v76, 2, v237
	v_add_nc_u32_e32 v75, 4, v237
	;; [unrolled: 1-line block ×3, first 2 shown]
	s_mul_i32 s1, s1, s76
	v_add_nc_u32_e32 v72, 8, v237
	s_mul_hi_u32 s1, s76, s1
	v_add_nc_u32_e32 v71, 10, v237
	s_add_i32 s76, s76, s1
	v_add_nc_u32_e32 v70, 12, v237
	s_mul_hi_u32 s1, s3, s76
	v_pack_b32_f16 v0, v0, v0
	s_mul_i32 s1, s1, s74
	v_add_nc_u32_e32 v69, 14, v237
	s_sub_i32 s1, s3, s1
	s_delay_alu instid0(SALU_CYCLE_1) | instskip(SKIP_3) | instid1(SALU_CYCLE_1)
	s_sub_i32 s3, s1, s74
	s_cmp_ge_u32 s1, s74
	scratch_store_b32 off, v0, off offset:88 ; 4-byte Folded Spill
	s_cselect_b32 s1, s3, s1
	s_sub_i32 s3, s1, s74
	s_cmp_ge_u32 s1, s74
	s_cselect_b32 s1, s3, s1
	s_sub_i32 s3, s54, s50
	s_xor_b32 s1, s1, s0
	s_delay_alu instid0(SALU_CYCLE_1) | instskip(NEXT) | instid1(SALU_CYCLE_1)
	s_sub_i32 s104, s1, s0
	s_add_i32 s3, s3, s104
	s_delay_alu instid0(SALU_CYCLE_1)
	s_min_i32 s52, s73, s3
	s_cmp_gt_i32 s54, s50
	s_cselect_b32 s4, -1, 0
	s_cmp_le_i32 s54, s50
	s_cselect_b32 s0, -1, 0
	s_cmp_gt_i32 s73, s3
	s_cselect_b32 s1, -1, 0
	s_delay_alu instid0(SALU_CYCLE_1) | instskip(NEXT) | instid1(SALU_CYCLE_1)
	s_or_b32 s0, s1, s0
	s_and_b32 vcc_lo, exec_lo, s0
	s_cbranch_vccz .LBB25_9
; %bb.7:
	s_and_not1_b32 vcc_lo, exec_lo, s4
	s_cbranch_vccz .LBB25_401
.LBB25_8:
	s_endpgm
.LBB25_9:
	v_lshrrev_b32_e32 v178, 4, v236
	s_cmp_eq_u64 s[24:25], 0
	v_lshrrev_b32_e32 v33, 1, v237
	s_cselect_b32 s46, -1, 0
	s_cmp_lg_u64 s[26:27], 0
	v_lshl_add_u32 v3, v237, 1, v178
	s_cselect_b32 s53, -1, 0
	s_lshl_b32 s2, s10, 2
	v_add_nc_u32_e32 v35, 1, v33
	v_add_nc_u32_e32 v36, 2, v33
	v_mul_lo_u32 v16, s10, v3
	v_add_nc_u32_e32 v38, 3, v33
	v_add_nc_u32_e32 v40, 4, v33
	v_lshlrev_b32_e32 v37, 1, v35
	v_and_b32_e32 v39, 15, v35
	v_lshlrev_b32_e32 v41, 1, v36
	v_and_b32_e32 v42, 15, v36
	v_lshlrev_b32_e32 v43, 1, v38
	v_add_nc_u32_e32 v18, s2, v16
	v_and_b32_e32 v44, 15, v38
	v_lshlrev_b32_e32 v45, 1, v40
	v_and_b32_e32 v46, 15, v40
	v_and_or_b32 v37, 0x60, v37, v39
	v_add_nc_u32_e32 v20, s2, v18
	v_add_nc_u32_e32 v39, 5, v33
	v_and_or_b32 v41, 0x60, v41, v42
	v_and_or_b32 v42, 0x60, v43, v44
	;; [unrolled: 1-line block ×3, first 2 shown]
	v_add_nc_u32_e32 v22, s2, v20
	v_add_nc_u32_e32 v44, 6, v33
	v_add_nc_u32_e32 v46, 7, v33
	v_lshlrev_b32_e32 v45, 1, v39
	v_and_b32_e32 v47, 15, v39
	v_add_nc_u32_e32 v24, s2, v22
	v_add_nc_u32_e32 v48, 8, v33
	v_lshlrev_b32_e32 v49, 1, v44
	v_and_b32_e32 v50, 15, v44
	v_lshlrev_b32_e32 v51, 1, v46
	v_add_nc_u32_e32 v26, s2, v24
	v_and_b32_e32 v52, 15, v46
	v_lshlrev_b32_e32 v53, 1, v48
	v_and_b32_e32 v54, 15, v48
	v_and_or_b32 v45, 0x60, v45, v47
	v_add_nc_u32_e32 v28, s2, v26
	v_add_nc_u32_e32 v47, 9, v33
	v_and_or_b32 v49, 0x60, v49, v50
	v_and_or_b32 v50, 0x60, v51, v52
	v_add_nc_u32_e32 v52, 10, v33
	v_add_nc_u32_e32 v56, 12, v33
	s_lshl_b32 s56, s15, 4
	v_add_nc_u32_e32 v30, s2, v28
	s_lshl_b64 s[2:3], s[56:57], 3
	v_and_or_b32 v51, 0x60, v53, v54
	v_lshlrev_b32_e32 v53, 1, v47
	v_and_b32_e32 v55, 15, v47
	v_lshlrev_b32_e32 v57, 1, v52
	v_and_b32_e32 v58, 15, v52
	;; [unrolled: 2-line block ×3, first 2 shown]
	s_ashr_i32 s41, s40, 31
	s_ashr_i32 s35, s34, 31
	s_lshl_b32 s1, s34, 2
	s_ashr_i32 s11, s10, 31
	s_add_u32 s4, s30, s2
	s_addc_u32 s5, s31, s3
	s_abs_i32 s77, s72
	v_and_or_b32 v53, 0x60, v53, v55
	v_and_or_b32 v55, 0x60, v57, v58
	;; [unrolled: 1-line block ×3, first 2 shown]
	v_cvt_f32_u32_e32 v62, s77
	v_add_nc_u32_e32 v54, 11, v33
	v_add_nc_u32_e32 v63, 13, v33
	s_abs_i32 s80, s70
	v_and_b32_e32 v1, 0x1f0, v239
	v_rcp_iflag_f32_e32 v62, v62
	v_lshlrev_b32_e32 v59, 1, v54
	v_and_b32_e32 v60, 15, v54
	v_lshlrev_b32_e32 v5, 2, v236
	v_and_b32_e32 v61, 15, v63
	v_mul_lo_u32 v0, s34, v3
	v_mad_u32_u24 v2, 0x110, v1, 0
	v_and_or_b32 v57, 0x60, v59, v60
	v_lshlrev_b32_e32 v59, 1, v63
	v_add_nc_u32_e32 v60, 14, v33
	v_mul_f32_e32 v62, 0x4f7ffffe, v62
	s_abs_i32 s79, s71
	v_and_b32_e32 v6, 16, v238
	v_and_or_b32 v59, 0x60, v59, v61
	v_cvt_f32_u32_e32 v61, s80
	v_cvt_u32_f32_e32 v62, v62
	v_lshlrev_b32_e32 v64, 1, v60
	v_and_b32_e32 v66, 15, v60
	v_cvt_f32_u32_e32 v67, s79
	v_rcp_iflag_f32_e32 v61, v61
	v_readfirstlane_b32 s6, v62
	v_add_nc_u32_e32 v62, v238, v236
	v_lshlrev_b32_e32 v4, 1, v236
	s_abs_i32 s78, s58
	v_and_or_b32 v64, 0x60, v64, v66
	v_rcp_iflag_f32_e32 v66, v67
	v_mul_u32_u24_e32 v62, 0x110, v62
	scratch_store_b32 off, v2, off offset:108 ; 4-byte Folded Spill
	v_dual_mul_f32 v61, 0x4f7ffffe, v61 :: v_dual_add_nc_u32 v2, s1, v0
	v_and_b32_e32 v9, 30, v4
	v_cvt_f32_u32_e32 v65, s78
	v_mad_u32_u24 v31, 0x110, v6, 0
	s_delay_alu instid0(VALU_DEP_4)
	v_add_nc_u32_e32 v4, s1, v2
	v_lshlrev_b32_e32 v17, 1, v6
	v_mul_f32_e32 v66, 0x4f7ffffe, v66
	v_rcp_iflag_f32_e32 v65, v65
	v_and_b32_e32 v32, 15, v236
	v_add_nc_u32_e32 v6, s1, v4
	v_add_nc_u32_e32 v33, 15, v33
	v_and_b32_e32 v77, 60, v5
	v_cmp_gt_u32_e64 s0, 2, v3
	v_mad_u32_u24 v5, 0x50, v3, 0
	v_add_nc_u32_e32 v8, s1, v6
	v_lshlrev_b32_e32 v67, 1, v33
	v_and_b32_e32 v68, 15, v33
	v_mul_f32_e32 v65, 0x4f7ffffe, v65
	v_lshl_add_u32 v34, v32, 2, v31
	v_add_nc_u32_e32 v10, s1, v8
	v_mul_u32_u24_e32 v3, 0xc0, v3
	v_lshlrev_b32_e32 v7, 2, v77
	v_cvt_u32_f32_e32 v65, v65
	v_add_nc_u32_e32 v186, 64, v34
	v_add_nc_u32_e32 v12, s1, v10
	;; [unrolled: 1-line block ×4, first 2 shown]
	v_and_or_b32 v34, 0x60, v67, v68
	v_add3_u32 v184, v5, v3, v7
	v_add_nc_u32_e32 v14, s1, v12
	s_sub_i32 s1, 0, s78
	v_ashrrev_i32_e32 v3, 31, v2
	v_mul_lo_u32 v67, s1, v65
	v_cvt_u32_f32_e32 v66, v66
	v_cvt_u32_f32_e32 v61, v61
	v_bfe_u32 v68, v237, 1, 4
	v_lshlrev_b64 v[132:133], 2, v[2:3]
	v_and_b32_e32 v2, 7, v236
	v_readfirstlane_b32 s7, v66
	v_or_b32_e32 v66, v239, v236
	v_mul_hi_u32 v67, v65, v67
	s_clause 0x1
	scratch_store_b32 off, v238, off offset:476
	scratch_store_b32 off, v2, off offset:204
	v_mul_lo_u32 v2, v73, s55
	v_lshlrev_b32_e32 v66, 3, v66
	v_readfirstlane_b32 s56, v61
	v_or_b32_e32 v61, v238, v32
	scratch_store_b32 off, v62, off offset:112 ; 4-byte Folded Spill
	v_add_nc_u32_e32 v62, v65, v67
	v_add_co_u32 v78, s4, s4, v66
	v_mad_u32_u24 v61, 0x44, v61, v178
	v_add_co_ci_u32_e64 v79, null, s5, 0, s4
	v_lshrrev_b32_e32 v3, 3, v76
	s_clause 0x2
	scratch_store_b32 off, v2, off offset:128
	scratch_store_b32 off, v9, off offset:192
	;; [unrolled: 1-line block ×3, first 2 shown]
	v_mad_u32_u24 v62, 0x44, v237, v236
	scratch_store_b32 off, v3, off offset:136 ; 4-byte Folded Spill
	v_lshl_add_u32 v9, v9, 1, v5
	v_ashrrev_i32_e32 v5, 31, v4
	v_and_or_b32 v65, v237, 32, v68
	v_lshl_add_u32 v61, v61, 2, 0
	v_lshl_add_u32 v66, v62, 2, 0
	v_add_nc_u32_e32 v67, 32, v236
	v_lshlrev_b64 v[134:135], 2, v[4:5]
	v_and_b32_e32 v2, 7, v76
	v_and_b32_e32 v3, 7, v75
	v_add_nc_u32_e32 v4, 0x220, v66
	s_clause 0x2
	scratch_store_b32 off, v9, off offset:76
	scratch_store_b32 off, v61, off offset:116
	;; [unrolled: 1-line block ×3, first 2 shown]
	v_mad_u32_u24 v61, 0x44, v65, v236
	v_mad_u32_u24 v62, 0x44, v65, v67
	v_mul_u32_u24_e32 v65, 0x110, v65
	scratch_store_b32 off, v2, off offset:132 ; 4-byte Folded Spill
	v_mul_lo_u32 v2, v2, s55
	v_lshl_add_u32 v61, v61, 2, 0
	v_lshl_add_u32 v62, v62, 2, 0
	s_clause 0x1
	scratch_store_b32 off, v65, off offset:244
	scratch_store_b32 off, v239, off offset:480
	v_mad_u32_u24 v65, 0x44, v37, v236
	scratch_store_b32 off, v61, off offset:248 ; 4-byte Folded Spill
	v_mad_u32_u24 v61, 0x44, v37, v67
	v_mul_u32_u24_e32 v37, 0x110, v37
	s_clause 0x2
	scratch_store_b64 off, v[78:79], off offset:404
	scratch_store_b32 off, v236, off offset:84
	scratch_store_b32 off, v4, off offset:80
	v_lshl_add_u32 v61, v61, 2, 0
	scratch_store_b32 off, v37, off offset:412 ; 4-byte Folded Spill
	v_lshl_add_u32 v37, v65, 2, 0
	scratch_store_b32 off, v76, off offset:512 ; 4-byte Folded Spill
	v_and_b32_e32 v4, 7, v74
	v_and_or_b32 v1, v236, 8, v1
	s_sub_i32 s4, 0, s77
	scratch_store_b32 off, v37, off offset:416 ; 4-byte Folded Spill
	v_mad_u32_u24 v37, 0x44, v41, v236
	s_mul_i32 s4, s4, s6
	v_lshrrev_b32_e32 v1, 3, v1
	s_mul_hi_u32 s4, s6, s4
	v_lshlrev_b32_e32 v19, 1, v178
	v_lshl_add_u32 v37, v37, 2, 0
	scratch_store_b32 off, v61, off offset:420 ; 4-byte Folded Spill
	v_mad_u32_u24 v61, 0x44, v41, v67
	v_mul_u32_u24_e32 v41, 0x110, v41
	s_add_i32 s82, s6, s4
	s_sub_i32 s4, 0, s79
	v_mad_u32_u24 v21, 0x50, v1, 0
	v_lshl_add_u32 v61, v61, 2, 0
	scratch_store_b32 off, v41, off offset:436 ; 4-byte Folded Spill
	v_mad_u32_u24 v41, 0x44, v42, v236
	s_mul_i32 s4, s4, s7
	s_sub_i32 s5, 0, s80
	s_mul_hi_u32 s4, s7, s4
	s_mul_i32 s5, s5, s56
	v_lshl_add_u32 v41, v41, 2, 0
	scratch_store_b32 off, v37, off offset:440 ; 4-byte Folded Spill
	v_mad_u32_u24 v37, 0x44, v42, v67
	v_mul_u32_u24_e32 v42, 0x110, v42
	s_clause 0x1
	scratch_store_b32 off, v61, off offset:444
	scratch_store_b32 off, v41, off offset:464
	v_mad_u32_u24 v41, 0x44, v43, v236
	v_lshl_add_u32 v37, v37, 2, 0
	scratch_store_b32 off, v42, off offset:460 ; 4-byte Folded Spill
	v_mul_u32_u24_e32 v42, 0x110, v43
	scratch_store_b32 off, v240, off offset:484 ; 4-byte Folded Spill
	v_lshl_add_u32 v41, v41, 2, 0
	scratch_store_b32 off, v37, off offset:468 ; 4-byte Folded Spill
	v_mad_u32_u24 v37, 0x44, v43, v67
	s_add_i32 s84, s7, s4
	s_mul_hi_u32 s4, s56, s5
	v_add3_u32 v185, v21, v17, v19
	v_ashrrev_i32_e32 v17, 31, v16
	v_lshl_add_u32 v37, v37, 2, 0
	scratch_store_b32 off, v42, off offset:524 ; 4-byte Folded Spill
	v_mad_u32_u24 v42, 0x44, v45, v236
	s_add_i32 s86, s56, s4
	v_lshlrev_b64 v[16:17], 2, v[16:17]
	scratch_store_b32 off, v37, off offset:532 ; 4-byte Folded Spill
	v_mul_u32_u24_e32 v37, 0x110, v45
	scratch_store_b32 off, v41, off offset:528 ; 4-byte Folded Spill
	v_mad_u32_u24 v41, 0x44, v45, v67
	v_ashrrev_i32_e32 v19, 31, v18
	v_ashrrev_i32_e32 v21, 31, v20
	;; [unrolled: 1-line block ×4, first 2 shown]
	v_lshl_add_u32 v41, v41, 2, 0
	scratch_store_b32 off, v37, off offset:548 ; 4-byte Folded Spill
	v_lshl_add_u32 v37, v42, 2, 0
	v_mul_u32_u24_e32 v42, 0x110, v49
	v_lshlrev_b64 v[18:19], 2, v[18:19]
	scratch_store_b32 off, v41, off offset:556 ; 4-byte Folded Spill
	v_mad_u32_u24 v41, 0x44, v49, v67
	scratch_store_b32 off, v37, off offset:552 ; 4-byte Folded Spill
	v_mad_u32_u24 v37, 0x44, v49, v236
	v_lshlrev_b64 v[20:21], 2, v[20:21]
	v_lshlrev_b64 v[22:23], 2, v[22:23]
	v_lshl_add_u32 v41, v41, 2, 0
	v_lshlrev_b64 v[24:25], 2, v[24:25]
	v_lshl_add_u32 v37, v37, 2, 0
	scratch_store_b32 off, v42, off offset:572 ; 4-byte Folded Spill
	v_mad_u32_u24 v42, 0x44, v50, v236
	v_ashrrev_i32_e32 v27, 31, v26
	v_ashrrev_i32_e32 v29, 31, v28
	scratch_store_b32 off, v37, off offset:576 ; 4-byte Folded Spill
	v_mad_u32_u24 v37, 0x44, v50, v67
	v_mad_u32_u24 v182, 0x110, v32, v31
	v_lshlrev_b64 v[26:27], 2, v[26:27]
	v_lshlrev_b64 v[28:29], 2, v[28:29]
	v_ashrrev_i32_e32 v31, 31, v30
	v_lshl_add_u32 v37, v37, 2, 0
	scratch_store_b32 off, v41, off offset:580 ; 4-byte Folded Spill
	v_mul_u32_u24_e32 v41, 0x110, v50
	v_ashrrev_i32_e32 v1, 31, v0
	v_lshlrev_b64 v[30:31], 2, v[30:31]
	scratch_store_b32 off, v37, off offset:596 ; 4-byte Folded Spill
	v_mad_u32_u24 v37, 0x44, v51, v67
	v_ashrrev_i32_e32 v7, 31, v6
	v_lshlrev_b64 v[0:1], 2, v[0:1]
	v_ashrrev_i32_e32 v9, 31, v8
	v_ashrrev_i32_e32 v11, 31, v10
	v_lshl_add_u32 v37, v37, 2, 0
	scratch_store_b32 off, v41, off offset:588 ; 4-byte Folded Spill
	v_lshl_add_u32 v41, v42, 2, 0
	v_lshrrev_b32_e32 v42, 3, v48
	v_lshlrev_b64 v[136:137], 2, v[6:7]
	scratch_store_b32 off, v37, off offset:620 ; 4-byte Folded Spill
	v_mad_u32_u24 v37, 0x44, v53, v67
	scratch_store_b32 off, v41, off offset:592 ; 4-byte Folded Spill
	v_mad_u32_u24 v41, 0x44, v51, v236
	v_lshlrev_b64 v[138:139], 2, v[8:9]
	v_lshlrev_b64 v[140:141], 2, v[10:11]
	v_lshl_add_u32 v37, v37, 2, 0
	v_ashrrev_i32_e32 v13, 31, v12
	v_lshl_add_u32 v41, v41, 2, 0
	scratch_store_b32 off, v42, off offset:600 ; 4-byte Folded Spill
	v_mul_u32_u24_e32 v42, 0x110, v51
	scratch_store_b32 off, v37, off offset:644 ; 4-byte Folded Spill
	v_mul_u32_u24_e32 v37, 0x110, v55
	scratch_store_b32 off, v41, off offset:616 ; 4-byte Folded Spill
	v_mad_u32_u24 v41, 0x44, v53, v236
	v_lshlrev_b64 v[142:143], 2, v[12:13]
	v_ashrrev_i32_e32 v15, 31, v14
	scratch_store_b32 off, v37, off offset:660 ; 4-byte Folded Spill
	s_mov_b32 s2, s58
	v_lshl_add_u32 v41, v41, 2, 0
	scratch_store_b32 off, v42, off offset:612 ; 4-byte Folded Spill
	v_mul_u32_u24_e32 v42, 0x110, v53
	v_lshlrev_b64 v[144:145], 2, v[14:15]
                                        ; implicit-def: $vgpr255 : SGPR spill to VGPR lane
	v_cmp_eq_u32_e64 s1, 0, v240
	v_writelane_b32 v255, s2, 0
	v_mad_i32_i24 v243, 0xfffffef4, v32, v182
	scratch_store_b32 off, v42, off offset:636 ; 4-byte Folded Spill
	v_mad_u32_u24 v42, 0x44, v55, v236
	v_lshlrev_b32_e32 v244, 4, v32
	v_writelane_b32 v255, s3, 1
	v_cmp_eq_u32_e64 s2, 1, v240
	v_cmp_gt_u32_e64 s3, 16, v236
	v_lshl_add_u32 v37, v42, 2, 0
	scratch_store_b32 off, v41, off offset:640 ; 4-byte Folded Spill
	v_mad_u32_u24 v41, 0x44, v55, v67
	v_mul_u32_u24_e32 v42, 0x110, v57
	v_add_nc_u32_e32 v245, 0x440, v184
	v_add_nc_u32_e32 v246, 0x880, v184
	;; [unrolled: 1-line block ×3, first 2 shown]
	v_lshl_add_u32 v41, v41, 2, 0
	scratch_store_b32 off, v37, off offset:664 ; 4-byte Folded Spill
	v_mad_u32_u24 v37, 0x44, v57, v236
	v_add_nc_u32_e32 v248, 0x1100, v184
	v_add_nc_u32_e32 v249, 0x1540, v184
	scratch_store_b32 off, v41, off offset:668 ; 4-byte Folded Spill
	v_mad_u32_u24 v41, 0x44, v57, v67
	v_lshl_add_u32 v37, v37, 2, 0
	scratch_store_b32 off, v42, off offset:684 ; 4-byte Folded Spill
	v_mad_u32_u24 v42, 0x44, v58, v236
	v_add_nc_u32_e32 v250, 0x1980, v184
	v_lshl_add_u32 v41, v41, 2, 0
	scratch_store_b32 off, v37, off offset:688 ; 4-byte Folded Spill
	v_mad_u32_u24 v37, 0x44, v58, v67
	v_add_nc_u32_e32 v251, 0x1dc0, v184
	v_xor_b32_e32 v252, 1, v178
	v_mbcnt_lo_u32_b32 v15, -1, 0
	s_mul_i32 s38, s8, s9
	v_lshl_add_u32 v37, v37, 2, 0
	scratch_store_b32 off, v41, off offset:692 ; 4-byte Folded Spill
	v_mul_u32_u24_e32 v41, 0x110, v58
	s_ashr_i32 s81, s72, 31
	s_ashr_i32 s83, s71, 31
	scratch_store_b32 off, v37, off offset:716 ; 4-byte Folded Spill
	v_mad_u32_u24 v37, 0x44, v59, v67
	s_ashr_i32 s85, s70, 31
	s_lshl_b64 s[58:59], s[40:41], 1
	s_lshl_b64 s[60:61], s[10:11], 7
	s_lshl_b64 s[62:63], s[34:35], 7
	v_lshl_add_u32 v37, v37, 2, 0
	scratch_store_b32 off, v41, off offset:708 ; 4-byte Folded Spill
	v_lshl_add_u32 v41, v42, 2, 0
	v_mul_u32_u24_e32 v42, 0x110, v59
	s_mov_b32 s41, 0xbbbac73d
	scratch_store_b32 off, v37, off offset:740 ; 4-byte Folded Spill
	v_mul_u32_u24_e32 v37, 0x110, v64
	scratch_store_b32 off, v41, off offset:712 ; 4-byte Folded Spill
	v_mad_u32_u24 v41, 0x44, v59, v236
	s_delay_alu instid0(VALU_DEP_1) | instskip(SKIP_4) | instid1(VALU_DEP_1)
	v_lshl_add_u32 v41, v41, 2, 0
	scratch_store_b32 off, v42, off offset:732 ; 4-byte Folded Spill
	v_mad_u32_u24 v42, 0x44, v64, v236
	scratch_store_b32 off, v41, off offset:736 ; 4-byte Folded Spill
	v_mad_u32_u24 v41, 0x44, v64, v67
	v_lshl_add_u32 v41, v41, 2, 0
	scratch_store_b32 off, v37, off offset:756 ; 4-byte Folded Spill
	v_lshl_add_u32 v37, v42, 2, 0
	scratch_store_b32 off, v41, off offset:764 ; 4-byte Folded Spill
	v_mad_u32_u24 v41, 0x44, v34, v67
	scratch_store_b32 off, v37, off offset:760 ; 4-byte Folded Spill
	v_mad_u32_u24 v37, 0x44, v34, v236
	v_mul_u32_u24_e32 v34, 0x110, v34
	scratch_store_b32 off, v34, off offset:772 ; 4-byte Folded Spill
	v_lshl_add_u32 v34, v37, 2, 0
	scratch_store_b32 off, v34, off offset:776 ; 4-byte Folded Spill
	v_lshl_add_u32 v34, v41, 2, 0
	scratch_store_b32 off, v34, off offset:780 ; 4-byte Folded Spill
	v_mul_u32_u24_e32 v34, 0x110, v32
	s_clause 0x3
	scratch_store_b32 off, v34, off offset:124
	scratch_store_b32 off, v62, off offset:252
	;; [unrolled: 1-line block ×4, first 2 shown]
	v_lshrrev_b32_e32 v2, 3, v75
	s_clause 0x1
	scratch_store_b32 off, v2, off offset:148
	scratch_store_b32 off, v3, off offset:140
	v_mul_lo_u32 v2, v3, s55
	s_clause 0x1
	scratch_store_b32 off, v2, off offset:212
	scratch_store_b32 off, v74, off offset:504
	v_lshrrev_b32_e32 v2, 3, v74
	s_clause 0x1
	scratch_store_b32 off, v2, off offset:152
	scratch_store_b32 off, v4, off offset:144
	v_mul_lo_u32 v2, v4, s55
	v_lshrrev_b32_e32 v3, 3, v72
	v_lshrrev_b32_e32 v4, 3, v71
	s_clause 0x2
	scratch_store_b32 off, v72, off offset:500
	scratch_store_b32 off, v4, off offset:168
	;; [unrolled: 1-line block ×3, first 2 shown]
	v_and_b32_e32 v2, 7, v71
	scratch_store_b32 off, v3, off offset:160 ; 4-byte Folded Spill
	v_and_b32_e32 v3, 7, v70
	scratch_store_b32 off, v71, off offset:496 ; 4-byte Folded Spill
	;; [unrolled: 2-line block ×3, first 2 shown]
	v_mul_lo_u32 v2, v2, s55
	s_clause 0x1
	scratch_store_b32 off, v2, off offset:220
	scratch_store_b32 off, v70, off offset:492
	v_lshrrev_b32_e32 v2, 3, v70
	s_clause 0x1
	scratch_store_b32 off, v2, off offset:176
	scratch_store_b32 off, v3, off offset:164
	v_mul_lo_u32 v2, v3, s55
	s_clause 0x1
	scratch_store_b32 off, v2, off offset:224
	scratch_store_b32 off, v69, off offset:488
	v_lshrrev_b32_e32 v2, 3, v69
	s_clause 0x1
	scratch_store_b32 off, v2, off offset:180
	scratch_store_b32 off, v4, off offset:172
	v_mul_lo_u32 v2, v4, s55
	scratch_store_b32 off, v2, off offset:228 ; 4-byte Folded Spill
	v_lshrrev_b32_e32 v2, 4, v237
	scratch_store_b32 off, v2, off offset:232 ; 4-byte Folded Spill
	v_lshrrev_b32_e32 v2, 3, v35
	scratch_store_b32 off, v2, off offset:256 ; 4-byte Folded Spill
	v_and_b32_e32 v2, 7, v35
	scratch_store_b64 off, v[2:3], off offset:236 ; 8-byte Folded Spill
	v_lshrrev_b32_e32 v2, 3, v36
	scratch_store_b32 off, v2, off offset:424 ; 4-byte Folded Spill
	v_and_b32_e32 v2, 7, v36
	scratch_store_b64 off, v[2:3], off offset:396 ; 8-byte Folded Spill
	;; [unrolled: 4-line block ×13, first 2 shown]
	v_lshrrev_b32_e32 v2, 3, v33
	scratch_store_b32 off, v2, off offset:768 ; 4-byte Folded Spill
	v_and_b32_e32 v2, 7, v33
	s_clause 0x1
	scratch_store_b64 off, v[2:3], off offset:748
	scratch_store_b32 off, v77, off
	v_add_co_u32 v2, s4, s22, v77
	scratch_store_b32 off, v2, off offset:260 ; 4-byte Folded Spill
	v_add_co_ci_u32_e64 v2, null, s23, 0, s4
	scratch_store_b32 off, v2, off offset:264 ; 4-byte Folded Spill
	v_add_co_u32 v2, vcc_lo, s20, v16
	s_clause 0x1
	scratch_store_b32 off, v2, off offset:268
	scratch_store_b64 off, v[16:17], off offset:4
	v_add_co_ci_u32_e32 v2, vcc_lo, s21, v17, vcc_lo
	scratch_store_b32 off, v2, off offset:272 ; 4-byte Folded Spill
	v_add_co_u32 v2, vcc_lo, s20, v18
	s_clause 0x1
	scratch_store_b32 off, v2, off offset:276
	scratch_store_b64 off, v[18:19], off offset:12
	v_add_co_ci_u32_e32 v2, vcc_lo, s21, v19, vcc_lo
	;; [unrolled: 6-line block ×9, first 2 shown]
	s_clause 0x2
	scratch_store_b32 off, v237, off offset:104
	scratch_store_b32 off, v73, off offset:184
	;; [unrolled: 1-line block ×3, first 2 shown]
	v_add_co_u32 v0, vcc_lo, s18, v132
	scratch_store_b32 off, v0, off offset:340 ; 4-byte Folded Spill
	v_add_co_ci_u32_e32 v0, vcc_lo, s19, v133, vcc_lo
	scratch_store_b32 off, v0, off offset:344 ; 4-byte Folded Spill
	v_add_co_u32 v0, vcc_lo, s18, v134
	scratch_store_b32 off, v0, off offset:348 ; 4-byte Folded Spill
	v_add_co_ci_u32_e32 v0, vcc_lo, s19, v135, vcc_lo
	scratch_store_b32 off, v0, off offset:352 ; 4-byte Folded Spill
	;; [unrolled: 4-line block ×7, first 2 shown]
	v_bfe_u32 v0, v237, 1, 3
	scratch_store_b64 off, v[0:1], off offset:196 ; 8-byte Folded Spill
	v_mov_b32_e32 v0, 0
.LBB25_10:                              ; =>This Loop Header: Depth=1
                                        ;     Child Loop BB25_242 Depth 2
                                        ;     Child Loop BB25_48 Depth 2
	s_abs_i32 s4, s50
	s_ashr_i32 s6, s50, 31
	s_mul_hi_u32 s5, s4, s82
	s_xor_b32 s6, s6, s81
	s_mul_i32 s7, s5, s77
	s_delay_alu instid0(SALU_CYCLE_1)
	s_sub_i32 s4, s4, s7
	s_add_i32 s7, s5, 1
	s_sub_i32 s56, s4, s77
	s_cmp_ge_u32 s4, s77
	s_cselect_b32 s5, s7, s5
	s_cselect_b32 s4, s56, s4
	s_add_i32 s7, s5, 1
	s_cmp_ge_u32 s4, s77
	s_cselect_b32 s4, s7, s5
	s_delay_alu instid0(SALU_CYCLE_1) | instskip(NEXT) | instid1(SALU_CYCLE_1)
	s_xor_b32 s4, s4, s6
	s_sub_i32 s4, s4, s6
	s_delay_alu instid0(SALU_CYCLE_1) | instskip(NEXT) | instid1(SALU_CYCLE_1)
	s_mul_i32 s5, s4, s72
	s_sub_i32 s6, s50, s5
	s_delay_alu instid0(SALU_CYCLE_1) | instskip(SKIP_4) | instid1(SALU_CYCLE_1)
	s_abs_i32 s5, s6
	s_ashr_i32 s56, s6, 31
	s_mul_hi_u32 s7, s5, s84
	s_xor_b32 s56, s56, s83
	s_mul_i32 s59, s7, s79
	s_sub_i32 s5, s5, s59
	s_add_i32 s59, s7, 1
	s_sub_i32 s64, s5, s79
	s_cmp_ge_u32 s5, s79
	s_cselect_b32 s7, s59, s7
	s_cselect_b32 s5, s64, s5
	s_add_i32 s59, s7, 1
	s_cmp_ge_u32 s5, s79
	s_cselect_b32 s5, s59, s7
	s_delay_alu instid0(SALU_CYCLE_1) | instskip(NEXT) | instid1(SALU_CYCLE_1)
	s_xor_b32 s5, s5, s56
	s_sub_i32 s5, s5, s56
	s_delay_alu instid0(SALU_CYCLE_1) | instskip(NEXT) | instid1(SALU_CYCLE_1)
	s_mul_i32 s7, s5, s71
	s_sub_i32 s7, s6, s7
	s_delay_alu instid0(SALU_CYCLE_1) | instskip(SKIP_4) | instid1(SALU_CYCLE_1)
	s_abs_i32 s6, s7
	s_ashr_i32 s59, s7, 31
	s_mul_hi_u32 s56, s6, s86
	s_xor_b32 s59, s59, s85
	s_mul_i32 s64, s56, s80
	s_sub_i32 s6, s6, s64
	s_add_i32 s64, s56, 1
	s_sub_i32 s65, s6, s80
	s_cmp_ge_u32 s6, s80
	s_cselect_b32 s56, s64, s56
	s_cselect_b32 s6, s65, s6
	s_add_i32 s64, s56, 1
	s_cmp_ge_u32 s6, s80
	s_cselect_b32 s6, s64, s56
	s_delay_alu instid0(SALU_CYCLE_1) | instskip(NEXT) | instid1(SALU_CYCLE_1)
	s_xor_b32 s6, s6, s59
	s_sub_i32 s6, s6, s59
	s_delay_alu instid0(SALU_CYCLE_1) | instskip(NEXT) | instid1(SALU_CYCLE_1)
	s_mul_i32 s56, s6, s70
	s_sub_i32 s7, s7, s56
	s_delay_alu instid0(SALU_CYCLE_1) | instskip(SKIP_4) | instid1(SALU_CYCLE_1)
	s_abs_i32 s56, s7
	s_ashr_i32 s7, s7, 31
	s_mul_hi_u32 s59, s56, s76
	s_xor_b32 s7, s7, s75
	s_mul_i32 s64, s59, s74
	s_sub_i32 s56, s56, s64
	s_add_i32 s64, s59, 1
	s_sub_i32 s65, s56, s74
	s_cmp_ge_u32 s56, s74
	s_cselect_b32 s59, s64, s59
	s_cselect_b32 s56, s65, s56
	s_add_i32 s64, s59, 1
	s_cmp_ge_u32 s56, s74
	s_cselect_b32 s56, s64, s59
	s_and_not1_b32 vcc_lo, exec_lo, s53
	s_xor_b32 s56, s56, s7
	s_delay_alu instid0(SALU_CYCLE_1)
	s_sub_i32 s91, s56, s7
	s_cbranch_vccnz .LBB25_12
; %bb.11:                               ;   in Loop: Header=BB25_10 Depth=1
	s_mul_i32 s7, s4, s69
	s_delay_alu instid0(SALU_CYCLE_1) | instskip(NEXT) | instid1(SALU_CYCLE_1)
	s_add_i32 s64, s91, s7
	s_ashr_i32 s65, s64, 31
	s_delay_alu instid0(SALU_CYCLE_1) | instskip(NEXT) | instid1(SALU_CYCLE_1)
	s_lshl_b64 s[64:65], s[64:65], 2
	s_add_u32 s64, s26, s64
	s_addc_u32 s65, s27, s65
	global_load_b32 v1, v0, s[64:65]
	s_waitcnt vmcnt(0)
	v_readfirstlane_b32 s7, v1
	s_delay_alu instid0(VALU_DEP_1) | instskip(NEXT) | instid1(SALU_CYCLE_1)
	s_ashr_i32 s56, s7, 31
	s_lshr_b32 s56, s56, 27
	s_delay_alu instid0(SALU_CYCLE_1) | instskip(NEXT) | instid1(SALU_CYCLE_1)
	s_add_i32 s7, s7, s56
	s_ashr_i32 s7, s7, 5
	s_delay_alu instid0(SALU_CYCLE_1)
	s_min_i32 s52, s52, s7
.LBB25_12:                              ;   in Loop: Header=BB25_10 Depth=1
	scratch_load_b32 v1, off, off offset:188 ; 4-byte Folded Reload
	s_mul_i32 s7, s5, s68
	s_lshl_b32 s88, s6, 3
	s_mul_i32 s56, s4, s49
	s_add_i32 s6, s88, s7
	s_ashr_i32 s7, s56, 31
	s_mul_i32 s59, s6, s48
	s_add_u32 s56, s16, s56
	s_addc_u32 s7, s17, s7
	s_ashr_i32 s64, s59, 31
	s_add_u32 s102, s56, s59
	s_addc_u32 s103, s7, s64
	s_mul_i32 s7, s4, s37
	s_mul_hi_u32 s56, s4, s36
	s_ashr_i32 s66, s4, 31
	s_add_i32 s7, s56, s7
	s_mul_i32 s56, s66, s36
	s_mul_i32 s96, s4, s36
	s_add_i32 s95, s7, s56
	s_mul_i32 s97, s5, s47
	s_add_u32 s7, s18, s96
	s_addc_u32 s56, s19, s95
	s_ashr_i32 s98, s97, 31
	s_add_u32 s92, s7, s97
	s_addc_u32 s93, s56, s98
	s_abs_i32 s7, s4
	s_mul_i32 s67, s4, s43
	s_mul_hi_u32 s89, s4, s42
	s_mul_i32 s99, s4, s42
	s_waitcnt vmcnt(1)
	v_or_b32_e32 v166, s88, v73
	s_waitcnt vmcnt(0)
	v_mul_hi_u32 v1, s7, v1
	s_delay_alu instid0(VALU_DEP_1) | instskip(NEXT) | instid1(VALU_DEP_1)
	v_mul_lo_u32 v1, v1, s78
	v_sub_nc_u32_e32 v1, s7, v1
	s_mul_i32 s7, s38, s4
	s_mul_i32 s4, s66, s42
	s_add_i32 s7, s6, s7
	s_delay_alu instid0(SALU_CYCLE_1)
	s_lshl_b32 s56, s7, 6
	v_subrev_nc_u32_e32 v2, s78, v1
	v_cmp_le_u32_e32 vcc_lo, s78, v1
	s_lshl_b64 s[64:65], s[56:57], 3
	s_mul_i32 s56, s5, s39
	s_add_u32 s59, s28, s64
	s_addc_u32 s87, s29, s65
	v_cndmask_b32_e32 v1, v1, v2, vcc_lo
	s_add_i32 s7, s89, s67
	s_delay_alu instid0(SALU_CYCLE_1) | instskip(SKIP_1) | instid1(VALU_DEP_1)
	s_add_i32 s100, s7, s4
	s_add_u32 s4, s20, s99
	v_subrev_nc_u32_e32 v2, s78, v1
	v_cmp_le_u32_e32 vcc_lo, s78, v1
	s_addc_u32 s5, s21, s100
	s_ashr_i32 s101, s56, 31
	s_add_u32 s89, s4, s56
	s_addc_u32 s90, s5, s101
	v_cndmask_b32_e32 v1, v1, v2, vcc_lo
	s_ashr_i32 s7, s6, 31
	s_delay_alu instid0(SALU_CYCLE_1) | instskip(NEXT) | instid1(VALU_DEP_1)
	s_lshl_b64 s[4:5], s[6:7], 2
	v_xor_b32_e32 v1, s66, v1
	s_add_u32 s4, s24, s4
	s_addc_u32 s5, s25, s5
	s_and_b32 s6, s46, exec_lo
	s_cselect_b32 s65, 0, s5
	v_subrev_nc_u32_e32 v1, s66, v1
	s_cselect_b32 s64, 0, s4
	s_cmp_lg_u32 s104, 0
	s_delay_alu instid0(VALU_DEP_1) | instskip(SKIP_3) | instid1(VALU_DEP_4)
	v_ashrrev_i32_e32 v2, 31, v1
	v_mul_lo_u32 v3, v1, s45
	v_mul_hi_u32 v4, v1, s44
	v_mul_lo_u32 v161, v1, s44
	v_mul_lo_u32 v2, v2, s44
	s_delay_alu instid0(VALU_DEP_3) | instskip(NEXT) | instid1(VALU_DEP_1)
	v_add_nc_u32_e32 v1, v4, v3
	v_add_nc_u32_e32 v162, v1, v2
	s_delay_alu instid0(VALU_DEP_4)
	v_add_co_u32 v1, vcc_lo, s22, v161
	scratch_store_b32 off, v1, off offset:92 ; 4-byte Folded Spill
	v_add_co_ci_u32_e32 v1, vcc_lo, s23, v162, vcc_lo
	v_cmp_gt_i32_e32 vcc_lo, s68, v166
	scratch_store_b32 off, v1, off offset:96 ; 4-byte Folded Spill
	s_cbranch_scc0 .LBB25_82
; %bb.13:                               ;   in Loop: Header=BB25_10 Depth=1
	scratch_load_b32 v1, off, off offset:100 ; 4-byte Folded Reload
	s_lshl_b32 vcc_hi, s91, 1
	s_xor_b32 s5, vcc_lo, -1
	s_waitcnt vmcnt(0)
	v_add_nc_u32_e32 v1, vcc_hi, v1
	s_delay_alu instid0(VALU_DEP_1) | instskip(NEXT) | instid1(VALU_DEP_1)
	v_cmp_le_i32_e64 s4, s8, v1
	s_or_b32 s4, s4, s5
	s_delay_alu instid0(SALU_CYCLE_1) | instskip(NEXT) | instid1(SALU_CYCLE_1)
	s_and_saveexec_b32 s6, s4
	s_xor_b32 s4, exec_lo, s6
	s_cbranch_execz .LBB25_15
; %bb.14:                               ;   in Loop: Header=BB25_10 Depth=1
	scratch_load_b32 v1, off, off offset:120 ; 4-byte Folded Reload
	s_waitcnt vmcnt(0)
	ds_store_2addr_b32 v1, v0, v0 offset1:32
                                        ; implicit-def: $vgpr1
.LBB25_15:                              ;   in Loop: Header=BB25_10 Depth=1
	s_and_not1_saveexec_b32 s4, s4
	s_cbranch_execz .LBB25_17
; %bb.16:                               ;   in Loop: Header=BB25_10 Depth=1
	s_clause 0x1
	scratch_load_b32 v2, off, off offset:84
	scratch_load_b32 v3, off, off offset:128
	v_mul_lo_u32 v1, v1, s51
	s_waitcnt vmcnt(0)
	s_delay_alu instid0(VALU_DEP_1) | instskip(NEXT) | instid1(VALU_DEP_1)
	v_add3_u32 v1, v1, v3, v2
	v_ashrrev_i32_e32 v2, 31, v1
	s_delay_alu instid0(VALU_DEP_1) | instskip(NEXT) | instid1(VALU_DEP_1)
	v_lshlrev_b64 v[1:2], 3, v[1:2]
	v_add_co_u32 v1, vcc_lo, s102, v1
	s_delay_alu instid0(VALU_DEP_2)
	v_add_co_ci_u32_e32 v2, vcc_lo, s103, v2, vcc_lo
	s_clause 0x1
	global_load_b64 v[3:4], v[1:2], off
	global_load_b64 v[1:2], v[1:2], off offset:256
	s_waitcnt vmcnt(1)
	v_cvt_f16_f32_e32 v3, v3
	v_cvt_f16_f32_e32 v4, v4
	s_waitcnt vmcnt(0)
	v_cvt_f16_f32_e32 v1, v1
	v_cvt_f16_f32_e32 v2, v2
	s_delay_alu instid0(VALU_DEP_3)
	v_pack_b32_f16 v3, v3, v4
	scratch_load_b32 v4, off, off offset:88 ; 4-byte Folded Reload
	v_pack_b32_f16 v1, v1, v2
	s_waitcnt vmcnt(0)
	v_pk_mul_f16 v2, v4, v3
	scratch_load_b32 v3, off, off offset:120 ; 4-byte Folded Reload
	v_pk_mul_f16 v1, v4, v1
	s_waitcnt vmcnt(0)
	ds_store_2addr_b32 v3, v2, v1 offset1:32
.LBB25_17:                              ;   in Loop: Header=BB25_10 Depth=1
	s_or_b32 exec_lo, exec_lo, s4
	s_clause 0x1
	scratch_load_b32 v1, off, off offset:136
	scratch_load_b32 v2, off, off offset:132
	s_waitcnt vmcnt(1)
	v_add_nc_u32_e32 v1, vcc_hi, v1
	s_waitcnt vmcnt(0)
	v_or_b32_e32 v2, s88, v2
	s_delay_alu instid0(VALU_DEP_2) | instskip(NEXT) | instid1(VALU_DEP_2)
	v_cmp_le_i32_e32 vcc_lo, s8, v1
	v_cmp_le_i32_e64 s4, s68, v2
	s_delay_alu instid0(VALU_DEP_1) | instskip(NEXT) | instid1(SALU_CYCLE_1)
	s_or_b32 s4, vcc_lo, s4
	s_and_saveexec_b32 s6, s4
	s_delay_alu instid0(SALU_CYCLE_1)
	s_xor_b32 s4, exec_lo, s6
	s_cbranch_execz .LBB25_19
; %bb.18:                               ;   in Loop: Header=BB25_10 Depth=1
	scratch_load_b32 v1, off, off offset:80 ; 4-byte Folded Reload
	s_waitcnt vmcnt(0)
	ds_store_2addr_b32 v1, v0, v0 offset1:32
                                        ; implicit-def: $vgpr1
.LBB25_19:                              ;   in Loop: Header=BB25_10 Depth=1
	s_and_not1_saveexec_b32 s4, s4
	s_cbranch_execz .LBB25_21
; %bb.20:                               ;   in Loop: Header=BB25_10 Depth=1
	s_clause 0x1
	scratch_load_b32 v2, off, off offset:84
	scratch_load_b32 v3, off, off offset:208
	v_mul_lo_u32 v1, v1, s51
	s_waitcnt vmcnt(0)
	s_delay_alu instid0(VALU_DEP_1) | instskip(NEXT) | instid1(VALU_DEP_1)
	v_add3_u32 v1, v1, v3, v2
	v_ashrrev_i32_e32 v2, 31, v1
	s_delay_alu instid0(VALU_DEP_1) | instskip(NEXT) | instid1(VALU_DEP_1)
	v_lshlrev_b64 v[1:2], 3, v[1:2]
	v_add_co_u32 v1, vcc_lo, s102, v1
	s_delay_alu instid0(VALU_DEP_2)
	v_add_co_ci_u32_e32 v2, vcc_lo, s103, v2, vcc_lo
	s_clause 0x1
	global_load_b64 v[3:4], v[1:2], off
	global_load_b64 v[1:2], v[1:2], off offset:256
	s_waitcnt vmcnt(1)
	v_cvt_f16_f32_e32 v3, v3
	v_cvt_f16_f32_e32 v4, v4
	s_waitcnt vmcnt(0)
	v_cvt_f16_f32_e32 v1, v1
	v_cvt_f16_f32_e32 v2, v2
	s_delay_alu instid0(VALU_DEP_3)
	v_pack_b32_f16 v3, v3, v4
	scratch_load_b32 v4, off, off offset:88 ; 4-byte Folded Reload
	v_pack_b32_f16 v1, v1, v2
	s_waitcnt vmcnt(0)
	v_pk_mul_f16 v2, v4, v3
	scratch_load_b32 v3, off, off offset:80 ; 4-byte Folded Reload
	v_pk_mul_f16 v1, v4, v1
	s_waitcnt vmcnt(0)
	ds_store_2addr_b32 v3, v2, v1 offset1:32
.LBB25_21:                              ;   in Loop: Header=BB25_10 Depth=1
	s_or_b32 exec_lo, exec_lo, s4
	s_clause 0x1
	scratch_load_b32 v1, off, off offset:148
	scratch_load_b32 v2, off, off offset:140
	s_waitcnt vmcnt(1)
	v_add_nc_u32_e32 v1, vcc_hi, v1
	s_waitcnt vmcnt(0)
	v_or_b32_e32 v2, s88, v2
	s_delay_alu instid0(VALU_DEP_2) | instskip(NEXT) | instid1(VALU_DEP_2)
	v_cmp_le_i32_e32 vcc_lo, s8, v1
	v_cmp_le_i32_e64 s4, s68, v2
	s_delay_alu instid0(VALU_DEP_1) | instskip(NEXT) | instid1(SALU_CYCLE_1)
	s_or_b32 s4, vcc_lo, s4
	s_and_saveexec_b32 s6, s4
	s_delay_alu instid0(SALU_CYCLE_1)
	s_xor_b32 s4, exec_lo, s6
	s_cbranch_execz .LBB25_23
; %bb.22:                               ;   in Loop: Header=BB25_10 Depth=1
	scratch_load_b32 v1, off, off offset:80 ; 4-byte Folded Reload
	s_waitcnt vmcnt(0)
	ds_store_2addr_b32 v1, v0, v0 offset0:136 offset1:168
                                        ; implicit-def: $vgpr1
.LBB25_23:                              ;   in Loop: Header=BB25_10 Depth=1
	s_and_not1_saveexec_b32 s4, s4
	s_cbranch_execz .LBB25_25
; %bb.24:                               ;   in Loop: Header=BB25_10 Depth=1
	s_clause 0x1
	scratch_load_b32 v2, off, off offset:84
	scratch_load_b32 v3, off, off offset:212
	v_mul_lo_u32 v1, v1, s51
	s_waitcnt vmcnt(0)
	s_delay_alu instid0(VALU_DEP_1) | instskip(NEXT) | instid1(VALU_DEP_1)
	v_add3_u32 v1, v1, v3, v2
	v_ashrrev_i32_e32 v2, 31, v1
	s_delay_alu instid0(VALU_DEP_1) | instskip(NEXT) | instid1(VALU_DEP_1)
	v_lshlrev_b64 v[1:2], 3, v[1:2]
	v_add_co_u32 v1, vcc_lo, s102, v1
	s_delay_alu instid0(VALU_DEP_2)
	v_add_co_ci_u32_e32 v2, vcc_lo, s103, v2, vcc_lo
	s_clause 0x1
	global_load_b64 v[3:4], v[1:2], off
	global_load_b64 v[1:2], v[1:2], off offset:256
	s_waitcnt vmcnt(1)
	v_cvt_f16_f32_e32 v3, v3
	v_cvt_f16_f32_e32 v4, v4
	s_waitcnt vmcnt(0)
	v_cvt_f16_f32_e32 v1, v1
	v_cvt_f16_f32_e32 v2, v2
	s_delay_alu instid0(VALU_DEP_3)
	v_pack_b32_f16 v3, v3, v4
	scratch_load_b32 v4, off, off offset:88 ; 4-byte Folded Reload
	v_pack_b32_f16 v1, v1, v2
	s_waitcnt vmcnt(0)
	v_pk_mul_f16 v2, v4, v3
	scratch_load_b32 v3, off, off offset:80 ; 4-byte Folded Reload
	v_pk_mul_f16 v1, v4, v1
	s_waitcnt vmcnt(0)
	ds_store_2addr_b32 v3, v2, v1 offset0:136 offset1:168
.LBB25_25:                              ;   in Loop: Header=BB25_10 Depth=1
	s_or_b32 exec_lo, exec_lo, s4
	s_clause 0x1
	scratch_load_b32 v1, off, off offset:152
	scratch_load_b32 v2, off, off offset:144
	s_waitcnt vmcnt(1)
	v_add_nc_u32_e32 v1, vcc_hi, v1
	s_waitcnt vmcnt(0)
	v_or_b32_e32 v2, s88, v2
	s_delay_alu instid0(VALU_DEP_2) | instskip(NEXT) | instid1(VALU_DEP_2)
	v_cmp_le_i32_e32 vcc_lo, s8, v1
	v_cmp_le_i32_e64 s4, s68, v2
	s_delay_alu instid0(VALU_DEP_1) | instskip(NEXT) | instid1(SALU_CYCLE_1)
	s_or_b32 s4, vcc_lo, s4
	s_and_saveexec_b32 s6, s4
	s_delay_alu instid0(SALU_CYCLE_1)
	s_xor_b32 s4, exec_lo, s6
	s_cbranch_execz .LBB25_27
; %bb.26:                               ;   in Loop: Header=BB25_10 Depth=1
	scratch_load_b32 v1, off, off offset:80 ; 4-byte Folded Reload
	s_waitcnt vmcnt(0)
	v_add_nc_u32_e32 v1, 0x400, v1
	ds_store_2addr_b32 v1, v0, v0 offset0:16 offset1:48
                                        ; implicit-def: $vgpr1
.LBB25_27:                              ;   in Loop: Header=BB25_10 Depth=1
	s_and_not1_saveexec_b32 s4, s4
	s_cbranch_execz .LBB25_29
; %bb.28:                               ;   in Loop: Header=BB25_10 Depth=1
	s_clause 0x1
	scratch_load_b32 v2, off, off offset:84
	scratch_load_b32 v3, off, off offset:216
	v_mul_lo_u32 v1, v1, s51
	s_waitcnt vmcnt(0)
	s_delay_alu instid0(VALU_DEP_1) | instskip(NEXT) | instid1(VALU_DEP_1)
	v_add3_u32 v1, v1, v3, v2
	v_ashrrev_i32_e32 v2, 31, v1
	s_delay_alu instid0(VALU_DEP_1) | instskip(NEXT) | instid1(VALU_DEP_1)
	v_lshlrev_b64 v[1:2], 3, v[1:2]
	v_add_co_u32 v1, vcc_lo, s102, v1
	s_delay_alu instid0(VALU_DEP_2)
	v_add_co_ci_u32_e32 v2, vcc_lo, s103, v2, vcc_lo
	s_clause 0x1
	global_load_b64 v[3:4], v[1:2], off
	global_load_b64 v[1:2], v[1:2], off offset:256
	s_waitcnt vmcnt(1)
	v_cvt_f16_f32_e32 v3, v3
	v_cvt_f16_f32_e32 v4, v4
	s_waitcnt vmcnt(0)
	v_cvt_f16_f32_e32 v1, v1
	v_cvt_f16_f32_e32 v2, v2
	s_delay_alu instid0(VALU_DEP_3)
	v_pack_b32_f16 v3, v3, v4
	scratch_load_b32 v4, off, off offset:88 ; 4-byte Folded Reload
	v_pack_b32_f16 v1, v1, v2
	s_waitcnt vmcnt(0)
	v_pk_mul_f16 v2, v4, v3
	scratch_load_b32 v3, off, off offset:80 ; 4-byte Folded Reload
	v_pk_mul_f16 v1, v4, v1
	s_waitcnt vmcnt(0)
	v_add_nc_u32_e32 v3, 0x400, v3
	ds_store_2addr_b32 v3, v2, v1 offset0:16 offset1:48
.LBB25_29:                              ;   in Loop: Header=BB25_10 Depth=1
	s_or_b32 exec_lo, exec_lo, s4
	scratch_load_b32 v1, off, off offset:160 ; 4-byte Folded Reload
	s_waitcnt vmcnt(0)
	v_add_nc_u32_e32 v1, vcc_hi, v1
	s_delay_alu instid0(VALU_DEP_1) | instskip(SKIP_1) | instid1(SALU_CYCLE_1)
	v_cmp_le_i32_e32 vcc_lo, s8, v1
	s_or_b32 s4, vcc_lo, s5
	s_and_saveexec_b32 s5, s4
	s_delay_alu instid0(SALU_CYCLE_1)
	s_xor_b32 s4, exec_lo, s5
	s_cbranch_execz .LBB25_31
; %bb.30:                               ;   in Loop: Header=BB25_10 Depth=1
	scratch_load_b32 v1, off, off offset:80 ; 4-byte Folded Reload
	s_waitcnt vmcnt(0)
	v_add_nc_u32_e32 v1, 0x400, v1
	ds_store_2addr_b32 v1, v0, v0 offset0:152 offset1:184
                                        ; implicit-def: $vgpr1
.LBB25_31:                              ;   in Loop: Header=BB25_10 Depth=1
	s_and_not1_saveexec_b32 s4, s4
	s_cbranch_execz .LBB25_33
; %bb.32:                               ;   in Loop: Header=BB25_10 Depth=1
	s_clause 0x1
	scratch_load_b32 v2, off, off offset:84
	scratch_load_b32 v3, off, off offset:128
	v_mul_lo_u32 v1, v1, s51
	s_waitcnt vmcnt(0)
	s_delay_alu instid0(VALU_DEP_1) | instskip(NEXT) | instid1(VALU_DEP_1)
	v_add3_u32 v1, v1, v3, v2
	v_ashrrev_i32_e32 v2, 31, v1
	s_delay_alu instid0(VALU_DEP_1) | instskip(NEXT) | instid1(VALU_DEP_1)
	v_lshlrev_b64 v[1:2], 3, v[1:2]
	v_add_co_u32 v1, vcc_lo, s102, v1
	s_delay_alu instid0(VALU_DEP_2)
	v_add_co_ci_u32_e32 v2, vcc_lo, s103, v2, vcc_lo
	s_clause 0x1
	global_load_b64 v[3:4], v[1:2], off
	global_load_b64 v[1:2], v[1:2], off offset:256
	s_waitcnt vmcnt(1)
	v_cvt_f16_f32_e32 v3, v3
	v_cvt_f16_f32_e32 v4, v4
	s_waitcnt vmcnt(0)
	v_cvt_f16_f32_e32 v1, v1
	v_cvt_f16_f32_e32 v2, v2
	s_delay_alu instid0(VALU_DEP_3)
	v_pack_b32_f16 v3, v3, v4
	scratch_load_b32 v4, off, off offset:88 ; 4-byte Folded Reload
	v_pack_b32_f16 v1, v1, v2
	s_waitcnt vmcnt(0)
	v_pk_mul_f16 v2, v4, v3
	scratch_load_b32 v3, off, off offset:80 ; 4-byte Folded Reload
	v_pk_mul_f16 v1, v4, v1
	s_waitcnt vmcnt(0)
	v_add_nc_u32_e32 v3, 0x400, v3
	ds_store_2addr_b32 v3, v2, v1 offset0:152 offset1:184
.LBB25_33:                              ;   in Loop: Header=BB25_10 Depth=1
	s_or_b32 exec_lo, exec_lo, s4
	s_clause 0x1
	scratch_load_b32 v1, off, off offset:168
	scratch_load_b32 v2, off, off offset:156
	s_waitcnt vmcnt(1)
	v_add_nc_u32_e32 v1, vcc_hi, v1
	s_waitcnt vmcnt(0)
	v_or_b32_e32 v2, s88, v2
	s_delay_alu instid0(VALU_DEP_2) | instskip(NEXT) | instid1(VALU_DEP_2)
	v_cmp_le_i32_e32 vcc_lo, s8, v1
	v_cmp_le_i32_e64 s4, s68, v2
	s_delay_alu instid0(VALU_DEP_1) | instskip(NEXT) | instid1(SALU_CYCLE_1)
	s_or_b32 s4, vcc_lo, s4
	s_and_saveexec_b32 s5, s4
	s_delay_alu instid0(SALU_CYCLE_1)
	s_xor_b32 s4, exec_lo, s5
	s_cbranch_execz .LBB25_35
; %bb.34:                               ;   in Loop: Header=BB25_10 Depth=1
	scratch_load_b32 v1, off, off offset:80 ; 4-byte Folded Reload
	s_waitcnt vmcnt(0)
	v_add_nc_u32_e32 v1, 0x800, v1
	ds_store_2addr_b32 v1, v0, v0 offset0:32 offset1:64
                                        ; implicit-def: $vgpr1
.LBB25_35:                              ;   in Loop: Header=BB25_10 Depth=1
	s_and_not1_saveexec_b32 s4, s4
	s_cbranch_execz .LBB25_37
; %bb.36:                               ;   in Loop: Header=BB25_10 Depth=1
	s_clause 0x1
	scratch_load_b32 v2, off, off offset:84
	scratch_load_b32 v3, off, off offset:220
	v_mul_lo_u32 v1, v1, s51
	s_waitcnt vmcnt(0)
	s_delay_alu instid0(VALU_DEP_1) | instskip(NEXT) | instid1(VALU_DEP_1)
	v_add3_u32 v1, v1, v3, v2
	v_ashrrev_i32_e32 v2, 31, v1
	s_delay_alu instid0(VALU_DEP_1) | instskip(NEXT) | instid1(VALU_DEP_1)
	v_lshlrev_b64 v[1:2], 3, v[1:2]
	v_add_co_u32 v1, vcc_lo, s102, v1
	s_delay_alu instid0(VALU_DEP_2)
	v_add_co_ci_u32_e32 v2, vcc_lo, s103, v2, vcc_lo
	s_clause 0x1
	global_load_b64 v[3:4], v[1:2], off
	global_load_b64 v[1:2], v[1:2], off offset:256
	s_waitcnt vmcnt(1)
	v_cvt_f16_f32_e32 v3, v3
	v_cvt_f16_f32_e32 v4, v4
	s_waitcnt vmcnt(0)
	v_cvt_f16_f32_e32 v1, v1
	v_cvt_f16_f32_e32 v2, v2
	s_delay_alu instid0(VALU_DEP_3)
	v_pack_b32_f16 v3, v3, v4
	scratch_load_b32 v4, off, off offset:88 ; 4-byte Folded Reload
	v_pack_b32_f16 v1, v1, v2
	s_waitcnt vmcnt(0)
	v_pk_mul_f16 v2, v4, v3
	scratch_load_b32 v3, off, off offset:80 ; 4-byte Folded Reload
	v_pk_mul_f16 v1, v4, v1
	s_waitcnt vmcnt(0)
	v_add_nc_u32_e32 v3, 0x800, v3
	ds_store_2addr_b32 v3, v2, v1 offset0:32 offset1:64
.LBB25_37:                              ;   in Loop: Header=BB25_10 Depth=1
	s_or_b32 exec_lo, exec_lo, s4
	s_clause 0x1
	scratch_load_b32 v1, off, off offset:176
	scratch_load_b32 v2, off, off offset:164
	s_waitcnt vmcnt(1)
	v_add_nc_u32_e32 v1, vcc_hi, v1
	s_waitcnt vmcnt(0)
	v_or_b32_e32 v2, s88, v2
	s_delay_alu instid0(VALU_DEP_2) | instskip(NEXT) | instid1(VALU_DEP_2)
	v_cmp_le_i32_e32 vcc_lo, s8, v1
	v_cmp_le_i32_e64 s4, s68, v2
	s_delay_alu instid0(VALU_DEP_1) | instskip(NEXT) | instid1(SALU_CYCLE_1)
	;; [unrolled: 61-line block ×3, first 2 shown]
	s_or_b32 s4, vcc_lo, s4
	s_and_saveexec_b32 s5, s4
	s_delay_alu instid0(SALU_CYCLE_1)
	s_xor_b32 s4, exec_lo, s5
	s_cbranch_execz .LBB25_43
; %bb.42:                               ;   in Loop: Header=BB25_10 Depth=1
	scratch_load_b32 v1, off, off offset:80 ; 4-byte Folded Reload
	s_waitcnt vmcnt(0)
	v_add_nc_u32_e32 v1, 0xc00, v1
	ds_store_2addr_b32 v1, v0, v0 offset0:48 offset1:80
                                        ; implicit-def: $vgpr1
.LBB25_43:                              ;   in Loop: Header=BB25_10 Depth=1
	s_and_not1_saveexec_b32 s4, s4
	s_cbranch_execz .LBB25_45
; %bb.44:                               ;   in Loop: Header=BB25_10 Depth=1
	s_clause 0x1
	scratch_load_b32 v2, off, off offset:84
	scratch_load_b32 v3, off, off offset:228
	v_mul_lo_u32 v1, v1, s51
	s_waitcnt vmcnt(0)
	s_delay_alu instid0(VALU_DEP_1) | instskip(NEXT) | instid1(VALU_DEP_1)
	v_add3_u32 v1, v1, v3, v2
	v_ashrrev_i32_e32 v2, 31, v1
	s_delay_alu instid0(VALU_DEP_1) | instskip(NEXT) | instid1(VALU_DEP_1)
	v_lshlrev_b64 v[1:2], 3, v[1:2]
	v_add_co_u32 v1, vcc_lo, s102, v1
	s_delay_alu instid0(VALU_DEP_2)
	v_add_co_ci_u32_e32 v2, vcc_lo, s103, v2, vcc_lo
	s_clause 0x1
	global_load_b64 v[3:4], v[1:2], off
	global_load_b64 v[1:2], v[1:2], off offset:256
	s_waitcnt vmcnt(1)
	v_cvt_f16_f32_e32 v3, v3
	v_cvt_f16_f32_e32 v4, v4
	s_waitcnt vmcnt(0)
	v_cvt_f16_f32_e32 v1, v1
	v_cvt_f16_f32_e32 v2, v2
	s_delay_alu instid0(VALU_DEP_3)
	v_pack_b32_f16 v3, v3, v4
	scratch_load_b32 v4, off, off offset:88 ; 4-byte Folded Reload
	v_pack_b32_f16 v1, v1, v2
	s_waitcnt vmcnt(0)
	v_pk_mul_f16 v2, v4, v3
	scratch_load_b32 v3, off, off offset:80 ; 4-byte Folded Reload
	v_pk_mul_f16 v1, v4, v1
	s_waitcnt vmcnt(0)
	v_add_nc_u32_e32 v3, 0xc00, v3
	ds_store_2addr_b32 v3, v2, v1 offset0:48 offset1:80
.LBB25_45:                              ;   in Loop: Header=BB25_10 Depth=1
	s_or_b32 exec_lo, exec_lo, s4
	s_clause 0x1
	scratch_load_b32 v1, off, off offset:108
	scratch_load_b32 v2, off, off offset:124
	s_waitcnt vmcnt(0) lgkmcnt(0)
	s_waitcnt_vscnt null, 0x0
	s_barrier
	buffer_gl0_inv
	v_mov_b32_e32 v39, 0
	s_add_i32 s94, s52, -1
	s_delay_alu instid0(SALU_CYCLE_1)
	s_cmp_le_i32 s94, s104
	v_add_nc_u32_e32 v1, v1, v2
	ds_load_b128 v[80:83], v1
	ds_load_b128 v[84:87], v1 offset:16
	ds_load_b128 v[40:43], v1 offset:32
	;; [unrolled: 1-line block ×15, first 2 shown]
	s_waitcnt lgkmcnt(0)
	s_barrier
	buffer_gl0_inv
	s_cbranch_scc1 .LBB25_83
; %bb.46:                               ;   in Loop: Header=BB25_10 Depth=1
	s_clause 0x1
	scratch_load_b32 v1, off, off offset:104
	scratch_load_b32 v4, off, off offset:192
	v_xor_b32_e32 v3, 16, v15
	s_lshl_b32 s66, s104, 5
	v_mov_b32_e32 v8, 0
	v_mov_b32_e32 v150, 0xfeffffff
	;; [unrolled: 1-line block ×3, first 2 shown]
	v_cmp_gt_i32_e32 vcc_lo, 32, v3
	v_mov_b32_e32 v147, 0
	v_mov_b32_e32 v9, v8
	;; [unrolled: 1-line block ×3, first 2 shown]
	v_dual_mov_b32 v10, v8 :: v_dual_cndmask_b32 v3, v6, v3
	v_mov_b32_e32 v12, v8
	v_mov_b32_e32 v14, v8
	;; [unrolled: 1-line block ×4, first 2 shown]
	v_dual_mov_b32 v17, v8 :: v_dual_lshlrev_b32 v112, 2, v3
	v_mov_b32_e32 v18, v8
	v_mov_b32_e32 v19, v8
	;; [unrolled: 1-line block ×22, first 2 shown]
	s_waitcnt vmcnt(1)
	v_add_nc_u32_e32 v1, s91, v1
	s_delay_alu instid0(VALU_DEP_1) | instskip(NEXT) | instid1(VALU_DEP_1)
	v_lshl_add_u32 v1, v1, 1, v178
	v_mul_hi_u32 v2, s12, v1
	s_delay_alu instid0(VALU_DEP_1) | instskip(NEXT) | instid1(VALU_DEP_1)
	v_dual_mov_b32 v11, v8 :: v_dual_add_nc_u32 v2, v1, v2
	v_lshrrev_b32_e32 v2, s13, v2
	s_delay_alu instid0(VALU_DEP_1) | instskip(NEXT) | instid1(VALU_DEP_1)
	v_mul_lo_u32 v2, v2, s8
	v_sub_nc_u32_e32 v5, v1, v2
	s_delay_alu instid0(VALU_DEP_1)
	v_mad_i64_i32 v[1:2], null, v5, s40, 0
	scratch_load_b32 v5, off, off offset:92 ; 4-byte Folded Reload
	s_waitcnt vmcnt(1)
	v_lshlrev_b32_e32 v4, 1, v4
	v_lshlrev_b64 v[1:2], 1, v[1:2]
	s_waitcnt vmcnt(0)
	s_delay_alu instid0(VALU_DEP_1) | instskip(SKIP_4) | instid1(VALU_DEP_2)
	v_add_co_u32 v1, vcc_lo, v5, v1
	scratch_load_b32 v5, off, off offset:96 ; 4-byte Folded Reload
	s_waitcnt vmcnt(0)
	v_add_co_ci_u32_e32 v2, vcc_lo, v5, v2, vcc_lo
	v_add_co_u32 v113, vcc_lo, v1, v4
	v_add_co_ci_u32_e32 v146, vcc_lo, 0, v2, vcc_lo
	s_ashr_i32 s67, s66, 31
	s_and_saveexec_b32 s4, s0
	s_cbranch_execz .LBB25_48
.LBB25_47:                              ;   in Loop: Header=BB25_10 Depth=1
	s_lshl_b64 s[6:7], s[66:67], 1
	s_delay_alu instid0(SALU_CYCLE_1)
	v_add_co_u32 v1, vcc_lo, v113, s6
	v_add_co_ci_u32_e32 v2, vcc_lo, s7, v146, vcc_lo
	global_load_b32 v1, v[1:2], off
	scratch_load_b32 v2, off, off offset:76 ; 4-byte Folded Reload
	s_waitcnt vmcnt(0)
	ds_store_b32 v2, v1 offset:8704
.LBB25_48:                              ;   Parent Loop BB25_10 Depth=1
                                        ; =>  This Inner Loop Header: Depth=2
	s_or_b32 exec_lo, exec_lo, s4
	scratch_load_b32 v1, off, off           ; 4-byte Folded Reload
	s_mul_hi_i32 s5, s66, s34
	s_mul_i32 s4, s66, s34
	v_mov_b32_e32 v7, v0
	s_lshl_b64 s[4:5], s[4:5], 2
	s_delay_alu instid0(SALU_CYCLE_1)
	s_add_u32 s4, s92, s4
	s_addc_u32 s5, s93, s5
	s_waitcnt vmcnt(0)
	v_lshlrev_b32_e32 v151, 2, v1
	scratch_load_b64 v[1:2], off, off offset:68 ; 8-byte Folded Reload
	s_waitcnt vmcnt(0)
	v_add_co_u32 v1, vcc_lo, s4, v1
	v_add_co_ci_u32_e32 v2, vcc_lo, s5, v2, vcc_lo
	s_delay_alu instid0(VALU_DEP_2) | instskip(NEXT) | instid1(VALU_DEP_2)
	v_add_co_u32 v1, vcc_lo, v1, v151
	v_add_co_ci_u32_e32 v2, vcc_lo, 0, v2, vcc_lo
	v_add_co_u32 v3, vcc_lo, s4, v132
	v_add_co_ci_u32_e32 v4, vcc_lo, s5, v133, vcc_lo
	s_delay_alu instid0(VALU_DEP_2) | instskip(NEXT) | instid1(VALU_DEP_2)
	v_add_co_u32 v5, vcc_lo, v3, v151
	v_add_co_ci_u32_e32 v6, vcc_lo, 0, v4, vcc_lo
	s_clause 0x1
	global_load_b128 v[1:4], v[1:2], off
	global_load_b128 v[104:107], v[5:6], off
	s_waitcnt vmcnt(1)
	ds_store_b128 v184, v[1:4]
	s_waitcnt vmcnt(0)
	ds_store_b128 v245, v[104:107]
	v_add_co_u32 v1, vcc_lo, s4, v134
	v_add_co_ci_u32_e32 v2, vcc_lo, s5, v135, vcc_lo
	s_delay_alu instid0(VALU_DEP_2) | instskip(NEXT) | instid1(VALU_DEP_2)
	v_add_co_u32 v1, vcc_lo, v1, v151
	v_add_co_ci_u32_e32 v2, vcc_lo, 0, v2, vcc_lo
	v_add_co_u32 v3, vcc_lo, s4, v136
	v_add_co_ci_u32_e32 v4, vcc_lo, s5, v137, vcc_lo
	s_delay_alu instid0(VALU_DEP_2) | instskip(NEXT) | instid1(VALU_DEP_2)
	v_add_co_u32 v5, vcc_lo, v3, v151
	v_add_co_ci_u32_e32 v6, vcc_lo, 0, v4, vcc_lo
	s_clause 0x1
	global_load_b128 v[1:4], v[1:2], off
	global_load_b128 v[104:107], v[5:6], off
	s_waitcnt vmcnt(1)
	ds_store_b128 v246, v[1:4]
	s_waitcnt vmcnt(0)
	ds_store_b128 v247, v[104:107]
	v_add_co_u32 v1, vcc_lo, s4, v138
	v_add_co_ci_u32_e32 v2, vcc_lo, s5, v139, vcc_lo
	s_delay_alu instid0(VALU_DEP_2) | instskip(NEXT) | instid1(VALU_DEP_2)
	v_add_co_u32 v1, vcc_lo, v1, v151
	v_add_co_ci_u32_e32 v2, vcc_lo, 0, v2, vcc_lo
	v_add_co_u32 v3, vcc_lo, s4, v140
	v_add_co_ci_u32_e32 v4, vcc_lo, s5, v141, vcc_lo
	s_delay_alu instid0(VALU_DEP_2) | instskip(NEXT) | instid1(VALU_DEP_2)
	v_add_co_u32 v5, vcc_lo, v3, v151
	v_add_co_ci_u32_e32 v6, vcc_lo, 0, v4, vcc_lo
	s_clause 0x1
	global_load_b128 v[1:4], v[1:2], off
	global_load_b128 v[104:107], v[5:6], off
	s_waitcnt vmcnt(1)
	ds_store_b128 v248, v[1:4]
	s_waitcnt vmcnt(0)
	ds_store_b128 v249, v[104:107]
	v_add_co_u32 v1, vcc_lo, s4, v142
	v_add_co_ci_u32_e32 v2, vcc_lo, s5, v143, vcc_lo
	s_delay_alu instid0(VALU_DEP_2) | instskip(NEXT) | instid1(VALU_DEP_2)
	v_add_co_u32 v1, vcc_lo, v1, v151
	v_add_co_ci_u32_e32 v2, vcc_lo, 0, v2, vcc_lo
	v_add_co_u32 v3, vcc_lo, s4, v144
	v_add_co_ci_u32_e32 v4, vcc_lo, s5, v145, vcc_lo
	s_delay_alu instid0(VALU_DEP_2) | instskip(NEXT) | instid1(VALU_DEP_2)
	v_add_co_u32 v5, vcc_lo, v3, v151
	v_add_co_ci_u32_e32 v6, vcc_lo, 0, v4, vcc_lo
	s_clause 0x1
	global_load_b128 v[1:4], v[1:2], off
	global_load_b128 v[104:107], v[5:6], off
	v_mov_b32_e32 v5, v0
	v_mov_b32_e32 v6, v0
	s_waitcnt vmcnt(1)
	ds_store_b128 v250, v[1:4]
	s_waitcnt vmcnt(0)
	ds_store_b128 v251, v[104:107]
	v_mov_b32_e32 v2, v0
	s_waitcnt lgkmcnt(0)
	s_barrier
	buffer_gl0_inv
	ds_load_b128 v[207:210], v182
	ds_load_b128 v[211:214], v182 offset:16
	v_mov_b32_e32 v1, v0
	v_mov_b32_e32 v3, v0
	;; [unrolled: 1-line block ×3, first 2 shown]
	v_dual_mov_b32 v111, v7 :: v_dual_mov_b32 v110, v6
	v_mov_b32_e32 v109, v5
	s_delay_alu instid0(VALU_DEP_4) | instskip(NEXT) | instid1(VALU_DEP_4)
	v_dual_mov_b32 v107, v3 :: v_dual_mov_b32 v106, v2
	v_dual_mov_b32 v108, v4 :: v_dual_mov_b32 v105, v1
	v_mov_b32_e32 v104, v0
                                        ; implicit-def: $vgpr1
	s_waitcnt lgkmcnt(0)
	s_delay_alu instid0(VALU_DEP_1)
	v_wmma_f32_16x16x16_f16 v[104:111], v[207:214], v[80:87], v[104:111]
	ds_load_b128 v[207:210], v182 offset:32
	ds_load_b128 v[211:214], v182 offset:48
	s_waitcnt lgkmcnt(0)
	v_wmma_f32_16x16x16_f16 v[104:111], v[207:214], v[40:47], v[104:111]
	ds_load_b128 v[207:210], v182 offset:64
	ds_load_b128 v[211:214], v182 offset:80
	s_waitcnt lgkmcnt(0)
	v_wmma_f32_16x16x16_f16 v[104:111], v[207:214], v[64:71], v[104:111]
	ds_load_b128 v[207:210], v182 offset:96
	ds_load_b128 v[211:214], v182 offset:112
	s_waitcnt lgkmcnt(0)
	v_wmma_f32_16x16x16_f16 v[104:111], v[207:214], v[56:63], v[104:111]
	ds_load_b128 v[207:210], v182 offset:128
	ds_load_b128 v[211:214], v182 offset:144
	s_waitcnt lgkmcnt(0)
	v_wmma_f32_16x16x16_f16 v[104:111], v[207:214], v[48:55], v[104:111]
	ds_load_b128 v[207:210], v182 offset:160
	ds_load_b128 v[211:214], v182 offset:176
	s_waitcnt lgkmcnt(0)
	v_wmma_f32_16x16x16_f16 v[104:111], v[207:214], v[72:79], v[104:111]
	ds_load_b128 v[207:210], v182 offset:192
	ds_load_b128 v[211:214], v182 offset:208
	s_waitcnt lgkmcnt(0)
	v_wmma_f32_16x16x16_f16 v[104:111], v[207:214], v[88:95], v[104:111]
	ds_load_b128 v[207:210], v182 offset:224
	ds_load_b128 v[211:214], v182 offset:240
	s_waitcnt lgkmcnt(0)
	s_barrier
	buffer_gl0_inv
	v_wmma_f32_16x16x16_f16 v[104:111], v[207:214], v[96:103], v[104:111]
	s_delay_alu instid0(VALU_DEP_1) | instskip(NEXT) | instid1(VALU_DEP_1)
	v_cmp_ngt_f32_e64 s4, 0x3f200000, |v104|
	s_and_saveexec_b32 s5, s4
	s_delay_alu instid0(SALU_CYCLE_1)
	s_xor_b32 s4, exec_lo, s5
	s_cbranch_execz .LBB25_50
; %bb.49:                               ;   in Loop: Header=BB25_48 Depth=2
	v_add_f32_e64 v1, |v104|, |v104|
	s_delay_alu instid0(VALU_DEP_1) | instskip(SKIP_1) | instid1(VALU_DEP_2)
	v_mul_f32_e32 v2, 0x3fb8aa3b, v1
	v_cmp_ngt_f32_e32 vcc_lo, 0xc2ce8ed0, v1
	v_rndne_f32_e32 v3, v2
	v_fma_f32 v4, 0x3fb8aa3b, v1, -v2
	s_delay_alu instid0(VALU_DEP_2) | instskip(NEXT) | instid1(VALU_DEP_2)
	v_sub_f32_e32 v2, v2, v3
	v_fmac_f32_e32 v4, 0x32a5705f, v1
	v_cvt_i32_f32_e32 v3, v3
	s_delay_alu instid0(VALU_DEP_2) | instskip(NEXT) | instid1(VALU_DEP_1)
	v_add_f32_e32 v2, v2, v4
	v_exp_f32_e32 v2, v2
	s_waitcnt_depctr 0xfff
	v_ldexp_f32 v2, v2, v3
	s_delay_alu instid0(VALU_DEP_1) | instskip(SKIP_1) | instid1(VALU_DEP_2)
	v_cndmask_b32_e32 v2, 0, v2, vcc_lo
	v_cmp_nlt_f32_e32 vcc_lo, 0x42b17218, v1
	v_cndmask_b32_e32 v1, 0x7f800000, v2, vcc_lo
	s_delay_alu instid0(VALU_DEP_1) | instskip(NEXT) | instid1(VALU_DEP_1)
	v_add_f32_e32 v1, 1.0, v1
	v_rcp_f32_e32 v1, v1
	s_waitcnt_depctr 0xfff
	v_fma_f32 v1, v1, -2.0, 1.0
.LBB25_50:                              ;   in Loop: Header=BB25_48 Depth=2
	s_and_not1_saveexec_b32 s4, s4
; %bb.51:                               ;   in Loop: Header=BB25_48 Depth=2
	v_mul_f32_e32 v1, v104, v104
	s_delay_alu instid0(VALU_DEP_1) | instskip(NEXT) | instid1(VALU_DEP_1)
	v_fmaak_f32 v2, s41, v1, 0x3ca908c9
	v_fmaak_f32 v2, v1, v2, 0xbd5c1c4e
	s_delay_alu instid0(VALU_DEP_1) | instskip(NEXT) | instid1(VALU_DEP_1)
	v_fmaak_f32 v2, v1, v2, 0x3e088382
	v_fmaak_f32 v2, v1, v2, 0xbeaaaa99
	s_delay_alu instid0(VALU_DEP_1) | instskip(NEXT) | instid1(VALU_DEP_1)
	v_mul_f32_e64 v2, |v104|, v2
	v_fma_f32 v1, v1, v2, |v104|
; %bb.52:                               ;   in Loop: Header=BB25_48 Depth=2
	s_or_b32 exec_lo, exec_lo, s4
	v_cmp_ngt_f32_e64 s4, 0x3f200000, |v105|
                                        ; implicit-def: $vgpr2
	s_delay_alu instid0(VALU_DEP_1) | instskip(NEXT) | instid1(SALU_CYCLE_1)
	s_and_saveexec_b32 s5, s4
	s_xor_b32 s4, exec_lo, s5
	s_cbranch_execz .LBB25_54
; %bb.53:                               ;   in Loop: Header=BB25_48 Depth=2
	v_add_f32_e64 v2, |v105|, |v105|
	s_delay_alu instid0(VALU_DEP_1) | instskip(SKIP_1) | instid1(VALU_DEP_2)
	v_mul_f32_e32 v3, 0x3fb8aa3b, v2
	v_cmp_ngt_f32_e32 vcc_lo, 0xc2ce8ed0, v2
	v_rndne_f32_e32 v4, v3
	v_fma_f32 v5, 0x3fb8aa3b, v2, -v3
	s_delay_alu instid0(VALU_DEP_2) | instskip(NEXT) | instid1(VALU_DEP_2)
	v_sub_f32_e32 v3, v3, v4
	v_fmac_f32_e32 v5, 0x32a5705f, v2
	v_cvt_i32_f32_e32 v4, v4
	s_delay_alu instid0(VALU_DEP_2) | instskip(NEXT) | instid1(VALU_DEP_1)
	v_add_f32_e32 v3, v3, v5
	v_exp_f32_e32 v3, v3
	s_waitcnt_depctr 0xfff
	v_ldexp_f32 v3, v3, v4
	s_delay_alu instid0(VALU_DEP_1) | instskip(SKIP_1) | instid1(VALU_DEP_2)
	v_cndmask_b32_e32 v3, 0, v3, vcc_lo
	v_cmp_nlt_f32_e32 vcc_lo, 0x42b17218, v2
	v_cndmask_b32_e32 v2, 0x7f800000, v3, vcc_lo
	s_delay_alu instid0(VALU_DEP_1) | instskip(NEXT) | instid1(VALU_DEP_1)
	v_add_f32_e32 v2, 1.0, v2
	v_rcp_f32_e32 v2, v2
	s_waitcnt_depctr 0xfff
	v_fma_f32 v2, v2, -2.0, 1.0
.LBB25_54:                              ;   in Loop: Header=BB25_48 Depth=2
	s_and_not1_saveexec_b32 s4, s4
; %bb.55:                               ;   in Loop: Header=BB25_48 Depth=2
	v_mul_f32_e32 v2, v105, v105
	s_delay_alu instid0(VALU_DEP_1) | instskip(NEXT) | instid1(VALU_DEP_1)
	v_fmaak_f32 v3, s41, v2, 0x3ca908c9
	v_fmaak_f32 v3, v2, v3, 0xbd5c1c4e
	s_delay_alu instid0(VALU_DEP_1) | instskip(NEXT) | instid1(VALU_DEP_1)
	v_fmaak_f32 v3, v2, v3, 0x3e088382
	v_fmaak_f32 v3, v2, v3, 0xbeaaaa99
	s_delay_alu instid0(VALU_DEP_1) | instskip(NEXT) | instid1(VALU_DEP_1)
	v_mul_f32_e64 v3, |v105|, v3
	v_fma_f32 v2, v2, v3, |v105|
; %bb.56:                               ;   in Loop: Header=BB25_48 Depth=2
	s_or_b32 exec_lo, exec_lo, s4
	v_cmp_ngt_f32_e64 s4, 0x3f200000, |v106|
                                        ; implicit-def: $vgpr3
	s_delay_alu instid0(VALU_DEP_1) | instskip(NEXT) | instid1(SALU_CYCLE_1)
	s_and_saveexec_b32 s5, s4
	s_xor_b32 s4, exec_lo, s5
	s_cbranch_execz .LBB25_58
; %bb.57:                               ;   in Loop: Header=BB25_48 Depth=2
	v_add_f32_e64 v3, |v106|, |v106|
	s_delay_alu instid0(VALU_DEP_1) | instskip(SKIP_1) | instid1(VALU_DEP_2)
	v_mul_f32_e32 v4, 0x3fb8aa3b, v3
	v_cmp_ngt_f32_e32 vcc_lo, 0xc2ce8ed0, v3
	v_rndne_f32_e32 v5, v4
	v_fma_f32 v6, 0x3fb8aa3b, v3, -v4
	s_delay_alu instid0(VALU_DEP_2) | instskip(NEXT) | instid1(VALU_DEP_2)
	v_sub_f32_e32 v4, v4, v5
	v_fmac_f32_e32 v6, 0x32a5705f, v3
	v_cvt_i32_f32_e32 v5, v5
	s_delay_alu instid0(VALU_DEP_2) | instskip(NEXT) | instid1(VALU_DEP_1)
	v_add_f32_e32 v4, v4, v6
	v_exp_f32_e32 v4, v4
	s_waitcnt_depctr 0xfff
	v_ldexp_f32 v4, v4, v5
	s_delay_alu instid0(VALU_DEP_1) | instskip(SKIP_1) | instid1(VALU_DEP_2)
	v_cndmask_b32_e32 v4, 0, v4, vcc_lo
	v_cmp_nlt_f32_e32 vcc_lo, 0x42b17218, v3
	v_cndmask_b32_e32 v3, 0x7f800000, v4, vcc_lo
	s_delay_alu instid0(VALU_DEP_1) | instskip(NEXT) | instid1(VALU_DEP_1)
	v_add_f32_e32 v3, 1.0, v3
	v_rcp_f32_e32 v3, v3
	s_waitcnt_depctr 0xfff
	v_fma_f32 v3, v3, -2.0, 1.0
.LBB25_58:                              ;   in Loop: Header=BB25_48 Depth=2
	s_and_not1_saveexec_b32 s4, s4
; %bb.59:                               ;   in Loop: Header=BB25_48 Depth=2
	v_mul_f32_e32 v3, v106, v106
	s_delay_alu instid0(VALU_DEP_1) | instskip(NEXT) | instid1(VALU_DEP_1)
	v_fmaak_f32 v4, s41, v3, 0x3ca908c9
	v_fmaak_f32 v4, v3, v4, 0xbd5c1c4e
	s_delay_alu instid0(VALU_DEP_1) | instskip(NEXT) | instid1(VALU_DEP_1)
	v_fmaak_f32 v4, v3, v4, 0x3e088382
	v_fmaak_f32 v4, v3, v4, 0xbeaaaa99
	s_delay_alu instid0(VALU_DEP_1) | instskip(NEXT) | instid1(VALU_DEP_1)
	v_mul_f32_e64 v4, |v106|, v4
	v_fma_f32 v3, v3, v4, |v106|
; %bb.60:                               ;   in Loop: Header=BB25_48 Depth=2
	s_or_b32 exec_lo, exec_lo, s4
	v_cmp_ngt_f32_e64 s4, 0x3f200000, |v107|
                                        ; implicit-def: $vgpr5
	s_delay_alu instid0(VALU_DEP_1) | instskip(NEXT) | instid1(SALU_CYCLE_1)
	s_and_saveexec_b32 s5, s4
	s_xor_b32 s4, exec_lo, s5
	s_cbranch_execz .LBB25_62
; %bb.61:                               ;   in Loop: Header=BB25_48 Depth=2
	v_add_f32_e64 v4, |v107|, |v107|
	s_delay_alu instid0(VALU_DEP_1) | instskip(SKIP_1) | instid1(VALU_DEP_2)
	v_mul_f32_e32 v5, 0x3fb8aa3b, v4
	v_cmp_ngt_f32_e32 vcc_lo, 0xc2ce8ed0, v4
	v_rndne_f32_e32 v6, v5
	v_fma_f32 v7, 0x3fb8aa3b, v4, -v5
	s_delay_alu instid0(VALU_DEP_2) | instskip(NEXT) | instid1(VALU_DEP_2)
	v_sub_f32_e32 v5, v5, v6
	v_fmac_f32_e32 v7, 0x32a5705f, v4
	v_cvt_i32_f32_e32 v6, v6
	s_delay_alu instid0(VALU_DEP_2) | instskip(NEXT) | instid1(VALU_DEP_1)
	v_add_f32_e32 v5, v5, v7
	v_exp_f32_e32 v5, v5
	s_waitcnt_depctr 0xfff
	v_ldexp_f32 v5, v5, v6
	s_delay_alu instid0(VALU_DEP_1) | instskip(SKIP_1) | instid1(VALU_DEP_2)
	v_cndmask_b32_e32 v5, 0, v5, vcc_lo
	v_cmp_nlt_f32_e32 vcc_lo, 0x42b17218, v4
	v_cndmask_b32_e32 v4, 0x7f800000, v5, vcc_lo
	s_delay_alu instid0(VALU_DEP_1) | instskip(NEXT) | instid1(VALU_DEP_1)
	v_add_f32_e32 v4, 1.0, v4
	v_rcp_f32_e32 v4, v4
	s_waitcnt_depctr 0xfff
	v_fma_f32 v5, v4, -2.0, 1.0
.LBB25_62:                              ;   in Loop: Header=BB25_48 Depth=2
	s_and_not1_saveexec_b32 s4, s4
; %bb.63:                               ;   in Loop: Header=BB25_48 Depth=2
	v_mul_f32_e32 v4, v107, v107
	s_delay_alu instid0(VALU_DEP_1) | instskip(NEXT) | instid1(VALU_DEP_1)
	v_fmaak_f32 v5, s41, v4, 0x3ca908c9
	v_fmaak_f32 v5, v4, v5, 0xbd5c1c4e
	s_delay_alu instid0(VALU_DEP_1) | instskip(NEXT) | instid1(VALU_DEP_1)
	v_fmaak_f32 v5, v4, v5, 0x3e088382
	v_fmaak_f32 v5, v4, v5, 0xbeaaaa99
	s_delay_alu instid0(VALU_DEP_1) | instskip(NEXT) | instid1(VALU_DEP_1)
	v_mul_f32_e64 v5, |v107|, v5
	v_fma_f32 v5, v4, v5, |v107|
; %bb.64:                               ;   in Loop: Header=BB25_48 Depth=2
	s_or_b32 exec_lo, exec_lo, s4
	v_cmp_ngt_f32_e64 s4, 0x3f200000, |v108|
                                        ; implicit-def: $vgpr4
	s_delay_alu instid0(VALU_DEP_1) | instskip(NEXT) | instid1(SALU_CYCLE_1)
	s_and_saveexec_b32 s5, s4
	s_xor_b32 s4, exec_lo, s5
	s_cbranch_execz .LBB25_66
; %bb.65:                               ;   in Loop: Header=BB25_48 Depth=2
	v_add_f32_e64 v4, |v108|, |v108|
	s_delay_alu instid0(VALU_DEP_1) | instskip(SKIP_1) | instid1(VALU_DEP_2)
	v_mul_f32_e32 v6, 0x3fb8aa3b, v4
	v_cmp_ngt_f32_e32 vcc_lo, 0xc2ce8ed0, v4
	v_rndne_f32_e32 v7, v6
	v_fma_f32 v114, 0x3fb8aa3b, v4, -v6
	s_delay_alu instid0(VALU_DEP_2) | instskip(NEXT) | instid1(VALU_DEP_2)
	v_sub_f32_e32 v6, v6, v7
	v_fmac_f32_e32 v114, 0x32a5705f, v4
	v_cvt_i32_f32_e32 v7, v7
	s_delay_alu instid0(VALU_DEP_2) | instskip(NEXT) | instid1(VALU_DEP_1)
	v_add_f32_e32 v6, v6, v114
	v_exp_f32_e32 v6, v6
	s_waitcnt_depctr 0xfff
	v_ldexp_f32 v6, v6, v7
	s_delay_alu instid0(VALU_DEP_1) | instskip(SKIP_1) | instid1(VALU_DEP_2)
	v_cndmask_b32_e32 v6, 0, v6, vcc_lo
	v_cmp_nlt_f32_e32 vcc_lo, 0x42b17218, v4
	v_cndmask_b32_e32 v4, 0x7f800000, v6, vcc_lo
	s_delay_alu instid0(VALU_DEP_1) | instskip(NEXT) | instid1(VALU_DEP_1)
	v_add_f32_e32 v4, 1.0, v4
	v_rcp_f32_e32 v4, v4
	s_waitcnt_depctr 0xfff
	v_fma_f32 v4, v4, -2.0, 1.0
.LBB25_66:                              ;   in Loop: Header=BB25_48 Depth=2
	s_and_not1_saveexec_b32 s4, s4
; %bb.67:                               ;   in Loop: Header=BB25_48 Depth=2
	v_mul_f32_e32 v4, v108, v108
	s_delay_alu instid0(VALU_DEP_1) | instskip(NEXT) | instid1(VALU_DEP_1)
	v_fmaak_f32 v6, s41, v4, 0x3ca908c9
	v_fmaak_f32 v6, v4, v6, 0xbd5c1c4e
	s_delay_alu instid0(VALU_DEP_1) | instskip(NEXT) | instid1(VALU_DEP_1)
	v_fmaak_f32 v6, v4, v6, 0x3e088382
	v_fmaak_f32 v6, v4, v6, 0xbeaaaa99
	s_delay_alu instid0(VALU_DEP_1) | instskip(NEXT) | instid1(VALU_DEP_1)
	v_mul_f32_e64 v6, |v108|, v6
	v_fma_f32 v4, v4, v6, |v108|
; %bb.68:                               ;   in Loop: Header=BB25_48 Depth=2
	s_or_b32 exec_lo, exec_lo, s4
	v_cmp_ngt_f32_e64 s4, 0x3f200000, |v109|
                                        ; implicit-def: $vgpr6
	s_delay_alu instid0(VALU_DEP_1) | instskip(NEXT) | instid1(SALU_CYCLE_1)
	s_and_saveexec_b32 s5, s4
	s_xor_b32 s4, exec_lo, s5
	s_cbranch_execz .LBB25_70
; %bb.69:                               ;   in Loop: Header=BB25_48 Depth=2
	v_add_f32_e64 v6, |v109|, |v109|
	s_delay_alu instid0(VALU_DEP_1) | instskip(SKIP_1) | instid1(VALU_DEP_2)
	v_mul_f32_e32 v7, 0x3fb8aa3b, v6
	v_cmp_ngt_f32_e32 vcc_lo, 0xc2ce8ed0, v6
	v_rndne_f32_e32 v114, v7
	v_fma_f32 v115, 0x3fb8aa3b, v6, -v7
	s_delay_alu instid0(VALU_DEP_2) | instskip(NEXT) | instid1(VALU_DEP_2)
	v_sub_f32_e32 v7, v7, v114
	v_fmac_f32_e32 v115, 0x32a5705f, v6
	v_cvt_i32_f32_e32 v114, v114
	s_delay_alu instid0(VALU_DEP_2) | instskip(NEXT) | instid1(VALU_DEP_1)
	v_add_f32_e32 v7, v7, v115
	v_exp_f32_e32 v7, v7
	s_waitcnt_depctr 0xfff
	v_ldexp_f32 v7, v7, v114
	s_delay_alu instid0(VALU_DEP_1) | instskip(SKIP_1) | instid1(VALU_DEP_2)
	v_cndmask_b32_e32 v7, 0, v7, vcc_lo
	v_cmp_nlt_f32_e32 vcc_lo, 0x42b17218, v6
	v_cndmask_b32_e32 v6, 0x7f800000, v7, vcc_lo
	s_delay_alu instid0(VALU_DEP_1) | instskip(NEXT) | instid1(VALU_DEP_1)
	v_add_f32_e32 v6, 1.0, v6
	v_rcp_f32_e32 v6, v6
	s_waitcnt_depctr 0xfff
	v_fma_f32 v6, v6, -2.0, 1.0
.LBB25_70:                              ;   in Loop: Header=BB25_48 Depth=2
	s_and_not1_saveexec_b32 s4, s4
; %bb.71:                               ;   in Loop: Header=BB25_48 Depth=2
	v_mul_f32_e32 v6, v109, v109
	s_delay_alu instid0(VALU_DEP_1) | instskip(NEXT) | instid1(VALU_DEP_1)
	v_fmaak_f32 v7, s41, v6, 0x3ca908c9
	v_fmaak_f32 v7, v6, v7, 0xbd5c1c4e
	s_delay_alu instid0(VALU_DEP_1) | instskip(NEXT) | instid1(VALU_DEP_1)
	v_fmaak_f32 v7, v6, v7, 0x3e088382
	v_fmaak_f32 v7, v6, v7, 0xbeaaaa99
	s_delay_alu instid0(VALU_DEP_1) | instskip(NEXT) | instid1(VALU_DEP_1)
	v_mul_f32_e64 v7, |v109|, v7
	v_fma_f32 v6, v6, v7, |v109|
; %bb.72:                               ;   in Loop: Header=BB25_48 Depth=2
	s_or_b32 exec_lo, exec_lo, s4
	v_cmp_ngt_f32_e64 s4, 0x3f200000, |v110|
                                        ; implicit-def: $vgpr7
	s_delay_alu instid0(VALU_DEP_1) | instskip(NEXT) | instid1(SALU_CYCLE_1)
	s_and_saveexec_b32 s5, s4
	s_xor_b32 s4, exec_lo, s5
	s_cbranch_execz .LBB25_74
; %bb.73:                               ;   in Loop: Header=BB25_48 Depth=2
	v_add_f32_e64 v7, |v110|, |v110|
	s_delay_alu instid0(VALU_DEP_1) | instskip(SKIP_1) | instid1(VALU_DEP_2)
	v_mul_f32_e32 v114, 0x3fb8aa3b, v7
	v_cmp_ngt_f32_e32 vcc_lo, 0xc2ce8ed0, v7
	v_rndne_f32_e32 v115, v114
	v_fma_f32 v116, 0x3fb8aa3b, v7, -v114
	s_delay_alu instid0(VALU_DEP_2) | instskip(NEXT) | instid1(VALU_DEP_2)
	v_sub_f32_e32 v114, v114, v115
	v_fmac_f32_e32 v116, 0x32a5705f, v7
	v_cvt_i32_f32_e32 v115, v115
	s_delay_alu instid0(VALU_DEP_2) | instskip(NEXT) | instid1(VALU_DEP_1)
	v_add_f32_e32 v114, v114, v116
	v_exp_f32_e32 v114, v114
	s_waitcnt_depctr 0xfff
	v_ldexp_f32 v114, v114, v115
	s_delay_alu instid0(VALU_DEP_1) | instskip(SKIP_1) | instid1(VALU_DEP_2)
	v_cndmask_b32_e32 v114, 0, v114, vcc_lo
	v_cmp_nlt_f32_e32 vcc_lo, 0x42b17218, v7
	v_cndmask_b32_e32 v7, 0x7f800000, v114, vcc_lo
	s_delay_alu instid0(VALU_DEP_1) | instskip(NEXT) | instid1(VALU_DEP_1)
	v_add_f32_e32 v7, 1.0, v7
	v_rcp_f32_e32 v7, v7
	s_waitcnt_depctr 0xfff
	v_fma_f32 v7, v7, -2.0, 1.0
.LBB25_74:                              ;   in Loop: Header=BB25_48 Depth=2
	s_and_not1_saveexec_b32 s4, s4
; %bb.75:                               ;   in Loop: Header=BB25_48 Depth=2
	v_mul_f32_e32 v7, v110, v110
	s_delay_alu instid0(VALU_DEP_1) | instskip(NEXT) | instid1(VALU_DEP_1)
	v_fmaak_f32 v114, s41, v7, 0x3ca908c9
	v_fmaak_f32 v114, v7, v114, 0xbd5c1c4e
	s_delay_alu instid0(VALU_DEP_1) | instskip(NEXT) | instid1(VALU_DEP_1)
	v_fmaak_f32 v114, v7, v114, 0x3e088382
	v_fmaak_f32 v114, v7, v114, 0xbeaaaa99
	s_delay_alu instid0(VALU_DEP_1) | instskip(NEXT) | instid1(VALU_DEP_1)
	v_mul_f32_e64 v114, |v110|, v114
	v_fma_f32 v7, v7, v114, |v110|
; %bb.76:                               ;   in Loop: Header=BB25_48 Depth=2
	s_or_b32 exec_lo, exec_lo, s4
	v_cmp_ngt_f32_e64 s4, 0x3f200000, |v111|
                                        ; implicit-def: $vgpr152
	s_delay_alu instid0(VALU_DEP_1) | instskip(NEXT) | instid1(SALU_CYCLE_1)
	s_and_saveexec_b32 s5, s4
	s_xor_b32 s4, exec_lo, s5
	s_cbranch_execz .LBB25_78
; %bb.77:                               ;   in Loop: Header=BB25_48 Depth=2
	v_add_f32_e64 v114, |v111|, |v111|
	s_delay_alu instid0(VALU_DEP_1) | instskip(SKIP_1) | instid1(VALU_DEP_2)
	v_mul_f32_e32 v115, 0x3fb8aa3b, v114
	v_cmp_ngt_f32_e32 vcc_lo, 0xc2ce8ed0, v114
	v_rndne_f32_e32 v116, v115
	v_fma_f32 v117, 0x3fb8aa3b, v114, -v115
	s_delay_alu instid0(VALU_DEP_2) | instskip(NEXT) | instid1(VALU_DEP_2)
	v_sub_f32_e32 v115, v115, v116
	v_fmac_f32_e32 v117, 0x32a5705f, v114
	v_cvt_i32_f32_e32 v116, v116
	s_delay_alu instid0(VALU_DEP_2) | instskip(NEXT) | instid1(VALU_DEP_1)
	v_add_f32_e32 v115, v115, v117
	v_exp_f32_e32 v115, v115
	s_waitcnt_depctr 0xfff
	v_ldexp_f32 v115, v115, v116
	s_delay_alu instid0(VALU_DEP_1) | instskip(SKIP_1) | instid1(VALU_DEP_2)
	v_cndmask_b32_e32 v115, 0, v115, vcc_lo
	v_cmp_nlt_f32_e32 vcc_lo, 0x42b17218, v114
	v_cndmask_b32_e32 v114, 0x7f800000, v115, vcc_lo
	s_delay_alu instid0(VALU_DEP_1) | instskip(NEXT) | instid1(VALU_DEP_1)
	v_add_f32_e32 v114, 1.0, v114
	v_rcp_f32_e32 v114, v114
	s_waitcnt_depctr 0xfff
	v_fma_f32 v152, v114, -2.0, 1.0
.LBB25_78:                              ;   in Loop: Header=BB25_48 Depth=2
	s_and_not1_saveexec_b32 s4, s4
; %bb.79:                               ;   in Loop: Header=BB25_48 Depth=2
	v_mul_f32_e32 v114, v111, v111
	s_delay_alu instid0(VALU_DEP_1) | instskip(NEXT) | instid1(VALU_DEP_1)
	v_fmaak_f32 v115, s41, v114, 0x3ca908c9
	v_fmaak_f32 v115, v114, v115, 0xbd5c1c4e
	s_delay_alu instid0(VALU_DEP_1) | instskip(NEXT) | instid1(VALU_DEP_1)
	v_fmaak_f32 v115, v114, v115, 0x3e088382
	v_fmaak_f32 v115, v114, v115, 0xbeaaaa99
	s_delay_alu instid0(VALU_DEP_1) | instskip(NEXT) | instid1(VALU_DEP_1)
	v_mul_f32_e64 v115, |v111|, v115
	v_fma_f32 v152, v114, v115, |v111|
; %bb.80:                               ;   in Loop: Header=BB25_48 Depth=2
	s_or_b32 exec_lo, exec_lo, s4
	v_bfi_b32 v114, 0x7fffffff, v5, v107
	v_bfi_b32 v108, 0x7fffffff, v4, v108
	scratch_load_b64 v[4:5], off, off offset:4 ; 8-byte Folded Reload
	v_bfi_b32 v109, 0x7fffffff, v6, v109
	v_bfi_b32 v110, 0x7fffffff, v7, v110
	scratch_load_b64 v[6:7], off, off offset:12 ; 8-byte Folded Reload
	s_mul_hi_i32 s5, s66, s10
	s_mul_i32 s4, s66, s10
	v_bfi_b32 v1, 0x7fffffff, v1, v104
	s_lshl_b64 s[6:7], s[4:5], 2
	v_bfi_b32 v2, 0x7fffffff, v2, v105
	s_add_u32 s5, s89, s6
	s_addc_u32 s4, s90, s7
	v_bfi_b32 v3, 0x7fffffff, v3, v106
	ds_load_u16 v115, v185 offset:8704
	ds_load_u16 v116, v185 offset:8708
	;; [unrolled: 1-line block ×8, first 2 shown]
	v_bfi_b32 v111, 0x7fffffff, v152, v111
	v_cmp_eq_u32_e64 s6, 1, v178
	v_add_nc_u32_e32 v160, 0xc00, v243
	s_add_i32 s104, s104, 1
	s_add_i32 s66, s66, 32
	s_cmp_lt_i32 s104, s94
	v_add_nc_u32_e32 v149, 0x400, v243
	s_waitcnt lgkmcnt(7)
	v_fma_mix_f32 v1, v1, s33, v115 op_sel_hi:[0,0,1]
	s_waitcnt lgkmcnt(6)
	v_fma_mix_f32 v2, v2, s33, v116 op_sel_hi:[0,0,1]
	;; [unrolled: 2-line block ×5, first 2 shown]
	s_waitcnt vmcnt(1)
	v_add_co_u32 v4, vcc_lo, s5, v4
	v_add_co_ci_u32_e32 v5, vcc_lo, s4, v5, vcc_lo
	s_delay_alu instid0(VALU_DEP_2) | instskip(NEXT) | instid1(VALU_DEP_2)
	v_add_co_u32 v4, vcc_lo, v4, v151
	v_add_co_ci_u32_e32 v5, vcc_lo, 0, v5, vcc_lo
	s_waitcnt vmcnt(0)
	v_add_co_u32 v6, vcc_lo, s5, v6
	v_add_co_ci_u32_e32 v7, vcc_lo, s4, v7, vcc_lo
	s_delay_alu instid0(VALU_DEP_2) | instskip(NEXT) | instid1(VALU_DEP_2)
	v_add_co_u32 v104, vcc_lo, v6, v151
	v_add_co_ci_u32_e32 v105, vcc_lo, 0, v7, vcc_lo
	s_clause 0x1
	global_load_b128 v[4:7], v[4:5], off
	global_load_b128 v[104:107], v[104:105], off
	s_waitcnt vmcnt(1)
	ds_store_b128 v184, v[4:7]
	s_waitcnt vmcnt(0)
	ds_store_b128 v245, v[104:107]
	s_clause 0x1
	scratch_load_b64 v[4:5], off, off offset:20
	scratch_load_b64 v[6:7], off, off offset:28
	s_waitcnt vmcnt(1)
	v_add_co_u32 v4, vcc_lo, s5, v4
	v_add_co_ci_u32_e32 v5, vcc_lo, s4, v5, vcc_lo
	s_delay_alu instid0(VALU_DEP_2) | instskip(NEXT) | instid1(VALU_DEP_2)
	v_add_co_u32 v4, vcc_lo, v4, v151
	v_add_co_ci_u32_e32 v5, vcc_lo, 0, v5, vcc_lo
	s_waitcnt vmcnt(0)
	v_add_co_u32 v6, vcc_lo, s5, v6
	v_add_co_ci_u32_e32 v7, vcc_lo, s4, v7, vcc_lo
	s_delay_alu instid0(VALU_DEP_2) | instskip(NEXT) | instid1(VALU_DEP_2)
	v_add_co_u32 v104, vcc_lo, v6, v151
	v_add_co_ci_u32_e32 v105, vcc_lo, 0, v7, vcc_lo
	s_clause 0x1
	global_load_b128 v[4:7], v[4:5], off
	global_load_b128 v[104:107], v[104:105], off
	s_waitcnt vmcnt(1)
	ds_store_b128 v246, v[4:7]
	s_waitcnt vmcnt(0)
	ds_store_b128 v247, v[104:107]
	s_clause 0x1
	scratch_load_b64 v[4:5], off, off offset:36
	scratch_load_b64 v[6:7], off, off offset:44
	;; [unrolled: 22-line block ×3, first 2 shown]
	s_waitcnt vmcnt(1)
	v_add_co_u32 v4, vcc_lo, s5, v4
	v_add_co_ci_u32_e32 v5, vcc_lo, s4, v5, vcc_lo
	s_delay_alu instid0(VALU_DEP_2) | instskip(NEXT) | instid1(VALU_DEP_2)
	v_add_co_u32 v4, vcc_lo, v4, v151
	v_add_co_ci_u32_e32 v5, vcc_lo, 0, v5, vcc_lo
	s_waitcnt vmcnt(0)
	v_add_co_u32 v6, vcc_lo, s5, v6
	v_add_co_ci_u32_e32 v7, vcc_lo, s4, v7, vcc_lo
	v_cmp_eq_u32_e64 s5, 0, v178
	s_delay_alu instid0(VALU_DEP_3) | instskip(NEXT) | instid1(VALU_DEP_3)
	v_add_co_u32 v104, vcc_lo, v6, v151
	v_add_co_ci_u32_e32 v105, vcc_lo, 0, v7, vcc_lo
	s_clause 0x1
	global_load_b128 v[4:7], v[4:5], off
	global_load_b128 v[104:107], v[104:105], off
	s_waitcnt vmcnt(1)
	ds_store_b128 v250, v[4:7]
	s_waitcnt vmcnt(0)
	ds_store_b128 v251, v[104:107]
	v_fma_mix_f32 v4, v114, s33, v118 op_sel_hi:[0,0,1]
	v_dual_add_f32 v5, 0x40051340, v1 :: v_dual_add_f32 v6, 0x40051340, v2
	s_waitcnt lgkmcnt(0)
	s_barrier
	s_delay_alu instid0(VALU_DEP_2) | instskip(SKIP_3) | instid1(VALU_DEP_1)
	v_add_f32_e32 v7, 0x40051340, v4
	buffer_gl0_inv
	v_max3_f32 v5, v150, v5, v6
	v_add_f32_e32 v6, 0x40051340, v3
	v_max3_f32 v5, v5, v6, v7
	v_fma_mix_f32 v6, v108, s33, v119 op_sel_hi:[0,0,1]
	v_fma_mix_f32 v7, v109, s33, v120 op_sel_hi:[0,0,1]
	s_delay_alu instid0(VALU_DEP_1) | instskip(NEXT) | instid1(VALU_DEP_1)
	v_dual_add_f32 v104, 0x40051340, v6 :: v_dual_add_f32 v105, 0x40051340, v7
	v_max3_f32 v5, v5, v104, v105
	v_dual_add_f32 v104, 0x40051340, v110 :: v_dual_add_f32 v105, 0x40051340, v111
	s_delay_alu instid0(VALU_DEP_1) | instskip(SKIP_3) | instid1(VALU_DEP_1)
	v_max3_f32 v5, v5, v104, v105
	ds_bpermute_b32 v104, v112, v5
	s_waitcnt lgkmcnt(0)
	v_max_f32_e32 v104, v104, v104
	v_max_f32_e32 v151, v5, v104
	s_delay_alu instid0(VALU_DEP_1) | instskip(NEXT) | instid1(VALU_DEP_1)
	v_sub_f32_e32 v2, v2, v151
	v_mul_f32_e32 v5, 0x3fb8aa3b, v2
	s_delay_alu instid0(VALU_DEP_1) | instskip(SKIP_1) | instid1(VALU_DEP_1)
	v_fma_f32 v104, 0x3fb8aa3b, v2, -v5
	v_rndne_f32_e32 v105, v5
	v_dual_sub_f32 v5, v5, v105 :: v_dual_fmac_f32 v104, 0x32a5705f, v2
	v_sub_f32_e32 v1, v1, v151
	v_cvt_i32_f32_e32 v105, v105
	v_cmp_ngt_f32_e32 vcc_lo, 0xc2ce8ed0, v2
	v_sub_f32_e32 v3, v3, v151
	s_delay_alu instid0(VALU_DEP_4) | instskip(SKIP_2) | instid1(VALU_DEP_4)
	v_dual_add_f32 v5, v5, v104 :: v_dual_mul_f32 v104, 0x3fb8aa3b, v1
	v_sub_f32_e32 v4, v4, v151
	v_sub_f32_e32 v6, v6, v151
	v_cmp_ngt_f32_e64 s7, 0xc2ce8ed0, v3
	s_delay_alu instid0(VALU_DEP_4) | instskip(SKIP_4) | instid1(VALU_DEP_4)
	v_exp_f32_e32 v5, v5
	v_fma_f32 v106, 0x3fb8aa3b, v1, -v104
	v_rndne_f32_e32 v107, v104
	v_sub_f32_e32 v7, v7, v151
	v_sub_f32_e32 v110, v110, v151
	v_dual_sub_f32 v111, v111, v151 :: v_dual_fmac_f32 v106, 0x32a5705f, v1
	s_waitcnt_depctr 0xfff
	v_ldexp_f32 v5, v5, v105
	v_sub_f32_e32 v104, v104, v107
	v_cvt_i32_f32_e32 v105, v107
	s_delay_alu instid0(VALU_DEP_2) | instskip(SKIP_2) | instid1(VALU_DEP_3)
	v_dual_cndmask_b32 v5, 0, v5 :: v_dual_add_f32 v104, v104, v106
	v_cmp_ngt_f32_e64 s4, 0xc2ce8ed0, v1
	v_cmp_nlt_f32_e32 vcc_lo, 0x42b17218, v2
	v_exp_f32_e32 v104, v104
	s_waitcnt_depctr 0xfff
	v_ldexp_f32 v104, v104, v105
	s_delay_alu instid0(VALU_DEP_1) | instskip(SKIP_1) | instid1(VALU_DEP_1)
	v_cndmask_b32_e64 v2, 0, v104, s4
	v_cmp_nlt_f32_e64 s4, 0x42b17218, v1
	v_cndmask_b32_e64 v1, 0x7f800000, v2, s4
	v_cndmask_b32_e32 v2, 0x7f800000, v5, vcc_lo
	v_cmp_eq_u32_e32 vcc_lo, 0, v252
	v_cmp_eq_u32_e64 s4, 1, v252
	ds_bpermute_b32 v5, v112, v1
	ds_bpermute_b32 v105, v112, v2
	s_waitcnt lgkmcnt(1)
	v_cndmask_b32_e64 v104, v1, v5, s4
	v_cndmask_b32_e32 v5, v1, v5, vcc_lo
	s_delay_alu instid0(VALU_DEP_2) | instskip(NEXT) | instid1(VALU_DEP_2)
	v_cndmask_b32_e64 v107, v104, v2, s6
	v_cndmask_b32_e64 v106, v5, v2, s5
	v_cvt_f16_f32_e32 v5, v5
	v_cvt_f16_f32_e32 v104, v104
	s_waitcnt lgkmcnt(0)
	v_cndmask_b32_e64 v107, v107, v105, s4
	v_cndmask_b32_e32 v106, v106, v105, vcc_lo
	s_delay_alu instid0(VALU_DEP_3) | instskip(SKIP_1) | instid1(VALU_DEP_4)
	v_pack_b32_f16 v104, v5, v104
	v_mul_f32_e32 v5, 0x3fb8aa3b, v3
	v_cvt_f16_f32_e32 v108, v107
	s_delay_alu instid0(VALU_DEP_4) | instskip(NEXT) | instid1(VALU_DEP_3)
	v_cvt_f16_f32_e32 v105, v106
	v_rndne_f32_e32 v109, v5
	s_delay_alu instid0(VALU_DEP_2) | instskip(SKIP_1) | instid1(VALU_DEP_1)
	v_pack_b32_f16 v105, v105, v108
	v_fma_f32 v108, 0x3fb8aa3b, v3, -v5
	v_dual_sub_f32 v5, v5, v109 :: v_dual_fmac_f32 v108, 0x32a5705f, v3
	s_delay_alu instid0(VALU_DEP_1) | instskip(SKIP_2) | instid1(VALU_DEP_3)
	v_add_f32_e32 v5, v5, v108
	v_cvt_i32_f32_e32 v108, v109
	v_add_f32_e32 v1, v1, v2
	v_exp_f32_e32 v5, v5
	s_waitcnt_depctr 0xfff
	v_ldexp_f32 v5, v5, v108
	s_delay_alu instid0(VALU_DEP_1) | instskip(SKIP_1) | instid1(VALU_DEP_1)
	v_cndmask_b32_e64 v5, 0, v5, s7
	v_cmp_nlt_f32_e64 s7, 0x42b17218, v3
	v_cndmask_b32_e64 v3, 0x7f800000, v5, s7
	s_delay_alu instid0(VALU_DEP_1) | instskip(SKIP_3) | instid1(VALU_DEP_1)
	v_cndmask_b32_e64 v5, v107, v3, s6
	ds_bpermute_b32 v107, v112, v3
	v_cndmask_b32_e64 v106, v106, v3, s5
	s_waitcnt lgkmcnt(0)
	v_dual_add_f32 v1, v3, v1 :: v_dual_cndmask_b32 v108, v106, v107
	v_cndmask_b32_e64 v5, v5, v107, s4
	s_delay_alu instid0(VALU_DEP_2) | instskip(NEXT) | instid1(VALU_DEP_2)
	v_cvt_f16_f32_e32 v106, v108
	v_cvt_f16_f32_e32 v107, v5
	s_delay_alu instid0(VALU_DEP_1) | instskip(SKIP_1) | instid1(VALU_DEP_1)
	v_pack_b32_f16 v106, v106, v107
	v_mul_f32_e32 v107, 0x3fb8aa3b, v4
	v_fma_f32 v109, 0x3fb8aa3b, v4, -v107
	v_rndne_f32_e32 v114, v107
	s_delay_alu instid0(VALU_DEP_1) | instskip(NEXT) | instid1(VALU_DEP_3)
	v_sub_f32_e32 v107, v107, v114
	v_fmac_f32_e32 v109, 0x32a5705f, v4
	v_cmp_ngt_f32_e64 s7, 0xc2ce8ed0, v4
	s_delay_alu instid0(VALU_DEP_2) | instskip(SKIP_1) | instid1(VALU_DEP_2)
	v_add_f32_e32 v107, v107, v109
	v_cvt_i32_f32_e32 v109, v114
	v_exp_f32_e32 v107, v107
	s_waitcnt_depctr 0xfff
	v_ldexp_f32 v107, v107, v109
	s_delay_alu instid0(VALU_DEP_1) | instskip(SKIP_1) | instid1(VALU_DEP_1)
	v_cndmask_b32_e64 v107, 0, v107, s7
	v_cmp_nlt_f32_e64 s7, 0x42b17218, v4
	v_cndmask_b32_e64 v4, 0x7f800000, v107, s7
	v_cmp_ngt_f32_e64 s7, 0xc2ce8ed0, v6
	s_delay_alu instid0(VALU_DEP_2)
	v_cndmask_b32_e64 v107, v108, v4, s5
	ds_bpermute_b32 v108, v112, v4
	v_cndmask_b32_e64 v5, v5, v4, s6
	v_add_f32_e32 v1, v4, v1
	s_waitcnt lgkmcnt(0)
	v_cndmask_b32_e32 v109, v107, v108, vcc_lo
	s_delay_alu instid0(VALU_DEP_3) | instskip(NEXT) | instid1(VALU_DEP_2)
	v_cndmask_b32_e64 v5, v5, v108, s4
	v_cvt_f16_f32_e32 v107, v109
	s_delay_alu instid0(VALU_DEP_2) | instskip(NEXT) | instid1(VALU_DEP_1)
	v_cvt_f16_f32_e32 v108, v5
	v_pack_b32_f16 v107, v107, v108
	v_mul_f32_e32 v108, 0x3fb8aa3b, v6
	s_delay_alu instid0(VALU_DEP_1) | instskip(SKIP_1) | instid1(VALU_DEP_2)
	v_fma_f32 v114, 0x3fb8aa3b, v6, -v108
	v_rndne_f32_e32 v115, v108
	v_fmac_f32_e32 v114, 0x32a5705f, v6
	s_delay_alu instid0(VALU_DEP_2) | instskip(NEXT) | instid1(VALU_DEP_1)
	v_sub_f32_e32 v108, v108, v115
	v_add_f32_e32 v108, v108, v114
	v_cvt_i32_f32_e32 v114, v115
	s_delay_alu instid0(VALU_DEP_2) | instskip(SKIP_2) | instid1(VALU_DEP_1)
	v_exp_f32_e32 v108, v108
	s_waitcnt_depctr 0xfff
	v_ldexp_f32 v108, v108, v114
	v_cndmask_b32_e64 v108, 0, v108, s7
	v_cmp_nlt_f32_e64 s7, 0x42b17218, v6
	s_delay_alu instid0(VALU_DEP_1)
	v_cndmask_b32_e64 v128, 0x7f800000, v108, s7
	v_cmp_ngt_f32_e64 s7, 0xc2ce8ed0, v7
	ds_bpermute_b32 v108, v112, v128
	v_cndmask_b32_e64 v5, v5, v128, s6
	v_cndmask_b32_e64 v6, v109, v128, s5
	s_waitcnt lgkmcnt(0)
	s_delay_alu instid0(VALU_DEP_1) | instskip(NEXT) | instid1(VALU_DEP_3)
	v_dual_add_f32 v1, v128, v1 :: v_dual_cndmask_b32 v6, v6, v108
	v_cndmask_b32_e64 v5, v5, v108, s4
	s_delay_alu instid0(VALU_DEP_2) | instskip(NEXT) | instid1(VALU_DEP_2)
	v_cvt_f16_f32_e32 v108, v6
	v_cvt_f16_f32_e32 v109, v5
	s_delay_alu instid0(VALU_DEP_1) | instskip(SKIP_1) | instid1(VALU_DEP_1)
	v_pack_b32_f16 v108, v108, v109
	v_mul_f32_e32 v109, 0x3fb8aa3b, v7
	v_fma_f32 v114, 0x3fb8aa3b, v7, -v109
	v_rndne_f32_e32 v115, v109
	s_delay_alu instid0(VALU_DEP_2) | instskip(NEXT) | instid1(VALU_DEP_2)
	v_fmac_f32_e32 v114, 0x32a5705f, v7
	v_sub_f32_e32 v109, v109, v115
	s_delay_alu instid0(VALU_DEP_1) | instskip(SKIP_1) | instid1(VALU_DEP_2)
	v_add_f32_e32 v109, v109, v114
	v_cvt_i32_f32_e32 v114, v115
	v_exp_f32_e32 v109, v109
	s_waitcnt_depctr 0xfff
	v_ldexp_f32 v109, v109, v114
	s_delay_alu instid0(VALU_DEP_1) | instskip(SKIP_1) | instid1(VALU_DEP_1)
	v_cndmask_b32_e64 v109, 0, v109, s7
	v_cmp_nlt_f32_e64 s7, 0x42b17218, v7
	v_cndmask_b32_e64 v7, 0x7f800000, v109, s7
	v_cmp_ngt_f32_e64 s7, 0xc2ce8ed0, v110
	ds_bpermute_b32 v109, v112, v7
	v_cndmask_b32_e64 v5, v5, v7, s6
	v_cndmask_b32_e64 v6, v6, v7, s5
	v_add_f32_e32 v1, v7, v1
	s_waitcnt lgkmcnt(0)
	s_delay_alu instid0(VALU_DEP_2) | instskip(SKIP_1) | instid1(VALU_DEP_2)
	v_cndmask_b32_e32 v6, v6, v109, vcc_lo
	v_cndmask_b32_e64 v5, v5, v109, s4
	v_cvt_f16_f32_e32 v109, v6
	s_delay_alu instid0(VALU_DEP_2) | instskip(NEXT) | instid1(VALU_DEP_1)
	v_cvt_f16_f32_e32 v114, v5
	v_pack_b32_f16 v109, v109, v114
	v_mul_f32_e32 v114, 0x3fb8aa3b, v110
	s_delay_alu instid0(VALU_DEP_1) | instskip(SKIP_1) | instid1(VALU_DEP_1)
	v_fma_f32 v115, 0x3fb8aa3b, v110, -v114
	v_rndne_f32_e32 v116, v114
	v_dual_fmac_f32 v115, 0x32a5705f, v110 :: v_dual_sub_f32 v114, v114, v116
	s_delay_alu instid0(VALU_DEP_1) | instskip(SKIP_1) | instid1(VALU_DEP_2)
	v_add_f32_e32 v114, v114, v115
	v_cvt_i32_f32_e32 v115, v116
	v_exp_f32_e32 v114, v114
	s_waitcnt_depctr 0xfff
	v_ldexp_f32 v114, v114, v115
	s_delay_alu instid0(VALU_DEP_1) | instskip(SKIP_1) | instid1(VALU_DEP_1)
	v_cndmask_b32_e64 v114, 0, v114, s7
	v_cmp_nlt_f32_e64 s7, 0x42b17218, v110
	v_cndmask_b32_e64 v129, 0x7f800000, v114, s7
	v_cmp_ngt_f32_e64 s7, 0xc2ce8ed0, v111
	ds_bpermute_b32 v110, v112, v129
	v_cndmask_b32_e64 v5, v5, v129, s6
	v_cndmask_b32_e64 v6, v6, v129, s5
	s_waitcnt lgkmcnt(0)
	s_delay_alu instid0(VALU_DEP_1) | instskip(NEXT) | instid1(VALU_DEP_3)
	v_dual_add_f32 v1, v129, v1 :: v_dual_cndmask_b32 v6, v6, v110
	v_cndmask_b32_e64 v5, v5, v110, s4
	s_delay_alu instid0(VALU_DEP_2) | instskip(NEXT) | instid1(VALU_DEP_2)
	v_cvt_f16_f32_e32 v110, v6
	v_cvt_f16_f32_e32 v114, v5
	s_delay_alu instid0(VALU_DEP_1) | instskip(SKIP_1) | instid1(VALU_DEP_1)
	v_pack_b32_f16 v110, v110, v114
	v_mul_f32_e32 v114, 0x3fb8aa3b, v111
	v_fma_f32 v115, 0x3fb8aa3b, v111, -v114
	v_rndne_f32_e32 v116, v114
	s_delay_alu instid0(VALU_DEP_1) | instskip(NEXT) | instid1(VALU_DEP_1)
	v_dual_fmac_f32 v115, 0x32a5705f, v111 :: v_dual_sub_f32 v114, v114, v116
	v_add_f32_e32 v114, v114, v115
	v_cvt_i32_f32_e32 v115, v116
	s_delay_alu instid0(VALU_DEP_2) | instskip(SKIP_2) | instid1(VALU_DEP_1)
	v_exp_f32_e32 v114, v114
	s_waitcnt_depctr 0xfff
	v_ldexp_f32 v114, v114, v115
	v_cndmask_b32_e64 v114, 0, v114, s7
	v_cmp_nlt_f32_e64 s7, 0x42b17218, v111
	s_delay_alu instid0(VALU_DEP_1) | instskip(SKIP_4) | instid1(VALU_DEP_1)
	v_cndmask_b32_e64 v130, 0x7f800000, v114, s7
	ds_bpermute_b32 v111, v112, v130
	v_cndmask_b32_e64 v5, v5, v130, s6
	v_cndmask_b32_e64 v6, v6, v130, s5
	s_waitcnt lgkmcnt(0)
	v_cndmask_b32_e32 v6, v6, v111, vcc_lo
	s_delay_alu instid0(VALU_DEP_3) | instskip(NEXT) | instid1(VALU_DEP_2)
	v_cndmask_b32_e64 v5, v5, v111, s4
	v_cvt_f16_f32_e32 v6, v6
	s_delay_alu instid0(VALU_DEP_2) | instskip(NEXT) | instid1(VALU_DEP_1)
	v_cvt_f16_f32_e32 v5, v5
	v_pack_b32_f16 v111, v6, v5
	v_sub_f32_e32 v5, v150, v151
	v_add_nc_u32_e32 v150, 0x800, v243
	s_delay_alu instid0(VALU_DEP_2) | instskip(SKIP_1) | instid1(VALU_DEP_2)
	v_mul_f32_e32 v6, 0x3fb8aa3b, v5
	v_cmp_ngt_f32_e32 vcc_lo, 0xc2ce8ed0, v5
	v_fma_f32 v114, 0x3fb8aa3b, v5, -v6
	v_rndne_f32_e32 v115, v6
	s_delay_alu instid0(VALU_DEP_2) | instskip(NEXT) | instid1(VALU_DEP_2)
	v_fmac_f32_e32 v114, 0x32a5705f, v5
	v_sub_f32_e32 v6, v6, v115
	s_delay_alu instid0(VALU_DEP_1) | instskip(SKIP_1) | instid1(VALU_DEP_2)
	v_add_f32_e32 v6, v6, v114
	v_cvt_i32_f32_e32 v114, v115
	v_exp_f32_e32 v6, v6
	s_waitcnt_depctr 0xfff
	v_ldexp_f32 v6, v6, v114
	s_delay_alu instid0(VALU_DEP_1) | instskip(SKIP_1) | instid1(VALU_DEP_2)
	v_cndmask_b32_e32 v6, 0, v6, vcc_lo
	v_cmp_nlt_f32_e32 vcc_lo, 0x42b17218, v5
	v_cndmask_b32_e32 v6, 0x7f800000, v6, vcc_lo
	v_cmp_le_f32_e32 vcc_lo, 0xc1a00000, v5
	s_delay_alu instid0(VALU_DEP_2)
	v_cndmask_b32_e32 v131, 0, v6, vcc_lo
	ds_load_2addr_b32 v[5:6], v243 offset1:16
	ds_load_2addr_b32 v[114:115], v243 offset0:68 offset1:84
	ds_load_2addr_b32 v[116:117], v243 offset0:136 offset1:152
	;; [unrolled: 1-line block ×13, first 2 shown]
	ds_load_b32 v165, v186 offset:2176
	ds_load_b32 v173, v186 offset:3264
	;; [unrolled: 1-line block ×8, first 2 shown]
	ds_load_2addr_b32 v[169:170], v149 offset0:100 offset1:116
	ds_load_2addr_b32 v[171:172], v149 offset0:168 offset1:184
	;; [unrolled: 1-line block ×3, first 2 shown]
	v_add_nc_u32_e32 v149, 0x1000, v243
	ds_load_2addr_b32 v[179:180], v160 offset0:132 offset1:148
	ds_load_2addr_b32 v[189:190], v149 offset0:12 offset1:28
	;; [unrolled: 1-line block ×3, first 2 shown]
	v_cvt_f16_f32_e64 v148, v131
	ds_load_2addr_b32 v[195:196], v243 offset0:32 offset1:48
	ds_load_2addr_b32 v[197:198], v243 offset0:100 offset1:116
	;; [unrolled: 1-line block ×7, first 2 shown]
	s_waitcnt lgkmcnt(33)
	v_perm_b32 v207, v114, v5, 0x5040100
	v_pk_mul_f16 v32, v148, v32 op_sel_hi:[0,1]
	v_pk_mul_f16 v33, v148, v33 op_sel_hi:[0,1]
	;; [unrolled: 1-line block ×32, first 2 shown]
	ds_load_b32 v148, v188 offset:2176
	ds_load_b32 v149, v188 offset:3264
	s_waitcnt lgkmcnt(33)
	v_perm_b32 v208, v118, v116, 0x5040100
	s_waitcnt lgkmcnt(32)
	v_perm_b32 v209, v121, v120, 0x5040100
	;; [unrolled: 2-line block ×7, first 2 shown]
	s_waitcnt lgkmcnt(0)
	s_barrier
	buffer_gl0_inv
	v_wmma_f16_16x16x16_f16 v[32:39], v[207:214], v[104:111], v[32:39]
	v_perm_b32 v207, v115, v6, 0x5040100
	v_perm_b32 v208, v119, v117, 0x5040100
	v_perm_b32 v209, v169, v193, 0x5040100
	v_perm_b32 v210, v174, v171, 0x5040100
	v_perm_b32 v211, v153, v165, 0x5040100
	v_perm_b32 v212, v157, v155, 0x5040100
	v_perm_b32 v213, v179, v173, 0x5040100
	v_perm_b32 v214, v189, v191, 0x5040100
	s_delay_alu instid0(VALU_DEP_1)
	v_wmma_f16_16x16x16_f16 v[24:31], v[207:214], v[104:111], v[24:31]
	v_perm_b32 v207, v197, v195, 0x5040100
	v_perm_b32 v208, v203, v201, 0x5040100
	v_perm_b32 v209, v170, v176, 0x5040100
	v_perm_b32 v210, v175, v172, 0x5040100
	v_perm_b32 v211, v215, v177, 0x5040100
	v_perm_b32 v212, v219, v217, 0x5040100
	v_perm_b32 v213, v180, v181, 0x5040100
	v_perm_b32 v214, v190, v192, 0x5040100
	s_delay_alu instid0(VALU_DEP_1)
	v_wmma_f16_16x16x16_f16 v[16:23], v[207:214], v[104:111], v[16:23]
	v_perm_b32 v207, v198, v196, 0x5040100
	v_perm_b32 v208, v204, v202, 0x5040100
	v_perm_b32 v209, v122, v183, 0x5040100
	v_perm_b32 v210, v126, v124, 0x5040100
	v_perm_b32 v211, v216, v148, 0x5040100
	v_perm_b32 v212, v220, v218, 0x5040100
	v_perm_b32 v213, v163, v149, 0x5040100
	v_perm_b32 v214, v194, v167, 0x5040100
	s_delay_alu instid0(VALU_DEP_1)
	v_wmma_f16_16x16x16_f16 v[8:15], v[207:214], v[104:111], v[8:15]
	v_perm_b32 v209, v121, v120, 0x7060302
	v_perm_b32 v213, v159, v158, 0x7060302
	v_perm_b32 v207, v114, v5, 0x7060302
	v_perm_b32 v208, v118, v116, 0x7060302
	v_perm_b32 v210, v125, v123, 0x7060302
	v_perm_b32 v211, v152, v127, 0x7060302
	v_perm_b32 v212, v156, v154, 0x7060302
	v_perm_b32 v214, v168, v164, 0x7060302
	s_delay_alu instid0(VALU_DEP_1)
	v_wmma_f16_16x16x16_f16 v[32:39], v[207:214], v[104:111], v[32:39] op_sel:[0,0,1]
	v_perm_b32 v207, v115, v6, 0x7060302
	v_perm_b32 v208, v119, v117, 0x7060302
	;; [unrolled: 1-line block ×8, first 2 shown]
	v_add_f32_e32 v169, v130, v1
	s_delay_alu instid0(VALU_DEP_2)
	v_wmma_f16_16x16x16_f16 v[24:31], v[207:214], v[104:111], v[24:31] op_sel:[0,0,1]
	v_perm_b32 v210, v175, v172, 0x7060302
	v_perm_b32 v214, v190, v192, 0x7060302
	;; [unrolled: 1-line block ×8, first 2 shown]
	v_fmac_f32_e32 v169, v147, v131
	s_delay_alu instid0(VALU_DEP_2)
	v_wmma_f16_16x16x16_f16 v[16:23], v[207:214], v[104:111], v[16:23] op_sel:[0,0,1]
	v_perm_b32 v207, v198, v196, 0x7060302
	v_perm_b32 v208, v204, v202, 0x7060302
	;; [unrolled: 1-line block ×8, first 2 shown]
	s_delay_alu instid0(VALU_DEP_1)
	v_wmma_f16_16x16x16_f16 v[8:15], v[207:214], v[104:111], v[8:15] op_sel:[0,0,1]
	s_cbranch_scc0 .LBB25_84
; %bb.81:                               ;   in Loop: Header=BB25_48 Depth=2
	v_dual_mov_b32 v147, v169 :: v_dual_mov_b32 v150, v151
	s_ashr_i32 s67, s66, 31
	s_and_saveexec_b32 s4, s0
	s_cbranch_execnz .LBB25_47
	s_branch .LBB25_48
.LBB25_82:                              ;   in Loop: Header=BB25_10 Depth=1
	s_cbranch_execnz .LBB25_207
	s_branch .LBB25_398
.LBB25_83:                              ;   in Loop: Header=BB25_10 Depth=1
	v_dual_mov_b32 v169, 0 :: v_dual_mov_b32 v38, 0
	v_dual_mov_b32 v151, 0xfeffffff :: v_dual_mov_b32 v36, 0
	;; [unrolled: 1-line block ×16, first 2 shown]
	v_mov_b32_e32 v9, 0
.LBB25_84:                              ;   in Loop: Header=BB25_10 Depth=1
	s_lshl_b32 s4, s104, 5
	s_delay_alu instid0(SALU_CYCLE_1)
	s_ashr_i32 s5, s4, 31
	s_and_saveexec_b32 s6, s0
	s_cbranch_execz .LBB25_86
; %bb.85:                               ;   in Loop: Header=BB25_10 Depth=1
	scratch_load_b32 v1, off, off offset:104 ; 4-byte Folded Reload
	s_lshl_b64 s[66:67], s[4:5], 1
	s_clause 0x1
	scratch_load_b32 v4, off, off offset:96
	scratch_load_b32 v5, off, off offset:192
	s_waitcnt vmcnt(2)
	v_add_nc_u32_e32 v1, s91, v1
	s_waitcnt vmcnt(0)
	v_lshlrev_b32_e32 v5, 1, v5
	s_delay_alu instid0(VALU_DEP_2) | instskip(NEXT) | instid1(VALU_DEP_1)
	v_lshl_or_b32 v1, v1, 1, v178
	v_mul_hi_u32 v2, s12, v1
	s_delay_alu instid0(VALU_DEP_1) | instskip(NEXT) | instid1(VALU_DEP_1)
	v_add_nc_u32_e32 v2, v1, v2
	v_lshrrev_b32_e32 v2, s13, v2
	s_delay_alu instid0(VALU_DEP_1) | instskip(NEXT) | instid1(VALU_DEP_1)
	v_mul_lo_u32 v2, v2, s8
	v_sub_nc_u32_e32 v3, v1, v2
	s_delay_alu instid0(VALU_DEP_1)
	v_mad_i64_i32 v[1:2], null, v3, s40, 0
	scratch_load_b32 v3, off, off offset:92 ; 4-byte Folded Reload
	v_lshlrev_b64 v[1:2], 1, v[1:2]
	s_waitcnt vmcnt(0)
	v_add_co_u32 v3, vcc_lo, v3, s66
	v_add_co_ci_u32_e32 v4, vcc_lo, s67, v4, vcc_lo
	s_delay_alu instid0(VALU_DEP_2) | instskip(NEXT) | instid1(VALU_DEP_2)
	v_add_co_u32 v1, vcc_lo, v3, v1
	v_add_co_ci_u32_e32 v2, vcc_lo, v4, v2, vcc_lo
	s_delay_alu instid0(VALU_DEP_2) | instskip(NEXT) | instid1(VALU_DEP_2)
	v_add_co_u32 v1, vcc_lo, v1, v5
	v_add_co_ci_u32_e32 v2, vcc_lo, 0, v2, vcc_lo
	global_load_b32 v1, v[1:2], off
	scratch_load_b32 v2, off, off offset:76 ; 4-byte Folded Reload
	s_waitcnt vmcnt(0)
	ds_store_b32 v2, v1 offset:8704
.LBB25_86:                              ;   in Loop: Header=BB25_10 Depth=1
	s_or_b32 exec_lo, exec_lo, s6
	scratch_load_b32 v1, off, off           ; 4-byte Folded Reload
	s_mul_hi_i32 s7, s4, s34
	s_mul_i32 s6, s4, s34
	v_mov_b32_e32 v7, v0
	s_lshl_b64 s[6:7], s[6:7], 2
	s_delay_alu instid0(SALU_CYCLE_1)
	s_add_u32 s5, s92, s6
	s_addc_u32 s6, s93, s7
	s_waitcnt vmcnt(0)
	v_lshlrev_b32_e32 v112, 2, v1
	scratch_load_b64 v[1:2], off, off offset:68 ; 8-byte Folded Reload
	s_waitcnt vmcnt(0)
	v_add_co_u32 v1, vcc_lo, s5, v1
	v_add_co_ci_u32_e32 v2, vcc_lo, s6, v2, vcc_lo
	s_delay_alu instid0(VALU_DEP_2) | instskip(NEXT) | instid1(VALU_DEP_2)
	v_add_co_u32 v1, vcc_lo, v1, v112
	v_add_co_ci_u32_e32 v2, vcc_lo, 0, v2, vcc_lo
	v_add_co_u32 v3, vcc_lo, s5, v132
	v_add_co_ci_u32_e32 v4, vcc_lo, s6, v133, vcc_lo
	s_delay_alu instid0(VALU_DEP_2) | instskip(NEXT) | instid1(VALU_DEP_2)
	v_add_co_u32 v5, vcc_lo, v3, v112
	v_add_co_ci_u32_e32 v6, vcc_lo, 0, v4, vcc_lo
	s_clause 0x1
	global_load_b128 v[1:4], v[1:2], off
	global_load_b128 v[104:107], v[5:6], off
	s_waitcnt vmcnt(1)
	ds_store_b128 v184, v[1:4]
	s_waitcnt vmcnt(0)
	ds_store_b128 v245, v[104:107]
	v_add_co_u32 v1, vcc_lo, s5, v134
	v_add_co_ci_u32_e32 v2, vcc_lo, s6, v135, vcc_lo
	s_delay_alu instid0(VALU_DEP_2) | instskip(NEXT) | instid1(VALU_DEP_2)
	v_add_co_u32 v1, vcc_lo, v1, v112
	v_add_co_ci_u32_e32 v2, vcc_lo, 0, v2, vcc_lo
	v_add_co_u32 v3, vcc_lo, s5, v136
	v_add_co_ci_u32_e32 v4, vcc_lo, s6, v137, vcc_lo
	s_delay_alu instid0(VALU_DEP_2) | instskip(NEXT) | instid1(VALU_DEP_2)
	v_add_co_u32 v5, vcc_lo, v3, v112
	v_add_co_ci_u32_e32 v6, vcc_lo, 0, v4, vcc_lo
	s_clause 0x1
	global_load_b128 v[1:4], v[1:2], off
	global_load_b128 v[104:107], v[5:6], off
	s_waitcnt vmcnt(1)
	ds_store_b128 v246, v[1:4]
	s_waitcnt vmcnt(0)
	ds_store_b128 v247, v[104:107]
	;; [unrolled: 17-line block ×3, first 2 shown]
	v_add_co_u32 v1, vcc_lo, s5, v142
	v_add_co_ci_u32_e32 v2, vcc_lo, s6, v143, vcc_lo
	s_delay_alu instid0(VALU_DEP_2) | instskip(NEXT) | instid1(VALU_DEP_2)
	v_add_co_u32 v1, vcc_lo, v1, v112
	v_add_co_ci_u32_e32 v2, vcc_lo, 0, v2, vcc_lo
	v_add_co_u32 v3, vcc_lo, s5, v144
	v_add_co_ci_u32_e32 v4, vcc_lo, s6, v145, vcc_lo
	s_delay_alu instid0(VALU_DEP_2) | instskip(NEXT) | instid1(VALU_DEP_2)
	v_add_co_u32 v5, vcc_lo, v3, v112
	v_add_co_ci_u32_e32 v6, vcc_lo, 0, v4, vcc_lo
	s_clause 0x1
	global_load_b128 v[1:4], v[1:2], off
	global_load_b128 v[104:107], v[5:6], off
	v_mov_b32_e32 v5, v0
	v_mov_b32_e32 v6, v0
	s_waitcnt vmcnt(1)
	ds_store_b128 v250, v[1:4]
	s_waitcnt vmcnt(0)
	ds_store_b128 v251, v[104:107]
	v_mov_b32_e32 v1, v0
	s_waitcnt lgkmcnt(0)
	s_barrier
	buffer_gl0_inv
	ds_load_b128 v[207:210], v182
	ds_load_b128 v[211:214], v182 offset:16
	v_mov_b32_e32 v2, v0
	v_mov_b32_e32 v3, v0
	;; [unrolled: 1-line block ×3, first 2 shown]
	v_dual_mov_b32 v111, v7 :: v_dual_mov_b32 v110, v6
	v_mov_b32_e32 v109, v5
	s_delay_alu instid0(VALU_DEP_4) | instskip(NEXT) | instid1(VALU_DEP_4)
	v_dual_mov_b32 v107, v3 :: v_dual_mov_b32 v106, v2
	v_dual_mov_b32 v108, v4 :: v_dual_mov_b32 v105, v1
	v_mov_b32_e32 v104, v0
                                        ; implicit-def: $vgpr4
	s_waitcnt lgkmcnt(0)
	s_delay_alu instid0(VALU_DEP_1)
	v_wmma_f32_16x16x16_f16 v[104:111], v[207:214], v[80:87], v[104:111]
	ds_load_b128 v[80:83], v182 offset:32
	ds_load_b128 v[84:87], v182 offset:48
	s_waitcnt lgkmcnt(0)
	v_wmma_f32_16x16x16_f16 v[104:111], v[80:87], v[40:47], v[104:111]
	ds_load_b128 v[40:43], v182 offset:64
	ds_load_b128 v[44:47], v182 offset:80
	s_waitcnt lgkmcnt(0)
	v_wmma_f32_16x16x16_f16 v[104:111], v[40:47], v[64:71], v[104:111]
	ds_load_b128 v[40:43], v182 offset:96
	ds_load_b128 v[44:47], v182 offset:112
	s_waitcnt lgkmcnt(0)
	v_wmma_f32_16x16x16_f16 v[104:111], v[40:47], v[56:63], v[104:111]
	ds_load_b128 v[40:43], v182 offset:128
	ds_load_b128 v[44:47], v182 offset:144
	s_waitcnt lgkmcnt(0)
	v_wmma_f32_16x16x16_f16 v[104:111], v[40:47], v[48:55], v[104:111]
	ds_load_b128 v[40:43], v182 offset:160
	ds_load_b128 v[44:47], v182 offset:176
	s_waitcnt lgkmcnt(0)
	v_wmma_f32_16x16x16_f16 v[104:111], v[40:47], v[72:79], v[104:111]
	ds_load_b128 v[40:43], v182 offset:192
	ds_load_b128 v[44:47], v182 offset:208
	s_waitcnt lgkmcnt(0)
	v_wmma_f32_16x16x16_f16 v[104:111], v[40:47], v[88:95], v[104:111]
	ds_load_b128 v[40:43], v182 offset:224
	ds_load_b128 v[44:47], v182 offset:240
	s_waitcnt lgkmcnt(0)
	s_barrier
	buffer_gl0_inv
	v_wmma_f32_16x16x16_f16 v[104:111], v[40:47], v[96:103], v[104:111]
	s_delay_alu instid0(VALU_DEP_1) | instskip(NEXT) | instid1(VALU_DEP_1)
	v_cmp_ngt_f32_e64 s5, 0x3f200000, |v104|
	s_and_saveexec_b32 s6, s5
	s_delay_alu instid0(SALU_CYCLE_1)
	s_xor_b32 s5, exec_lo, s6
	s_cbranch_execz .LBB25_88
; %bb.87:                               ;   in Loop: Header=BB25_10 Depth=1
	v_add_f32_e64 v1, |v104|, |v104|
	s_delay_alu instid0(VALU_DEP_1) | instskip(SKIP_1) | instid1(VALU_DEP_2)
	v_mul_f32_e32 v2, 0x3fb8aa3b, v1
	v_cmp_ngt_f32_e32 vcc_lo, 0xc2ce8ed0, v1
	v_rndne_f32_e32 v3, v2
	v_fma_f32 v4, 0x3fb8aa3b, v1, -v2
	s_delay_alu instid0(VALU_DEP_2) | instskip(NEXT) | instid1(VALU_DEP_2)
	v_sub_f32_e32 v2, v2, v3
	v_fmac_f32_e32 v4, 0x32a5705f, v1
	v_cvt_i32_f32_e32 v3, v3
	s_delay_alu instid0(VALU_DEP_2) | instskip(NEXT) | instid1(VALU_DEP_1)
	v_add_f32_e32 v2, v2, v4
	v_exp_f32_e32 v2, v2
	s_waitcnt_depctr 0xfff
	v_ldexp_f32 v2, v2, v3
	s_delay_alu instid0(VALU_DEP_1) | instskip(SKIP_1) | instid1(VALU_DEP_2)
	v_cndmask_b32_e32 v2, 0, v2, vcc_lo
	v_cmp_nlt_f32_e32 vcc_lo, 0x42b17218, v1
	v_cndmask_b32_e32 v1, 0x7f800000, v2, vcc_lo
	s_delay_alu instid0(VALU_DEP_1) | instskip(NEXT) | instid1(VALU_DEP_1)
	v_add_f32_e32 v1, 1.0, v1
	v_rcp_f32_e32 v1, v1
	s_waitcnt_depctr 0xfff
	v_fma_f32 v4, v1, -2.0, 1.0
.LBB25_88:                              ;   in Loop: Header=BB25_10 Depth=1
	s_and_not1_saveexec_b32 s5, s5
; %bb.89:                               ;   in Loop: Header=BB25_10 Depth=1
	v_mul_f32_e32 v1, v104, v104
	s_delay_alu instid0(VALU_DEP_1) | instskip(NEXT) | instid1(VALU_DEP_1)
	v_fmaak_f32 v2, s41, v1, 0x3ca908c9
	v_fmaak_f32 v2, v1, v2, 0xbd5c1c4e
	s_delay_alu instid0(VALU_DEP_1) | instskip(NEXT) | instid1(VALU_DEP_1)
	v_fmaak_f32 v2, v1, v2, 0x3e088382
	v_fmaak_f32 v2, v1, v2, 0xbeaaaa99
	s_delay_alu instid0(VALU_DEP_1) | instskip(NEXT) | instid1(VALU_DEP_1)
	v_mul_f32_e64 v2, |v104|, v2
	v_fma_f32 v4, v1, v2, |v104|
; %bb.90:                               ;   in Loop: Header=BB25_10 Depth=1
	s_or_b32 exec_lo, exec_lo, s5
	v_cmp_ngt_f32_e64 s5, 0x3f200000, |v105|
                                        ; implicit-def: $vgpr5
	s_delay_alu instid0(VALU_DEP_1) | instskip(NEXT) | instid1(SALU_CYCLE_1)
	s_and_saveexec_b32 s6, s5
	s_xor_b32 s5, exec_lo, s6
	s_cbranch_execz .LBB25_92
; %bb.91:                               ;   in Loop: Header=BB25_10 Depth=1
	v_add_f32_e64 v1, |v105|, |v105|
	s_delay_alu instid0(VALU_DEP_1) | instskip(SKIP_1) | instid1(VALU_DEP_2)
	v_mul_f32_e32 v2, 0x3fb8aa3b, v1
	v_cmp_ngt_f32_e32 vcc_lo, 0xc2ce8ed0, v1
	v_rndne_f32_e32 v3, v2
	v_fma_f32 v5, 0x3fb8aa3b, v1, -v2
	s_delay_alu instid0(VALU_DEP_1) | instskip(SKIP_1) | instid1(VALU_DEP_2)
	v_dual_sub_f32 v2, v2, v3 :: v_dual_fmac_f32 v5, 0x32a5705f, v1
	v_cvt_i32_f32_e32 v3, v3
	v_add_f32_e32 v2, v2, v5
	s_delay_alu instid0(VALU_DEP_1) | instskip(SKIP_2) | instid1(VALU_DEP_1)
	v_exp_f32_e32 v2, v2
	s_waitcnt_depctr 0xfff
	v_ldexp_f32 v2, v2, v3
	v_cndmask_b32_e32 v2, 0, v2, vcc_lo
	v_cmp_nlt_f32_e32 vcc_lo, 0x42b17218, v1
	s_delay_alu instid0(VALU_DEP_2) | instskip(NEXT) | instid1(VALU_DEP_1)
	v_cndmask_b32_e32 v1, 0x7f800000, v2, vcc_lo
	v_add_f32_e32 v1, 1.0, v1
	s_delay_alu instid0(VALU_DEP_1)
	v_rcp_f32_e32 v1, v1
	s_waitcnt_depctr 0xfff
	v_fma_f32 v5, v1, -2.0, 1.0
.LBB25_92:                              ;   in Loop: Header=BB25_10 Depth=1
	s_and_not1_saveexec_b32 s5, s5
; %bb.93:                               ;   in Loop: Header=BB25_10 Depth=1
	v_mul_f32_e32 v1, v105, v105
	s_delay_alu instid0(VALU_DEP_1) | instskip(NEXT) | instid1(VALU_DEP_1)
	v_fmaak_f32 v2, s41, v1, 0x3ca908c9
	v_fmaak_f32 v2, v1, v2, 0xbd5c1c4e
	s_delay_alu instid0(VALU_DEP_1) | instskip(NEXT) | instid1(VALU_DEP_1)
	v_fmaak_f32 v2, v1, v2, 0x3e088382
	v_fmaak_f32 v2, v1, v2, 0xbeaaaa99
	s_delay_alu instid0(VALU_DEP_1) | instskip(NEXT) | instid1(VALU_DEP_1)
	v_mul_f32_e64 v2, |v105|, v2
	v_fma_f32 v5, v1, v2, |v105|
; %bb.94:                               ;   in Loop: Header=BB25_10 Depth=1
	s_or_b32 exec_lo, exec_lo, s5
	v_cmp_ngt_f32_e64 s5, 0x3f200000, |v106|
                                        ; implicit-def: $vgpr6
	s_delay_alu instid0(VALU_DEP_1) | instskip(NEXT) | instid1(SALU_CYCLE_1)
	s_and_saveexec_b32 s6, s5
	s_xor_b32 s5, exec_lo, s6
	s_cbranch_execz .LBB25_96
; %bb.95:                               ;   in Loop: Header=BB25_10 Depth=1
	v_add_f32_e64 v1, |v106|, |v106|
	s_delay_alu instid0(VALU_DEP_1) | instskip(SKIP_1) | instid1(VALU_DEP_2)
	v_mul_f32_e32 v2, 0x3fb8aa3b, v1
	v_cmp_ngt_f32_e32 vcc_lo, 0xc2ce8ed0, v1
	v_rndne_f32_e32 v3, v2
	v_fma_f32 v6, 0x3fb8aa3b, v1, -v2
	s_delay_alu instid0(VALU_DEP_2) | instskip(NEXT) | instid1(VALU_DEP_2)
	v_sub_f32_e32 v2, v2, v3
	v_fmac_f32_e32 v6, 0x32a5705f, v1
	v_cvt_i32_f32_e32 v3, v3
	s_delay_alu instid0(VALU_DEP_2) | instskip(NEXT) | instid1(VALU_DEP_1)
	v_add_f32_e32 v2, v2, v6
	v_exp_f32_e32 v2, v2
	s_waitcnt_depctr 0xfff
	v_ldexp_f32 v2, v2, v3
	s_delay_alu instid0(VALU_DEP_1) | instskip(SKIP_1) | instid1(VALU_DEP_2)
	v_cndmask_b32_e32 v2, 0, v2, vcc_lo
	v_cmp_nlt_f32_e32 vcc_lo, 0x42b17218, v1
	v_cndmask_b32_e32 v1, 0x7f800000, v2, vcc_lo
	s_delay_alu instid0(VALU_DEP_1) | instskip(NEXT) | instid1(VALU_DEP_1)
	v_add_f32_e32 v1, 1.0, v1
	v_rcp_f32_e32 v1, v1
	s_waitcnt_depctr 0xfff
	v_fma_f32 v6, v1, -2.0, 1.0
.LBB25_96:                              ;   in Loop: Header=BB25_10 Depth=1
	s_and_not1_saveexec_b32 s5, s5
; %bb.97:                               ;   in Loop: Header=BB25_10 Depth=1
	v_mul_f32_e32 v1, v106, v106
	s_delay_alu instid0(VALU_DEP_1) | instskip(NEXT) | instid1(VALU_DEP_1)
	v_fmaak_f32 v2, s41, v1, 0x3ca908c9
	v_fmaak_f32 v2, v1, v2, 0xbd5c1c4e
	s_delay_alu instid0(VALU_DEP_1) | instskip(NEXT) | instid1(VALU_DEP_1)
	v_fmaak_f32 v2, v1, v2, 0x3e088382
	v_fmaak_f32 v2, v1, v2, 0xbeaaaa99
	s_delay_alu instid0(VALU_DEP_1) | instskip(NEXT) | instid1(VALU_DEP_1)
	v_mul_f32_e64 v2, |v106|, v2
	v_fma_f32 v6, v1, v2, |v106|
; %bb.98:                               ;   in Loop: Header=BB25_10 Depth=1
	s_or_b32 exec_lo, exec_lo, s5
	v_cmp_ngt_f32_e64 s5, 0x3f200000, |v107|
                                        ; implicit-def: $vgpr7
	s_delay_alu instid0(VALU_DEP_1) | instskip(NEXT) | instid1(SALU_CYCLE_1)
	s_and_saveexec_b32 s6, s5
	s_xor_b32 s5, exec_lo, s6
	s_cbranch_execz .LBB25_100
; %bb.99:                               ;   in Loop: Header=BB25_10 Depth=1
	v_add_f32_e64 v1, |v107|, |v107|
	s_delay_alu instid0(VALU_DEP_1) | instskip(SKIP_1) | instid1(VALU_DEP_2)
	v_mul_f32_e32 v2, 0x3fb8aa3b, v1
	v_cmp_ngt_f32_e32 vcc_lo, 0xc2ce8ed0, v1
	v_rndne_f32_e32 v3, v2
	v_fma_f32 v7, 0x3fb8aa3b, v1, -v2
	s_delay_alu instid0(VALU_DEP_1) | instskip(SKIP_1) | instid1(VALU_DEP_2)
	v_dual_sub_f32 v2, v2, v3 :: v_dual_fmac_f32 v7, 0x32a5705f, v1
	v_cvt_i32_f32_e32 v3, v3
	v_add_f32_e32 v2, v2, v7
	s_delay_alu instid0(VALU_DEP_1) | instskip(SKIP_2) | instid1(VALU_DEP_1)
	v_exp_f32_e32 v2, v2
	s_waitcnt_depctr 0xfff
	v_ldexp_f32 v2, v2, v3
	v_cndmask_b32_e32 v2, 0, v2, vcc_lo
	v_cmp_nlt_f32_e32 vcc_lo, 0x42b17218, v1
	s_delay_alu instid0(VALU_DEP_2) | instskip(NEXT) | instid1(VALU_DEP_1)
	v_cndmask_b32_e32 v1, 0x7f800000, v2, vcc_lo
	v_add_f32_e32 v1, 1.0, v1
	s_delay_alu instid0(VALU_DEP_1)
	v_rcp_f32_e32 v1, v1
	s_waitcnt_depctr 0xfff
	v_fma_f32 v7, v1, -2.0, 1.0
.LBB25_100:                             ;   in Loop: Header=BB25_10 Depth=1
	s_and_not1_saveexec_b32 s5, s5
; %bb.101:                              ;   in Loop: Header=BB25_10 Depth=1
	v_mul_f32_e32 v1, v107, v107
	s_delay_alu instid0(VALU_DEP_1) | instskip(NEXT) | instid1(VALU_DEP_1)
	v_fmaak_f32 v2, s41, v1, 0x3ca908c9
	v_fmaak_f32 v2, v1, v2, 0xbd5c1c4e
	s_delay_alu instid0(VALU_DEP_1) | instskip(NEXT) | instid1(VALU_DEP_1)
	v_fmaak_f32 v2, v1, v2, 0x3e088382
	v_fmaak_f32 v2, v1, v2, 0xbeaaaa99
	s_delay_alu instid0(VALU_DEP_1) | instskip(NEXT) | instid1(VALU_DEP_1)
	v_mul_f32_e64 v2, |v107|, v2
	v_fma_f32 v7, v1, v2, |v107|
; %bb.102:                              ;   in Loop: Header=BB25_10 Depth=1
	s_or_b32 exec_lo, exec_lo, s5
	v_cmp_ngt_f32_e64 s5, 0x3f200000, |v108|
                                        ; implicit-def: $vgpr40
	s_delay_alu instid0(VALU_DEP_1) | instskip(NEXT) | instid1(SALU_CYCLE_1)
	s_and_saveexec_b32 s6, s5
	s_xor_b32 s5, exec_lo, s6
	s_cbranch_execz .LBB25_104
; %bb.103:                              ;   in Loop: Header=BB25_10 Depth=1
	v_add_f32_e64 v1, |v108|, |v108|
	s_delay_alu instid0(VALU_DEP_1) | instskip(SKIP_1) | instid1(VALU_DEP_2)
	v_mul_f32_e32 v2, 0x3fb8aa3b, v1
	v_cmp_ngt_f32_e32 vcc_lo, 0xc2ce8ed0, v1
	v_rndne_f32_e32 v3, v2
	v_fma_f32 v40, 0x3fb8aa3b, v1, -v2
	s_delay_alu instid0(VALU_DEP_2) | instskip(NEXT) | instid1(VALU_DEP_2)
	v_sub_f32_e32 v2, v2, v3
	v_fmac_f32_e32 v40, 0x32a5705f, v1
	v_cvt_i32_f32_e32 v3, v3
	s_delay_alu instid0(VALU_DEP_2) | instskip(NEXT) | instid1(VALU_DEP_1)
	v_add_f32_e32 v2, v2, v40
	v_exp_f32_e32 v2, v2
	s_waitcnt_depctr 0xfff
	v_ldexp_f32 v2, v2, v3
	s_delay_alu instid0(VALU_DEP_1) | instskip(SKIP_1) | instid1(VALU_DEP_2)
	v_cndmask_b32_e32 v2, 0, v2, vcc_lo
	v_cmp_nlt_f32_e32 vcc_lo, 0x42b17218, v1
	v_cndmask_b32_e32 v1, 0x7f800000, v2, vcc_lo
	s_delay_alu instid0(VALU_DEP_1) | instskip(NEXT) | instid1(VALU_DEP_1)
	v_add_f32_e32 v1, 1.0, v1
	v_rcp_f32_e32 v1, v1
	s_waitcnt_depctr 0xfff
	v_fma_f32 v40, v1, -2.0, 1.0
.LBB25_104:                             ;   in Loop: Header=BB25_10 Depth=1
	s_and_not1_saveexec_b32 s5, s5
; %bb.105:                              ;   in Loop: Header=BB25_10 Depth=1
	v_mul_f32_e32 v1, v108, v108
	s_delay_alu instid0(VALU_DEP_1) | instskip(NEXT) | instid1(VALU_DEP_1)
	v_fmaak_f32 v2, s41, v1, 0x3ca908c9
	v_fmaak_f32 v2, v1, v2, 0xbd5c1c4e
	s_delay_alu instid0(VALU_DEP_1) | instskip(NEXT) | instid1(VALU_DEP_1)
	v_fmaak_f32 v2, v1, v2, 0x3e088382
	v_fmaak_f32 v2, v1, v2, 0xbeaaaa99
	s_delay_alu instid0(VALU_DEP_1) | instskip(NEXT) | instid1(VALU_DEP_1)
	v_mul_f32_e64 v2, |v108|, v2
	v_fma_f32 v40, v1, v2, |v108|
; %bb.106:                              ;   in Loop: Header=BB25_10 Depth=1
	s_or_b32 exec_lo, exec_lo, s5
	v_cmp_ngt_f32_e64 s5, 0x3f200000, |v109|
                                        ; implicit-def: $vgpr2
	s_delay_alu instid0(VALU_DEP_1) | instskip(NEXT) | instid1(SALU_CYCLE_1)
	s_and_saveexec_b32 s6, s5
	s_xor_b32 s5, exec_lo, s6
	s_cbranch_execz .LBB25_108
; %bb.107:                              ;   in Loop: Header=BB25_10 Depth=1
	v_add_f32_e64 v1, |v109|, |v109|
	s_delay_alu instid0(VALU_DEP_1) | instskip(SKIP_1) | instid1(VALU_DEP_2)
	v_mul_f32_e32 v2, 0x3fb8aa3b, v1
	v_cmp_ngt_f32_e32 vcc_lo, 0xc2ce8ed0, v1
	v_rndne_f32_e32 v3, v2
	v_fma_f32 v41, 0x3fb8aa3b, v1, -v2
	s_delay_alu instid0(VALU_DEP_1) | instskip(SKIP_1) | instid1(VALU_DEP_2)
	v_dual_sub_f32 v2, v2, v3 :: v_dual_fmac_f32 v41, 0x32a5705f, v1
	v_cvt_i32_f32_e32 v3, v3
	v_add_f32_e32 v2, v2, v41
	s_delay_alu instid0(VALU_DEP_1) | instskip(SKIP_2) | instid1(VALU_DEP_1)
	v_exp_f32_e32 v2, v2
	s_waitcnt_depctr 0xfff
	v_ldexp_f32 v2, v2, v3
	v_cndmask_b32_e32 v2, 0, v2, vcc_lo
	v_cmp_nlt_f32_e32 vcc_lo, 0x42b17218, v1
	s_delay_alu instid0(VALU_DEP_2) | instskip(NEXT) | instid1(VALU_DEP_1)
	v_cndmask_b32_e32 v1, 0x7f800000, v2, vcc_lo
	v_add_f32_e32 v1, 1.0, v1
	s_delay_alu instid0(VALU_DEP_1)
	v_rcp_f32_e32 v1, v1
	s_waitcnt_depctr 0xfff
	v_fma_f32 v2, v1, -2.0, 1.0
.LBB25_108:                             ;   in Loop: Header=BB25_10 Depth=1
	s_and_not1_saveexec_b32 s5, s5
; %bb.109:                              ;   in Loop: Header=BB25_10 Depth=1
	v_mul_f32_e32 v1, v109, v109
	s_delay_alu instid0(VALU_DEP_1) | instskip(NEXT) | instid1(VALU_DEP_1)
	v_fmaak_f32 v2, s41, v1, 0x3ca908c9
	v_fmaak_f32 v2, v1, v2, 0xbd5c1c4e
	s_delay_alu instid0(VALU_DEP_1) | instskip(NEXT) | instid1(VALU_DEP_1)
	v_fmaak_f32 v2, v1, v2, 0x3e088382
	v_fmaak_f32 v2, v1, v2, 0xbeaaaa99
	s_delay_alu instid0(VALU_DEP_1) | instskip(NEXT) | instid1(VALU_DEP_1)
	v_mul_f32_e64 v2, |v109|, v2
	v_fma_f32 v2, v1, v2, |v109|
; %bb.110:                              ;   in Loop: Header=BB25_10 Depth=1
	s_or_b32 exec_lo, exec_lo, s5
	v_cmp_ngt_f32_e64 s5, 0x3f200000, |v110|
                                        ; implicit-def: $vgpr1
	s_delay_alu instid0(VALU_DEP_1) | instskip(NEXT) | instid1(SALU_CYCLE_1)
	s_and_saveexec_b32 s6, s5
	s_xor_b32 s5, exec_lo, s6
	s_cbranch_execz .LBB25_112
; %bb.111:                              ;   in Loop: Header=BB25_10 Depth=1
	v_add_f32_e64 v1, |v110|, |v110|
	s_delay_alu instid0(VALU_DEP_1) | instskip(SKIP_1) | instid1(VALU_DEP_2)
	v_mul_f32_e32 v3, 0x3fb8aa3b, v1
	v_cmp_ngt_f32_e32 vcc_lo, 0xc2ce8ed0, v1
	v_rndne_f32_e32 v41, v3
	v_fma_f32 v42, 0x3fb8aa3b, v1, -v3
	s_delay_alu instid0(VALU_DEP_2) | instskip(NEXT) | instid1(VALU_DEP_2)
	v_sub_f32_e32 v3, v3, v41
	v_fmac_f32_e32 v42, 0x32a5705f, v1
	v_cvt_i32_f32_e32 v41, v41
	s_delay_alu instid0(VALU_DEP_2) | instskip(NEXT) | instid1(VALU_DEP_1)
	v_add_f32_e32 v3, v3, v42
	v_exp_f32_e32 v3, v3
	s_waitcnt_depctr 0xfff
	v_ldexp_f32 v3, v3, v41
	s_delay_alu instid0(VALU_DEP_1) | instskip(SKIP_1) | instid1(VALU_DEP_2)
	v_cndmask_b32_e32 v3, 0, v3, vcc_lo
	v_cmp_nlt_f32_e32 vcc_lo, 0x42b17218, v1
	v_cndmask_b32_e32 v1, 0x7f800000, v3, vcc_lo
	s_delay_alu instid0(VALU_DEP_1) | instskip(NEXT) | instid1(VALU_DEP_1)
	v_add_f32_e32 v1, 1.0, v1
	v_rcp_f32_e32 v1, v1
	s_waitcnt_depctr 0xfff
	v_fma_f32 v1, v1, -2.0, 1.0
.LBB25_112:                             ;   in Loop: Header=BB25_10 Depth=1
	s_and_not1_saveexec_b32 s5, s5
; %bb.113:                              ;   in Loop: Header=BB25_10 Depth=1
	v_mul_f32_e32 v1, v110, v110
	s_delay_alu instid0(VALU_DEP_1) | instskip(NEXT) | instid1(VALU_DEP_1)
	v_fmaak_f32 v3, s41, v1, 0x3ca908c9
	v_fmaak_f32 v3, v1, v3, 0xbd5c1c4e
	s_delay_alu instid0(VALU_DEP_1) | instskip(NEXT) | instid1(VALU_DEP_1)
	v_fmaak_f32 v3, v1, v3, 0x3e088382
	v_fmaak_f32 v3, v1, v3, 0xbeaaaa99
	s_delay_alu instid0(VALU_DEP_1) | instskip(NEXT) | instid1(VALU_DEP_1)
	v_mul_f32_e64 v3, |v110|, v3
	v_fma_f32 v1, v1, v3, |v110|
; %bb.114:                              ;   in Loop: Header=BB25_10 Depth=1
	s_or_b32 exec_lo, exec_lo, s5
	v_cmp_ngt_f32_e64 s5, 0x3f200000, |v111|
                                        ; implicit-def: $vgpr3
	s_delay_alu instid0(VALU_DEP_1) | instskip(NEXT) | instid1(SALU_CYCLE_1)
	s_and_saveexec_b32 s6, s5
	s_xor_b32 s5, exec_lo, s6
	s_cbranch_execz .LBB25_116
; %bb.115:                              ;   in Loop: Header=BB25_10 Depth=1
	v_add_f32_e64 v3, |v111|, |v111|
	s_delay_alu instid0(VALU_DEP_1) | instskip(SKIP_1) | instid1(VALU_DEP_2)
	v_mul_f32_e32 v41, 0x3fb8aa3b, v3
	v_cmp_ngt_f32_e32 vcc_lo, 0xc2ce8ed0, v3
	v_rndne_f32_e32 v42, v41
	v_fma_f32 v43, 0x3fb8aa3b, v3, -v41
	s_delay_alu instid0(VALU_DEP_2) | instskip(NEXT) | instid1(VALU_DEP_2)
	v_sub_f32_e32 v41, v41, v42
	v_fmac_f32_e32 v43, 0x32a5705f, v3
	v_cvt_i32_f32_e32 v42, v42
	s_delay_alu instid0(VALU_DEP_2) | instskip(NEXT) | instid1(VALU_DEP_1)
	v_add_f32_e32 v41, v41, v43
	v_exp_f32_e32 v41, v41
	s_waitcnt_depctr 0xfff
	v_ldexp_f32 v41, v41, v42
	s_delay_alu instid0(VALU_DEP_1) | instskip(SKIP_1) | instid1(VALU_DEP_2)
	v_cndmask_b32_e32 v41, 0, v41, vcc_lo
	v_cmp_nlt_f32_e32 vcc_lo, 0x42b17218, v3
	v_cndmask_b32_e32 v3, 0x7f800000, v41, vcc_lo
	s_delay_alu instid0(VALU_DEP_1) | instskip(NEXT) | instid1(VALU_DEP_1)
	v_add_f32_e32 v3, 1.0, v3
	v_rcp_f32_e32 v3, v3
	s_waitcnt_depctr 0xfff
	v_fma_f32 v3, v3, -2.0, 1.0
.LBB25_116:                             ;   in Loop: Header=BB25_10 Depth=1
	s_and_not1_saveexec_b32 s5, s5
; %bb.117:                              ;   in Loop: Header=BB25_10 Depth=1
	v_mul_f32_e32 v3, v111, v111
	s_delay_alu instid0(VALU_DEP_1) | instskip(NEXT) | instid1(VALU_DEP_1)
	v_fmaak_f32 v41, s41, v3, 0x3ca908c9
	v_fmaak_f32 v41, v3, v41, 0xbd5c1c4e
	s_delay_alu instid0(VALU_DEP_1) | instskip(NEXT) | instid1(VALU_DEP_1)
	v_fmaak_f32 v41, v3, v41, 0x3e088382
	v_fmaak_f32 v41, v3, v41, 0xbeaaaa99
	s_delay_alu instid0(VALU_DEP_1) | instskip(NEXT) | instid1(VALU_DEP_1)
	v_mul_f32_e64 v41, |v111|, v41
	v_fma_f32 v3, v3, v41, |v111|
; %bb.118:                              ;   in Loop: Header=BB25_10 Depth=1
	s_or_b32 exec_lo, exec_lo, s5
	ds_load_u16 v41, v185 offset:8704
	ds_load_u16 v42, v185 offset:8708
	;; [unrolled: 1-line block ×8, first 2 shown]
	v_bfi_b32 v4, 0x7fffffff, v4, v104
	v_bfi_b32 v5, 0x7fffffff, v5, v105
	;; [unrolled: 1-line block ×8, first 2 shown]
	s_mul_hi_i32 s5, s4, s10
	s_mul_i32 s4, s4, s10
	v_cmp_eq_u32_e64 s6, 1, v178
	s_lshl_b64 s[4:5], s[4:5], 2
	s_waitcnt lgkmcnt(7)
	v_fma_mix_f32 v51, v4, s33, v41 op_sel_hi:[0,0,1]
	s_waitcnt lgkmcnt(6)
	v_fma_mix_f32 v52, v5, s33, v42 op_sel_hi:[0,0,1]
	;; [unrolled: 2-line block ×5, first 2 shown]
	v_dual_add_f32 v4, 0x40051340, v51 :: v_dual_add_f32 v5, 0x40051340, v52
	s_waitcnt lgkmcnt(2)
	v_fma_mix_f32 v54, v2, s33, v46 op_sel_hi:[0,0,1]
	s_waitcnt lgkmcnt(1)
	v_fma_mix_f32 v46, v1, s33, v47 op_sel_hi:[0,0,1]
	v_add_f32_e32 v2, 0x40051340, v45
	s_waitcnt lgkmcnt(0)
	v_fma_mix_f32 v47, v3, s33, v48 op_sel_hi:[0,0,1]
	v_max3_f32 v4, v151, v4, v5
	v_dual_add_f32 v5, 0x40051340, v53 :: v_dual_add_f32 v6, 0x40051340, v44
	v_add_f32_e32 v1, 0x40051340, v46
	s_delay_alu instid0(VALU_DEP_4)
	v_add_f32_e32 v3, 0x40051340, v47
	s_add_u32 s4, s89, s4
	s_addc_u32 s5, s90, s5
	v_max3_f32 v4, v4, v5, v6
	v_add_f32_e32 v5, 0x40051340, v54
	v_add_nc_u32_e32 v87, 0x400, v243
	v_add_nc_u32_e32 v105, 0x800, v243
	;; [unrolled: 1-line block ×3, first 2 shown]
	s_cmp_lg_u64 s[64:65], 0
	v_max3_f32 v2, v4, v2, v5
	s_delay_alu instid0(VALU_DEP_1) | instskip(SKIP_1) | instid1(VALU_DEP_1)
	v_max3_f32 v1, v2, v1, v3
	v_mbcnt_lo_u32_b32 v3, -1, 0
	v_xor_b32_e32 v2, 16, v3
	s_delay_alu instid0(VALU_DEP_1) | instskip(SKIP_1) | instid1(VALU_DEP_1)
	v_cmp_gt_i32_e32 vcc_lo, 32, v2
	v_cndmask_b32_e32 v2, v3, v2, vcc_lo
	v_lshlrev_b32_e32 v48, 2, v2
	ds_bpermute_b32 v2, v48, v1
	s_waitcnt lgkmcnt(0)
	v_max_f32_e32 v2, v2, v2
	s_delay_alu instid0(VALU_DEP_1) | instskip(NEXT) | instid1(VALU_DEP_1)
	v_max_f32_e32 v49, v1, v2
	v_sub_f32_e32 v1, v151, v49
	s_delay_alu instid0(VALU_DEP_1) | instskip(SKIP_1) | instid1(VALU_DEP_2)
	v_mul_f32_e32 v2, 0x3fb8aa3b, v1
	v_cmp_ngt_f32_e32 vcc_lo, 0xc2ce8ed0, v1
	v_fma_f32 v3, 0x3fb8aa3b, v1, -v2
	v_rndne_f32_e32 v4, v2
	s_delay_alu instid0(VALU_DEP_1) | instskip(NEXT) | instid1(VALU_DEP_1)
	v_dual_fmac_f32 v3, 0x32a5705f, v1 :: v_dual_sub_f32 v2, v2, v4
	v_add_f32_e32 v2, v2, v3
	v_cvt_i32_f32_e32 v3, v4
	s_delay_alu instid0(VALU_DEP_2) | instskip(SKIP_2) | instid1(VALU_DEP_1)
	v_exp_f32_e32 v2, v2
	s_waitcnt_depctr 0xfff
	v_ldexp_f32 v2, v2, v3
	v_cndmask_b32_e32 v2, 0, v2, vcc_lo
	v_cmp_nlt_f32_e32 vcc_lo, 0x42b17218, v1
	s_delay_alu instid0(VALU_DEP_2) | instskip(SKIP_1) | instid1(VALU_DEP_2)
	v_cndmask_b32_e32 v2, 0x7f800000, v2, vcc_lo
	v_cmp_le_f32_e32 vcc_lo, 0xc1a00000, v1
	v_cndmask_b32_e32 v50, 0, v2, vcc_lo
	s_delay_alu instid0(VALU_DEP_1) | instskip(NEXT) | instid1(VALU_DEP_1)
	v_cvt_f16_f32_e32 v40, v50
	v_pk_mul_f16 v2, v40, v9 op_sel_hi:[0,1]
	v_pk_mul_f16 v3, v40, v10 op_sel_hi:[0,1]
	scratch_load_b64 v[9:10], off, off offset:4 ; 8-byte Folded Reload
	v_pk_mul_f16 v4, v40, v11 op_sel_hi:[0,1]
	v_pk_mul_f16 v5, v40, v12 op_sel_hi:[0,1]
	scratch_load_b64 v[11:12], off, off offset:12 ; 8-byte Folded Reload
	v_pk_mul_f16 v6, v40, v13 op_sel_hi:[0,1]
	v_pk_mul_f16 v7, v40, v14 op_sel_hi:[0,1]
	v_pk_mul_f16 v32, v40, v32 op_sel_hi:[0,1]
	v_pk_mul_f16 v33, v40, v33 op_sel_hi:[0,1]
	v_pk_mul_f16 v34, v40, v34 op_sel_hi:[0,1]
	v_pk_mul_f16 v35, v40, v35 op_sel_hi:[0,1]
	v_pk_mul_f16 v36, v40, v36 op_sel_hi:[0,1]
	v_pk_mul_f16 v37, v40, v37 op_sel_hi:[0,1]
	v_pk_mul_f16 v38, v40, v38 op_sel_hi:[0,1]
	v_pk_mul_f16 v39, v40, v39 op_sel_hi:[0,1]
	v_pk_mul_f16 v24, v40, v24 op_sel_hi:[0,1]
	v_pk_mul_f16 v25, v40, v25 op_sel_hi:[0,1]
	v_pk_mul_f16 v26, v40, v26 op_sel_hi:[0,1]
	v_pk_mul_f16 v27, v40, v27 op_sel_hi:[0,1]
	v_pk_mul_f16 v28, v40, v28 op_sel_hi:[0,1]
	v_pk_mul_f16 v29, v40, v29 op_sel_hi:[0,1]
	v_pk_mul_f16 v30, v40, v30 op_sel_hi:[0,1]
	v_pk_mul_f16 v31, v40, v31 op_sel_hi:[0,1]
	v_pk_mul_f16 v16, v40, v16 op_sel_hi:[0,1]
	v_pk_mul_f16 v17, v40, v17 op_sel_hi:[0,1]
	v_pk_mul_f16 v18, v40, v18 op_sel_hi:[0,1]
	v_pk_mul_f16 v19, v40, v19 op_sel_hi:[0,1]
	v_pk_mul_f16 v20, v40, v20 op_sel_hi:[0,1]
	v_pk_mul_f16 v21, v40, v21 op_sel_hi:[0,1]
	v_pk_mul_f16 v22, v40, v22 op_sel_hi:[0,1]
	v_pk_mul_f16 v23, v40, v23 op_sel_hi:[0,1]
	v_pk_mul_f16 v1, v40, v8 op_sel_hi:[0,1]
	v_pk_mul_f16 v8, v40, v15 op_sel_hi:[0,1]
	s_waitcnt vmcnt(1)
	v_add_co_u32 v9, vcc_lo, s4, v9
	v_add_co_ci_u32_e32 v10, vcc_lo, s5, v10, vcc_lo
	s_delay_alu instid0(VALU_DEP_2) | instskip(NEXT) | instid1(VALU_DEP_2)
	v_add_co_u32 v9, vcc_lo, v9, v112
	v_add_co_ci_u32_e32 v10, vcc_lo, 0, v10, vcc_lo
	s_waitcnt vmcnt(0)
	v_add_co_u32 v11, vcc_lo, s4, v11
	v_add_co_ci_u32_e32 v12, vcc_lo, s5, v12, vcc_lo
	s_delay_alu instid0(VALU_DEP_2) | instskip(NEXT) | instid1(VALU_DEP_2)
	v_add_co_u32 v13, vcc_lo, v11, v112
	v_add_co_ci_u32_e32 v14, vcc_lo, 0, v12, vcc_lo
	s_clause 0x1
	global_load_b128 v[9:12], v[9:10], off
	global_load_b128 v[40:43], v[13:14], off
	s_waitcnt vmcnt(1)
	ds_store_b128 v184, v[9:12]
	s_waitcnt vmcnt(0)
	ds_store_b128 v245, v[40:43]
	s_clause 0x1
	scratch_load_b64 v[9:10], off, off offset:20
	scratch_load_b64 v[11:12], off, off offset:28
	s_waitcnt vmcnt(1)
	v_add_co_u32 v9, vcc_lo, s4, v9
	v_add_co_ci_u32_e32 v10, vcc_lo, s5, v10, vcc_lo
	s_delay_alu instid0(VALU_DEP_2) | instskip(NEXT) | instid1(VALU_DEP_2)
	v_add_co_u32 v9, vcc_lo, v9, v112
	v_add_co_ci_u32_e32 v10, vcc_lo, 0, v10, vcc_lo
	s_waitcnt vmcnt(0)
	v_add_co_u32 v11, vcc_lo, s4, v11
	v_add_co_ci_u32_e32 v12, vcc_lo, s5, v12, vcc_lo
	s_delay_alu instid0(VALU_DEP_2) | instskip(NEXT) | instid1(VALU_DEP_2)
	v_add_co_u32 v13, vcc_lo, v11, v112
	v_add_co_ci_u32_e32 v14, vcc_lo, 0, v12, vcc_lo
	s_clause 0x1
	global_load_b128 v[9:12], v[9:10], off
	global_load_b128 v[40:43], v[13:14], off
	s_waitcnt vmcnt(1)
	ds_store_b128 v246, v[9:12]
	s_waitcnt vmcnt(0)
	ds_store_b128 v247, v[40:43]
	s_clause 0x1
	scratch_load_b64 v[9:10], off, off offset:36
	scratch_load_b64 v[11:12], off, off offset:44
	;; [unrolled: 22-line block ×3, first 2 shown]
	s_waitcnt vmcnt(1)
	v_add_co_u32 v9, vcc_lo, s4, v9
	v_add_co_ci_u32_e32 v10, vcc_lo, s5, v10, vcc_lo
	s_delay_alu instid0(VALU_DEP_2) | instskip(NEXT) | instid1(VALU_DEP_2)
	v_add_co_u32 v9, vcc_lo, v9, v112
	v_add_co_ci_u32_e32 v10, vcc_lo, 0, v10, vcc_lo
	s_waitcnt vmcnt(0)
	v_add_co_u32 v11, vcc_lo, s4, v11
	v_add_co_ci_u32_e32 v12, vcc_lo, s5, v12, vcc_lo
	v_cmp_eq_u32_e64 s5, 0, v178
	s_delay_alu instid0(VALU_DEP_3) | instskip(NEXT) | instid1(VALU_DEP_3)
	v_add_co_u32 v13, vcc_lo, v11, v112
	v_add_co_ci_u32_e32 v14, vcc_lo, 0, v12, vcc_lo
	s_clause 0x1
	global_load_b128 v[9:12], v[9:10], off
	global_load_b128 v[40:43], v[13:14], off
	s_waitcnt vmcnt(1)
	ds_store_b128 v250, v[9:12]
	s_waitcnt vmcnt(0)
	ds_store_b128 v251, v[40:43]
	v_sub_f32_e32 v9, v52, v49
	s_waitcnt lgkmcnt(0)
	s_barrier
	buffer_gl0_inv
	v_mul_f32_e32 v10, 0x3fb8aa3b, v9
	v_cmp_ngt_f32_e32 vcc_lo, 0xc2ce8ed0, v9
	s_delay_alu instid0(VALU_DEP_2) | instskip(SKIP_1) | instid1(VALU_DEP_1)
	v_fma_f32 v11, 0x3fb8aa3b, v9, -v10
	v_rndne_f32_e32 v12, v10
	v_dual_fmac_f32 v11, 0x32a5705f, v9 :: v_dual_sub_f32 v10, v10, v12
	v_cvt_i32_f32_e32 v12, v12
	s_delay_alu instid0(VALU_DEP_2) | instskip(NEXT) | instid1(VALU_DEP_1)
	v_dual_add_f32 v10, v10, v11 :: v_dual_sub_f32 v11, v51, v49
	v_exp_f32_e32 v10, v10
	s_delay_alu instid0(VALU_DEP_1) | instskip(SKIP_1) | instid1(VALU_DEP_2)
	v_mul_f32_e32 v13, 0x3fb8aa3b, v11
	v_cmp_ngt_f32_e64 s4, 0xc2ce8ed0, v11
	v_fma_f32 v14, 0x3fb8aa3b, v11, -v13
	v_rndne_f32_e32 v15, v13
	s_waitcnt_depctr 0xfff
	v_ldexp_f32 v10, v10, v12
	v_fmac_f32_e32 v14, 0x32a5705f, v11
	s_delay_alu instid0(VALU_DEP_2) | instskip(SKIP_1) | instid1(VALU_DEP_2)
	v_dual_sub_f32 v13, v13, v15 :: v_dual_cndmask_b32 v10, 0, v10
	v_cmp_nlt_f32_e32 vcc_lo, 0x42b17218, v9
	v_add_f32_e32 v13, v13, v14
	s_delay_alu instid0(VALU_DEP_3) | instskip(NEXT) | instid1(VALU_DEP_2)
	v_cndmask_b32_e32 v10, 0x7f800000, v10, vcc_lo
	v_exp_f32_e32 v12, v13
	v_cvt_i32_f32_e32 v13, v15
	v_cmp_eq_u32_e32 vcc_lo, 0, v252
	s_waitcnt_depctr 0xfff
	v_ldexp_f32 v12, v12, v13
	ds_bpermute_b32 v13, v48, v10
	v_cndmask_b32_e64 v9, 0, v12, s4
	v_cmp_nlt_f32_e64 s4, 0x42b17218, v11
	s_delay_alu instid0(VALU_DEP_1)
	v_cndmask_b32_e64 v9, 0x7f800000, v9, s4
	v_cmp_eq_u32_e64 s4, 1, v252
	ds_bpermute_b32 v11, v48, v9
	s_waitcnt lgkmcnt(0)
	v_cndmask_b32_e64 v12, v9, v11, s4
	v_cndmask_b32_e32 v11, v9, v11, vcc_lo
	s_delay_alu instid0(VALU_DEP_2) | instskip(NEXT) | instid1(VALU_DEP_2)
	v_cndmask_b32_e64 v15, v12, v10, s6
	v_cndmask_b32_e64 v14, v11, v10, s5
	v_cvt_f16_f32_e32 v11, v11
	v_cvt_f16_f32_e32 v12, v12
	s_delay_alu instid0(VALU_DEP_1) | instskip(SKIP_3) | instid1(VALU_DEP_3)
	v_pack_b32_f16 v40, v11, v12
	v_sub_f32_e32 v11, v53, v49
	v_cndmask_b32_e32 v14, v14, v13, vcc_lo
	v_cndmask_b32_e64 v13, v15, v13, s4
	v_mul_f32_e32 v12, 0x3fb8aa3b, v11
	s_delay_alu instid0(VALU_DEP_3) | instskip(NEXT) | instid1(VALU_DEP_3)
	v_cvt_f16_f32_e32 v15, v14
	v_cvt_f16_f32_e32 v41, v13
	v_cmp_ngt_f32_e64 s7, 0xc2ce8ed0, v11
	s_delay_alu instid0(VALU_DEP_4) | instskip(NEXT) | instid1(VALU_DEP_3)
	v_rndne_f32_e32 v42, v12
	v_pack_b32_f16 v41, v15, v41
	v_fma_f32 v15, 0x3fb8aa3b, v11, -v12
	s_delay_alu instid0(VALU_DEP_1) | instskip(NEXT) | instid1(VALU_DEP_1)
	v_dual_sub_f32 v12, v12, v42 :: v_dual_fmac_f32 v15, 0x32a5705f, v11
	v_add_f32_e32 v12, v12, v15
	v_cvt_i32_f32_e32 v15, v42
	s_delay_alu instid0(VALU_DEP_2) | instskip(SKIP_2) | instid1(VALU_DEP_1)
	v_exp_f32_e32 v12, v12
	s_waitcnt_depctr 0xfff
	v_ldexp_f32 v12, v12, v15
	v_cndmask_b32_e64 v12, 0, v12, s7
	v_cmp_nlt_f32_e64 s7, 0x42b17218, v11
	s_delay_alu instid0(VALU_DEP_1) | instskip(NEXT) | instid1(VALU_DEP_1)
	v_cndmask_b32_e64 v11, 0x7f800000, v12, s7
	v_cndmask_b32_e64 v12, v13, v11, s6
	;; [unrolled: 1-line block ×3, first 2 shown]
	ds_bpermute_b32 v14, v48, v11
	s_waitcnt lgkmcnt(0)
	v_cndmask_b32_e32 v13, v13, v14, vcc_lo
	v_cndmask_b32_e64 v12, v12, v14, s4
	s_delay_alu instid0(VALU_DEP_2) | instskip(NEXT) | instid1(VALU_DEP_2)
	v_cvt_f16_f32_e32 v14, v13
	v_cvt_f16_f32_e32 v15, v12
	s_delay_alu instid0(VALU_DEP_1) | instskip(SKIP_1) | instid1(VALU_DEP_1)
	v_pack_b32_f16 v42, v14, v15
	v_sub_f32_e32 v14, v44, v49
	v_mul_f32_e32 v15, 0x3fb8aa3b, v14
	v_cmp_ngt_f32_e64 s7, 0xc2ce8ed0, v14
	s_delay_alu instid0(VALU_DEP_2) | instskip(SKIP_1) | instid1(VALU_DEP_2)
	v_fma_f32 v43, 0x3fb8aa3b, v14, -v15
	v_rndne_f32_e32 v44, v15
	v_fmac_f32_e32 v43, 0x32a5705f, v14
	s_delay_alu instid0(VALU_DEP_2) | instskip(NEXT) | instid1(VALU_DEP_1)
	v_sub_f32_e32 v15, v15, v44
	v_add_f32_e32 v15, v15, v43
	v_cvt_i32_f32_e32 v43, v44
	v_add_f32_e32 v9, v9, v10
	s_delay_alu instid0(VALU_DEP_3) | instskip(NEXT) | instid1(VALU_DEP_1)
	v_exp_f32_e32 v15, v15
	v_add_f32_e32 v9, v11, v9
	s_waitcnt_depctr 0xfff
	v_ldexp_f32 v15, v15, v43
	s_delay_alu instid0(VALU_DEP_1) | instskip(SKIP_1) | instid1(VALU_DEP_1)
	v_cndmask_b32_e64 v15, 0, v15, s7
	v_cmp_nlt_f32_e64 s7, 0x42b17218, v14
	v_cndmask_b32_e64 v109, 0x7f800000, v15, s7
	ds_bpermute_b32 v14, v48, v109
	v_cndmask_b32_e64 v12, v12, v109, s6
	v_cndmask_b32_e64 v13, v13, v109, s5
	v_add_f32_e32 v9, v109, v9
	s_waitcnt lgkmcnt(0)
	s_delay_alu instid0(VALU_DEP_2) | instskip(SKIP_1) | instid1(VALU_DEP_2)
	v_cndmask_b32_e32 v13, v13, v14, vcc_lo
	v_cndmask_b32_e64 v12, v12, v14, s4
	v_cvt_f16_f32_e32 v14, v13
	s_delay_alu instid0(VALU_DEP_2) | instskip(NEXT) | instid1(VALU_DEP_1)
	v_cvt_f16_f32_e32 v15, v12
	v_pack_b32_f16 v43, v14, v15
	v_sub_f32_e32 v14, v45, v49
	s_delay_alu instid0(VALU_DEP_1) | instskip(SKIP_1) | instid1(VALU_DEP_2)
	v_mul_f32_e32 v15, 0x3fb8aa3b, v14
	v_cmp_ngt_f32_e64 s7, 0xc2ce8ed0, v14
	v_fma_f32 v44, 0x3fb8aa3b, v14, -v15
	v_rndne_f32_e32 v45, v15
	s_delay_alu instid0(VALU_DEP_1) | instskip(NEXT) | instid1(VALU_DEP_1)
	v_dual_fmac_f32 v44, 0x32a5705f, v14 :: v_dual_sub_f32 v15, v15, v45
	v_add_f32_e32 v15, v15, v44
	v_cvt_i32_f32_e32 v44, v45
	s_delay_alu instid0(VALU_DEP_2) | instskip(SKIP_2) | instid1(VALU_DEP_1)
	v_exp_f32_e32 v15, v15
	s_waitcnt_depctr 0xfff
	v_ldexp_f32 v15, v15, v44
	v_cndmask_b32_e64 v15, 0, v15, s7
	v_cmp_nlt_f32_e64 s7, 0x42b17218, v14
	s_delay_alu instid0(VALU_DEP_1)
	v_cndmask_b32_e64 v110, 0x7f800000, v15, s7
	ds_bpermute_b32 v14, v48, v110
	v_cndmask_b32_e64 v12, v12, v110, s6
	v_cndmask_b32_e64 v13, v13, v110, s5
	v_add_f32_e32 v9, v110, v9
	s_waitcnt lgkmcnt(0)
	s_delay_alu instid0(VALU_DEP_2) | instskip(SKIP_1) | instid1(VALU_DEP_2)
	v_cndmask_b32_e32 v13, v13, v14, vcc_lo
	v_cndmask_b32_e64 v12, v12, v14, s4
	v_cvt_f16_f32_e32 v14, v13
	s_delay_alu instid0(VALU_DEP_2) | instskip(NEXT) | instid1(VALU_DEP_1)
	v_cvt_f16_f32_e32 v15, v12
	v_pack_b32_f16 v44, v14, v15
	v_sub_f32_e32 v14, v54, v49
	s_delay_alu instid0(VALU_DEP_1) | instskip(SKIP_1) | instid1(VALU_DEP_2)
	v_mul_f32_e32 v15, 0x3fb8aa3b, v14
	v_cmp_ngt_f32_e64 s7, 0xc2ce8ed0, v14
	v_fma_f32 v45, 0x3fb8aa3b, v14, -v15
	v_rndne_f32_e32 v51, v15
	s_delay_alu instid0(VALU_DEP_2) | instskip(NEXT) | instid1(VALU_DEP_2)
	v_fmac_f32_e32 v45, 0x32a5705f, v14
	v_sub_f32_e32 v15, v15, v51
	s_delay_alu instid0(VALU_DEP_1) | instskip(SKIP_1) | instid1(VALU_DEP_2)
	v_add_f32_e32 v15, v15, v45
	v_cvt_i32_f32_e32 v45, v51
	v_exp_f32_e32 v15, v15
	s_waitcnt_depctr 0xfff
	v_ldexp_f32 v15, v15, v45
	s_delay_alu instid0(VALU_DEP_1) | instskip(SKIP_1) | instid1(VALU_DEP_1)
	v_cndmask_b32_e64 v15, 0, v15, s7
	v_cmp_nlt_f32_e64 s7, 0x42b17218, v14
	v_cndmask_b32_e64 v111, 0x7f800000, v15, s7
	ds_bpermute_b32 v14, v48, v111
	v_cndmask_b32_e64 v12, v12, v111, s6
	v_cndmask_b32_e64 v13, v13, v111, s5
	v_add_f32_e32 v9, v111, v9
	s_waitcnt lgkmcnt(0)
	s_delay_alu instid0(VALU_DEP_2) | instskip(SKIP_1) | instid1(VALU_DEP_2)
	v_cndmask_b32_e32 v13, v13, v14, vcc_lo
	v_cndmask_b32_e64 v12, v12, v14, s4
	v_cvt_f16_f32_e32 v14, v13
	s_delay_alu instid0(VALU_DEP_2) | instskip(NEXT) | instid1(VALU_DEP_1)
	v_cvt_f16_f32_e32 v15, v12
	v_pack_b32_f16 v45, v14, v15
	v_sub_f32_e32 v14, v46, v49
	s_delay_alu instid0(VALU_DEP_1) | instskip(SKIP_1) | instid1(VALU_DEP_2)
	v_mul_f32_e32 v15, 0x3fb8aa3b, v14
	v_cmp_ngt_f32_e64 s7, 0xc2ce8ed0, v14
	v_fma_f32 v46, 0x3fb8aa3b, v14, -v15
	v_rndne_f32_e32 v51, v15
	s_delay_alu instid0(VALU_DEP_1) | instskip(NEXT) | instid1(VALU_DEP_1)
	v_dual_fmac_f32 v46, 0x32a5705f, v14 :: v_dual_sub_f32 v15, v15, v51
	v_add_f32_e32 v15, v15, v46
	v_cvt_i32_f32_e32 v46, v51
	s_delay_alu instid0(VALU_DEP_2) | instskip(SKIP_2) | instid1(VALU_DEP_1)
	v_exp_f32_e32 v15, v15
	s_waitcnt_depctr 0xfff
	v_ldexp_f32 v15, v15, v46
	v_cndmask_b32_e64 v15, 0, v15, s7
	v_cmp_nlt_f32_e64 s7, 0x42b17218, v14
	s_delay_alu instid0(VALU_DEP_1)
	v_cndmask_b32_e64 v112, 0x7f800000, v15, s7
	ds_bpermute_b32 v14, v48, v112
	v_cndmask_b32_e64 v12, v12, v112, s6
	v_cndmask_b32_e64 v13, v13, v112, s5
	v_add_f32_e32 v9, v112, v9
	s_waitcnt lgkmcnt(0)
	s_delay_alu instid0(VALU_DEP_2) | instskip(SKIP_1) | instid1(VALU_DEP_2)
	v_cndmask_b32_e32 v13, v13, v14, vcc_lo
	v_cndmask_b32_e64 v12, v12, v14, s4
	v_cvt_f16_f32_e32 v14, v13
	s_delay_alu instid0(VALU_DEP_2) | instskip(NEXT) | instid1(VALU_DEP_1)
	v_cvt_f16_f32_e32 v15, v12
	v_pack_b32_f16 v46, v14, v15
	v_sub_f32_e32 v14, v47, v49
	s_delay_alu instid0(VALU_DEP_1) | instskip(SKIP_1) | instid1(VALU_DEP_2)
	v_mul_f32_e32 v15, 0x3fb8aa3b, v14
	v_cmp_ngt_f32_e64 s7, 0xc2ce8ed0, v14
	v_fma_f32 v47, 0x3fb8aa3b, v14, -v15
	v_rndne_f32_e32 v51, v15
	s_delay_alu instid0(VALU_DEP_2) | instskip(NEXT) | instid1(VALU_DEP_2)
	v_fmac_f32_e32 v47, 0x32a5705f, v14
	v_sub_f32_e32 v15, v15, v51
	s_delay_alu instid0(VALU_DEP_1) | instskip(SKIP_1) | instid1(VALU_DEP_2)
	v_add_f32_e32 v15, v15, v47
	v_cvt_i32_f32_e32 v47, v51
	v_exp_f32_e32 v15, v15
	s_waitcnt_depctr 0xfff
	v_ldexp_f32 v15, v15, v47
	s_delay_alu instid0(VALU_DEP_1) | instskip(SKIP_1) | instid1(VALU_DEP_1)
	v_cndmask_b32_e64 v15, 0, v15, s7
	v_cmp_nlt_f32_e64 s7, 0x42b17218, v14
	v_cndmask_b32_e64 v113, 0x7f800000, v15, s7
	ds_bpermute_b32 v14, v48, v113
	v_cndmask_b32_e64 v12, v12, v113, s6
	v_cndmask_b32_e64 v13, v13, v113, s5
	v_add_f32_e32 v9, v113, v9
	s_delay_alu instid0(VALU_DEP_1)
	v_fmac_f32_e32 v9, v169, v50
	ds_bpermute_b32 v10, v48, v9
	s_waitcnt lgkmcnt(1)
	v_cndmask_b32_e32 v13, v13, v14, vcc_lo
	v_cndmask_b32_e64 v12, v12, v14, s4
	s_cselect_b32 s4, -1, 0
	s_delay_alu instid0(SALU_CYCLE_1) | instskip(NEXT) | instid1(VALU_DEP_2)
	s_and_b32 s5, s1, s4
	v_cvt_f16_f32_e32 v13, v13
	s_delay_alu instid0(VALU_DEP_2) | instskip(NEXT) | instid1(VALU_DEP_1)
	v_cvt_f16_f32_e32 v12, v12
	v_pack_b32_f16 v47, v13, v12
	ds_load_2addr_b32 v[12:13], v243 offset1:16
	ds_load_2addr_b32 v[14:15], v243 offset0:68 offset1:84
	ds_load_2addr_b32 v[59:60], v243 offset0:136 offset1:152
	;; [unrolled: 1-line block ×13, first 2 shown]
	ds_load_b32 v114, v186 offset:2176
	ds_load_b32 v115, v186 offset:3264
	;; [unrolled: 1-line block ×8, first 2 shown]
	ds_load_2addr_b32 v[83:84], v87 offset0:100 offset1:116
	ds_load_2addr_b32 v[85:86], v87 offset0:168 offset1:184
	;; [unrolled: 1-line block ×4, first 2 shown]
	s_waitcnt lgkmcnt(26)
	v_add_f32_e32 v9, v9, v10
	s_waitcnt lgkmcnt(24)
	v_perm_b32 v51, v14, v12, 0x5040100
	s_waitcnt lgkmcnt(22)
	v_perm_b32 v52, v61, v59, 0x5040100
	;; [unrolled: 2-line block ×8, first 2 shown]
	s_delay_alu instid0(VALU_DEP_1)
	v_wmma_f16_16x16x16_f16 v[32:39], v[51:58], v[40:47], v[32:39]
	v_add_nc_u32_e32 v58, 0x1000, v243
	ds_load_2addr_b32 v[91:92], v58 offset0:12 offset1:28
	ds_load_2addr_b32 v[93:94], v107 offset0:200 offset1:216
	;; [unrolled: 1-line block ×9, first 2 shown]
	ds_load_b32 v122, v188 offset:2176
	ds_load_b32 v123, v188 offset:3264
	v_perm_b32 v51, v15, v13, 0x5040100
	v_perm_b32 v52, v62, v60, 0x5040100
	s_waitcnt lgkmcnt(14)
	v_perm_b32 v53, v83, v120, 0x5040100
	s_waitcnt lgkmcnt(12)
	v_perm_b32 v54, v87, v85, 0x5040100
	v_perm_b32 v55, v72, v114, 0x5040100
	;; [unrolled: 1-line block ×3, first 2 shown]
	s_waitcnt lgkmcnt(11)
	v_perm_b32 v57, v89, v115, 0x5040100
	s_waitcnt lgkmcnt(0)
	s_barrier
	buffer_gl0_inv
	v_perm_b32 v58, v91, v93, 0x5040100
	s_delay_alu instid0(VALU_DEP_1)
	v_wmma_f16_16x16x16_f16 v[24:31], v[51:58], v[40:47], v[24:31]
	v_perm_b32 v51, v97, v95, 0x5040100
	v_perm_b32 v52, v101, v99, 0x5040100
	v_perm_b32 v53, v84, v116, 0x5040100
	v_perm_b32 v54, v88, v86, 0x5040100
	v_perm_b32 v55, v103, v117, 0x5040100
	v_perm_b32 v56, v107, v105, 0x5040100
	v_perm_b32 v57, v90, v118, 0x5040100
	v_perm_b32 v58, v92, v94, 0x5040100
	s_delay_alu instid0(VALU_DEP_1)
	v_wmma_f16_16x16x16_f16 v[16:23], v[51:58], v[40:47], v[16:23]
	v_perm_b32 v51, v98, v96, 0x5040100
	v_perm_b32 v52, v102, v100, 0x5040100
	v_perm_b32 v53, v65, v119, 0x5040100
	v_perm_b32 v54, v69, v67, 0x5040100
	v_perm_b32 v55, v104, v122, 0x5040100
	v_perm_b32 v56, v108, v106, 0x5040100
	v_perm_b32 v57, v79, v123, 0x5040100
	;; [unrolled: 10-line block ×3, first 2 shown]
	v_perm_b32 v58, v82, v80, 0x7060302
	s_delay_alu instid0(VALU_DEP_1)
	v_wmma_f16_16x16x16_f16 v[32:39], v[51:58], v[40:47], v[32:39] op_sel:[0,0,1]
	v_perm_b32 v51, v15, v13, 0x7060302
	v_perm_b32 v52, v62, v60, 0x7060302
	v_perm_b32 v56, v76, v74, 0x7060302
	v_perm_b32 v55, v72, v114, 0x7060302
	v_perm_b32 v53, v83, v120, 0x7060302
	v_perm_b32 v57, v89, v115, 0x7060302
	v_perm_b32 v54, v87, v85, 0x7060302
	v_perm_b32 v58, v91, v93, 0x7060302
	s_delay_alu instid0(VALU_DEP_1)
	v_wmma_f16_16x16x16_f16 v[24:31], v[51:58], v[40:47], v[24:31] op_sel:[0,0,1]
	v_perm_b32 v54, v88, v86, 0x7060302
	v_perm_b32 v58, v92, v94, 0x7060302
	v_perm_b32 v53, v84, v116, 0x7060302
	v_perm_b32 v57, v90, v118, 0x7060302
	v_perm_b32 v55, v103, v117, 0x7060302
	v_perm_b32 v51, v97, v95, 0x7060302
	v_perm_b32 v52, v101, v99, 0x7060302
	;; [unrolled: 10-line block ×3, first 2 shown]
	v_perm_b32 v58, v121, v81, 0x7060302
	s_delay_alu instid0(VALU_DEP_1)
	v_wmma_f16_16x16x16_f16 v[1:8], v[51:58], v[40:47], v[1:8] op_sel:[0,0,1]
	s_and_saveexec_b32 s4, s5
	s_cbranch_execz .LBB25_120
; %bb.119:                              ;   in Loop: Header=BB25_10 Depth=1
	scratch_load_b32 v10, off, off offset:204 ; 4-byte Folded Reload
	s_waitcnt vmcnt(0)
	v_dual_max_f32 v11, v49, v49 :: v_dual_lshlrev_b32 v10, 2, v10
	global_load_b32 v10, v10, s[64:65]
	s_waitcnt vmcnt(0)
	v_max_f32_e32 v12, v10, v10
	s_delay_alu instid0(VALU_DEP_1) | instskip(NEXT) | instid1(VALU_DEP_1)
	v_max_f32_e32 v11, v11, v12
	v_sub_f32_e32 v10, v10, v11
	s_delay_alu instid0(VALU_DEP_1) | instskip(NEXT) | instid1(VALU_DEP_1)
	v_mul_f32_e32 v40, 0x3fb8aa3b, v10
	v_fma_f32 v41, 0x3fb8aa3b, v10, -v40
	v_sub_f32_e32 v12, v49, v11
	v_rndne_f32_e32 v42, v40
	v_mov_b32_e32 v49, v11
	s_delay_alu instid0(VALU_DEP_4) | instskip(NEXT) | instid1(VALU_DEP_4)
	v_fmac_f32_e32 v41, 0x32a5705f, v10
	v_mul_f32_e32 v13, 0x3fb8aa3b, v12
	v_cmp_ngt_f32_e32 vcc_lo, 0xc2ce8ed0, v12
	s_delay_alu instid0(VALU_DEP_2) | instskip(SKIP_1) | instid1(VALU_DEP_1)
	v_fma_f32 v14, 0x3fb8aa3b, v12, -v13
	v_rndne_f32_e32 v15, v13
	v_dual_fmac_f32 v14, 0x32a5705f, v12 :: v_dual_sub_f32 v13, v13, v15
	v_cvt_i32_f32_e32 v15, v15
	s_delay_alu instid0(VALU_DEP_2) | instskip(SKIP_1) | instid1(VALU_DEP_2)
	v_add_f32_e32 v13, v13, v14
	v_sub_f32_e32 v14, v40, v42
	v_exp_f32_e32 v13, v13
	s_delay_alu instid0(VALU_DEP_1) | instskip(NEXT) | instid1(VALU_DEP_1)
	v_add_f32_e32 v14, v14, v41
	v_exp_f32_e32 v14, v14
	s_waitcnt_depctr 0xfff
	v_ldexp_f32 v13, v13, v15
	v_cvt_i32_f32_e32 v15, v42
	s_delay_alu instid0(VALU_DEP_2) | instskip(SKIP_1) | instid1(VALU_DEP_3)
	v_cndmask_b32_e32 v13, 0, v13, vcc_lo
	v_cmp_nlt_f32_e32 vcc_lo, 0x42b17218, v12
	v_ldexp_f32 v14, v14, v15
	s_delay_alu instid0(VALU_DEP_3) | instskip(SKIP_1) | instid1(VALU_DEP_3)
	v_cndmask_b32_e32 v13, 0x7f800000, v13, vcc_lo
	v_cmp_ngt_f32_e32 vcc_lo, 0xc2ce8ed0, v10
	v_cndmask_b32_e32 v14, 0, v14, vcc_lo
	v_cmp_le_f32_e32 vcc_lo, 0xc1a00000, v12
	s_delay_alu instid0(VALU_DEP_4) | instskip(SKIP_1) | instid1(VALU_DEP_2)
	v_cndmask_b32_e32 v12, 0, v13, vcc_lo
	v_cmp_nlt_f32_e32 vcc_lo, 0x42b17218, v10
	v_cvt_f16_f32_e32 v13, v12
	v_cndmask_b32_e32 v10, 0x7f800000, v14, vcc_lo
	s_delay_alu instid0(VALU_DEP_2) | instskip(NEXT) | instid1(VALU_DEP_2)
	v_pk_mul_f16 v32, v13, v32 op_sel_hi:[0,1]
	v_fmac_f32_e32 v10, v9, v12
	v_pk_mul_f16 v33, v13, v33 op_sel_hi:[0,1]
	v_pk_mul_f16 v34, v13, v34 op_sel_hi:[0,1]
	;; [unrolled: 1-line block ×4, first 2 shown]
	v_mov_b32_e32 v9, v10
	v_pk_mul_f16 v37, v13, v37 op_sel_hi:[0,1]
	v_pk_mul_f16 v38, v13, v38 op_sel_hi:[0,1]
	;; [unrolled: 1-line block ×27, first 2 shown]
.LBB25_120:                             ;   in Loop: Header=BB25_10 Depth=1
	s_or_b32 exec_lo, exec_lo, s4
	s_and_saveexec_b32 s4, s3
	s_cbranch_execz .LBB25_122
; %bb.121:                              ;   in Loop: Header=BB25_10 Depth=1
	scratch_load_b32 v10, off, off offset:112 ; 4-byte Folded Reload
	s_waitcnt vmcnt(0)
	v_add_nc_u32_e32 v10, 0, v10
	ds_store_2addr_b32 v10, v49, v9 offset0:64 offset1:65
.LBB25_122:                             ;   in Loop: Header=BB25_10 Depth=1
	s_or_b32 exec_lo, exec_lo, s4
	s_waitcnt lgkmcnt(0)
	s_barrier
	buffer_gl0_inv
	s_mov_b32 s4, exec_lo
	v_mbcnt_lo_u32_b32 v15, -1, 0
	s_and_b32 s5, s4, s2
	s_delay_alu instid0(SALU_CYCLE_1)
	s_xor_b32 s4, s5, s4
	s_mov_b32 exec_lo, s5
	s_cbranch_execz .LBB25_124
; %bb.123:                              ;   in Loop: Header=BB25_10 Depth=1
	s_barrier
	buffer_gl0_inv
                                        ; implicit-def: $vgpr48
.LBB25_124:                             ;   in Loop: Header=BB25_10 Depth=1
	s_and_not1_saveexec_b32 s4, s4
	s_cbranch_execz .LBB25_128
; %bb.125:                              ;   in Loop: Header=BB25_10 Depth=1
	scratch_load_b32 v9, off, off offset:112 ; 4-byte Folded Reload
	s_waitcnt vmcnt(0)
	v_add_nc_u32_e32 v13, 0, v9
	ds_load_b64 v[11:12], v13 offset:256
	s_waitcnt lgkmcnt(0)
	s_barrier
	buffer_gl0_inv
	v_max_f32_e32 v10, v11, v11
	ds_bpermute_b32 v9, v48, v11
	s_waitcnt lgkmcnt(0)
	v_max_f32_e32 v9, v9, v9
	s_delay_alu instid0(VALU_DEP_1) | instskip(NEXT) | instid1(VALU_DEP_1)
	v_max_f32_e32 v9, v10, v9
	v_sub_f32_e32 v10, v11, v9
	s_delay_alu instid0(VALU_DEP_1) | instskip(SKIP_1) | instid1(VALU_DEP_2)
	v_mul_f32_e32 v11, 0x3fb8aa3b, v10
	v_cmp_ngt_f32_e32 vcc_lo, 0xc2ce8ed0, v10
	v_fma_f32 v14, 0x3fb8aa3b, v10, -v11
	v_rndne_f32_e32 v15, v11
	s_delay_alu instid0(VALU_DEP_1) | instskip(NEXT) | instid1(VALU_DEP_1)
	v_dual_fmac_f32 v14, 0x32a5705f, v10 :: v_dual_sub_f32 v11, v11, v15
	v_add_f32_e32 v11, v11, v14
	v_cvt_i32_f32_e32 v14, v15
	s_delay_alu instid0(VALU_DEP_2) | instskip(SKIP_2) | instid1(VALU_DEP_1)
	v_exp_f32_e32 v11, v11
	s_waitcnt_depctr 0xfff
	v_ldexp_f32 v11, v11, v14
	v_cndmask_b32_e32 v11, 0, v11, vcc_lo
	v_cmp_nlt_f32_e32 vcc_lo, 0x42b17218, v10
	s_delay_alu instid0(VALU_DEP_2) | instskip(NEXT) | instid1(VALU_DEP_1)
	v_cndmask_b32_e32 v10, 0x7f800000, v11, vcc_lo
	v_mul_f32_e32 v11, v12, v10
	ds_bpermute_b32 v11, v48, v11
	s_waitcnt lgkmcnt(0)
	v_fmac_f32_e32 v11, v12, v10
	ds_store_b64 v13, v[10:11] offset:256
	s_and_saveexec_b32 s5, s3
	s_cbranch_execz .LBB25_127
; %bb.126:                              ;   in Loop: Header=BB25_10 Depth=1
	v_mov_b32_e32 v10, v11
	scratch_load_b64 v[11:12], off, off offset:404 ; 8-byte Folded Reload
	s_waitcnt vmcnt(0)
	global_store_b64 v[11:12], v[9:10], off
.LBB25_127:                             ;   in Loop: Header=BB25_10 Depth=1
	s_or_b32 exec_lo, exec_lo, s5
	v_mbcnt_lo_u32_b32 v15, -1, 0
.LBB25_128:                             ;   in Loop: Header=BB25_10 Depth=1
	s_or_b32 exec_lo, exec_lo, s4
	scratch_load_b32 v9, off, off offset:116 ; 4-byte Folded Reload
	s_waitcnt vmcnt(0)
	ds_store_2addr_b32 v9, v32, v33 offset1:2
	ds_store_2addr_b32 v9, v34, v35 offset0:4 offset1:6
	ds_store_2addr_b32 v9, v36, v37 offset0:8 offset1:10
	;; [unrolled: 1-line block ×15, first 2 shown]
	s_waitcnt lgkmcnt(0)
	s_waitcnt_vscnt null, 0x0
	s_barrier
	buffer_gl0_inv
	s_and_saveexec_b32 s6, s1
	s_cbranch_execz .LBB25_206
; %bb.129:                              ;   in Loop: Header=BB25_10 Depth=1
	s_clause 0x1
	scratch_load_b32 v1, off, off offset:232
	scratch_load_b64 v[3:4], off, off offset:196
	s_waitcnt vmcnt(1)
	v_add_nc_u32_e32 v2, vcc_hi, v1
	s_waitcnt vmcnt(0)
	v_or_b32_e32 v1, s88, v3
	s_delay_alu instid0(VALU_DEP_1) | instskip(SKIP_2) | instid1(VALU_DEP_1)
	v_cmp_gt_i32_e32 vcc_lo, s68, v1
	v_mov_b32_e32 v1, 0x47
	v_cmp_gt_i32_e64 s4, s8, v2
	s_and_b32 s4, s4, vcc_lo
	s_delay_alu instid0(SALU_CYCLE_1)
	s_and_saveexec_b32 s5, s4
	s_cbranch_execz .LBB25_131
; %bb.130:                              ;   in Loop: Header=BB25_10 Depth=1
	s_clause 0x1
	scratch_load_b32 v1, off, off offset:244
	scratch_load_b32 v9, off, off offset:248
	s_waitcnt vmcnt(1)
	v_add_nc_u32_e32 v1, 0, v1
	s_waitcnt vmcnt(0)
	ds_load_2addr_b32 v[3:4], v9 offset1:32
	ds_load_2addr_stride64_b32 v[5:6], v1 offset0:1 offset1:18
	s_clause 0x1
	scratch_load_b64 v[10:11], off, off offset:196
	scratch_load_b32 v1, off, off offset:84
	s_waitcnt lgkmcnt(0)
	v_fma_mix_f32 v12, v5, v4, 0 op_sel:[0,1,0] op_sel_hi:[0,1,0]
	s_waitcnt vmcnt(1)
	v_mad_u64_u32 v[7:8], null, v2, s9, v[10:11]
	scratch_load_b32 v2, off, off offset:252 ; 4-byte Folded Reload
	ds_load_b32 v8, v9 offset:4352
	v_fma_mix_f32 v10, v5, v3, 0 op_sel:[0,1,0] op_sel_hi:[0,1,0]
	v_fma_mix_f32 v11, v5, v4, 0 op_sel_hi:[0,1,0]
	s_waitcnt vmcnt(1)
	v_lshl_add_u32 v1, v7, 6, v1
	v_fma_mix_f32 v7, v5, v3, 0 op_sel_hi:[0,1,0]
	s_waitcnt lgkmcnt(0)
	s_delay_alu instid0(VALU_DEP_1) | instskip(SKIP_4) | instid1(VALU_DEP_1)
	v_fma_mix_f32 v7, v6, v8, v7 op_sel_hi:[0,1,0]
	v_fma_mix_f32 v8, v6, v8, v10 op_sel:[0,1,0] op_sel_hi:[0,1,0]
	s_waitcnt vmcnt(0)
	ds_load_b32 v9, v2 offset:4352
	v_ashrrev_i32_e32 v2, 31, v1
	v_lshlrev_b64 v[1:2], 3, v[1:2]
	s_delay_alu instid0(VALU_DEP_1) | instskip(NEXT) | instid1(VALU_DEP_1)
	v_add_co_u32 v3, s4, s59, v1
	v_add_co_ci_u32_e64 v4, s4, s87, v2, s4
	v_mov_b32_e32 v1, 0
	s_waitcnt lgkmcnt(0)
	v_fma_mix_f32 v5, v6, v9, v11 op_sel_hi:[0,1,0]
	v_fma_mix_f32 v6, v6, v9, v12 op_sel:[0,1,0] op_sel_hi:[0,1,0]
	s_clause 0x1
	global_store_b64 v[3:4], v[7:8], off
	global_store_b64 v[3:4], v[5:6], off offset:256
.LBB25_131:                             ;   in Loop: Header=BB25_10 Depth=1
	s_or_b32 exec_lo, exec_lo, s5
	s_mov_b32 s5, -1
	s_mov_b32 s7, exec_lo
	v_cmpx_gt_i32_e32 0x47, v1
; %bb.132:                              ;   in Loop: Header=BB25_10 Depth=1
	v_cmp_eq_u32_e64 s4, 0, v1
	s_delay_alu instid0(VALU_DEP_1)
	s_or_not1_b32 s5, s4, exec_lo
; %bb.133:                              ;   in Loop: Header=BB25_10 Depth=1
	s_or_b32 exec_lo, exec_lo, s7
	s_delay_alu instid0(SALU_CYCLE_1)
	s_and_b32 exec_lo, exec_lo, s5
	s_cbranch_execz .LBB25_206
; %bb.134:                              ;   in Loop: Header=BB25_10 Depth=1
	s_clause 0x1
	scratch_load_b32 v1, off, off offset:256
	scratch_load_b64 v[3:4], off, off offset:236
	s_waitcnt vmcnt(1)
	v_add_nc_u32_e32 v2, vcc_hi, v1
	s_waitcnt vmcnt(0)
	v_or_b32_e32 v1, s88, v3
	s_delay_alu instid0(VALU_DEP_1) | instskip(SKIP_2) | instid1(VALU_DEP_1)
	v_cmp_gt_i32_e64 s5, s68, v1
	v_mov_b32_e32 v1, 0x47
	v_cmp_gt_i32_e64 s4, s8, v2
	s_and_b32 s4, s4, s5
	s_delay_alu instid0(SALU_CYCLE_1)
	s_and_saveexec_b32 s5, s4
	s_cbranch_execz .LBB25_136
; %bb.135:                              ;   in Loop: Header=BB25_10 Depth=1
	s_clause 0x1
	scratch_load_b32 v1, off, off offset:412
	scratch_load_b32 v9, off, off offset:416
	s_waitcnt vmcnt(1)
	v_add_nc_u32_e32 v1, 0, v1
	s_waitcnt vmcnt(0)
	ds_load_2addr_b32 v[3:4], v9 offset1:32
	ds_load_2addr_stride64_b32 v[5:6], v1 offset0:1 offset1:18
	s_clause 0x1
	scratch_load_b64 v[10:11], off, off offset:236
	scratch_load_b32 v1, off, off offset:84
	s_waitcnt lgkmcnt(0)
	v_fma_mix_f32 v12, v5, v4, 0 op_sel:[0,1,0] op_sel_hi:[0,1,0]
	s_waitcnt vmcnt(1)
	v_mad_u64_u32 v[7:8], null, v2, s9, v[10:11]
	scratch_load_b32 v2, off, off offset:420 ; 4-byte Folded Reload
	ds_load_b32 v8, v9 offset:4352
	v_fma_mix_f32 v10, v5, v3, 0 op_sel:[0,1,0] op_sel_hi:[0,1,0]
	v_fma_mix_f32 v11, v5, v4, 0 op_sel_hi:[0,1,0]
	s_waitcnt vmcnt(1)
	v_lshl_add_u32 v1, v7, 6, v1
	v_fma_mix_f32 v7, v5, v3, 0 op_sel_hi:[0,1,0]
	s_waitcnt lgkmcnt(0)
	s_delay_alu instid0(VALU_DEP_1) | instskip(SKIP_4) | instid1(VALU_DEP_1)
	v_fma_mix_f32 v7, v6, v8, v7 op_sel_hi:[0,1,0]
	v_fma_mix_f32 v8, v6, v8, v10 op_sel:[0,1,0] op_sel_hi:[0,1,0]
	s_waitcnt vmcnt(0)
	ds_load_b32 v9, v2 offset:4352
	v_ashrrev_i32_e32 v2, 31, v1
	v_lshlrev_b64 v[1:2], 3, v[1:2]
	s_delay_alu instid0(VALU_DEP_1) | instskip(NEXT) | instid1(VALU_DEP_1)
	v_add_co_u32 v3, s4, s59, v1
	v_add_co_ci_u32_e64 v4, s4, s87, v2, s4
	v_mov_b32_e32 v1, 0
	s_waitcnt lgkmcnt(0)
	v_fma_mix_f32 v5, v6, v9, v11 op_sel_hi:[0,1,0]
	v_fma_mix_f32 v6, v6, v9, v12 op_sel:[0,1,0] op_sel_hi:[0,1,0]
	s_clause 0x1
	global_store_b64 v[3:4], v[7:8], off
	global_store_b64 v[3:4], v[5:6], off offset:256
.LBB25_136:                             ;   in Loop: Header=BB25_10 Depth=1
	s_or_b32 exec_lo, exec_lo, s5
	s_mov_b32 s5, -1
	s_mov_b32 s7, exec_lo
	v_cmpx_gt_i32_e32 0x47, v1
; %bb.137:                              ;   in Loop: Header=BB25_10 Depth=1
	v_cmp_eq_u32_e64 s4, 0, v1
	s_delay_alu instid0(VALU_DEP_1)
	s_or_not1_b32 s5, s4, exec_lo
; %bb.138:                              ;   in Loop: Header=BB25_10 Depth=1
	s_or_b32 exec_lo, exec_lo, s7
	s_delay_alu instid0(SALU_CYCLE_1)
	s_and_b32 exec_lo, exec_lo, s5
	s_cbranch_execz .LBB25_206
; %bb.139:                              ;   in Loop: Header=BB25_10 Depth=1
	s_clause 0x1
	scratch_load_b32 v1, off, off offset:424
	scratch_load_b64 v[3:4], off, off offset:396
	s_waitcnt vmcnt(1)
	v_add_nc_u32_e32 v2, vcc_hi, v1
	s_waitcnt vmcnt(0)
	v_or_b32_e32 v1, s88, v3
	s_delay_alu instid0(VALU_DEP_1) | instskip(SKIP_2) | instid1(VALU_DEP_1)
	v_cmp_gt_i32_e64 s5, s68, v1
	v_mov_b32_e32 v1, 0x47
	v_cmp_gt_i32_e64 s4, s8, v2
	s_and_b32 s4, s4, s5
	s_delay_alu instid0(SALU_CYCLE_1)
	s_and_saveexec_b32 s5, s4
	s_cbranch_execz .LBB25_141
; %bb.140:                              ;   in Loop: Header=BB25_10 Depth=1
	s_clause 0x1
	scratch_load_b32 v1, off, off offset:436
	scratch_load_b32 v9, off, off offset:440
	s_waitcnt vmcnt(1)
	v_add_nc_u32_e32 v1, 0, v1
	s_waitcnt vmcnt(0)
	ds_load_2addr_b32 v[3:4], v9 offset1:32
	ds_load_2addr_stride64_b32 v[5:6], v1 offset0:1 offset1:18
	s_clause 0x1
	scratch_load_b64 v[10:11], off, off offset:396
	scratch_load_b32 v1, off, off offset:84
	s_waitcnt lgkmcnt(0)
	v_fma_mix_f32 v12, v5, v4, 0 op_sel:[0,1,0] op_sel_hi:[0,1,0]
	s_waitcnt vmcnt(1)
	v_mad_u64_u32 v[7:8], null, v2, s9, v[10:11]
	scratch_load_b32 v2, off, off offset:444 ; 4-byte Folded Reload
	ds_load_b32 v8, v9 offset:4352
	v_fma_mix_f32 v10, v5, v3, 0 op_sel:[0,1,0] op_sel_hi:[0,1,0]
	v_fma_mix_f32 v11, v5, v4, 0 op_sel_hi:[0,1,0]
	s_waitcnt vmcnt(1)
	v_lshl_add_u32 v1, v7, 6, v1
	v_fma_mix_f32 v7, v5, v3, 0 op_sel_hi:[0,1,0]
	s_waitcnt lgkmcnt(0)
	s_delay_alu instid0(VALU_DEP_1) | instskip(SKIP_4) | instid1(VALU_DEP_1)
	v_fma_mix_f32 v7, v6, v8, v7 op_sel_hi:[0,1,0]
	v_fma_mix_f32 v8, v6, v8, v10 op_sel:[0,1,0] op_sel_hi:[0,1,0]
	s_waitcnt vmcnt(0)
	ds_load_b32 v9, v2 offset:4352
	v_ashrrev_i32_e32 v2, 31, v1
	v_lshlrev_b64 v[1:2], 3, v[1:2]
	s_delay_alu instid0(VALU_DEP_1) | instskip(NEXT) | instid1(VALU_DEP_1)
	v_add_co_u32 v3, s4, s59, v1
	v_add_co_ci_u32_e64 v4, s4, s87, v2, s4
	v_mov_b32_e32 v1, 0
	s_waitcnt lgkmcnt(0)
	v_fma_mix_f32 v5, v6, v9, v11 op_sel_hi:[0,1,0]
	v_fma_mix_f32 v6, v6, v9, v12 op_sel:[0,1,0] op_sel_hi:[0,1,0]
	s_clause 0x1
	global_store_b64 v[3:4], v[7:8], off
	global_store_b64 v[3:4], v[5:6], off offset:256
.LBB25_141:                             ;   in Loop: Header=BB25_10 Depth=1
	s_or_b32 exec_lo, exec_lo, s5
	s_mov_b32 s5, -1
	s_mov_b32 s7, exec_lo
	v_cmpx_gt_i32_e32 0x47, v1
; %bb.142:                              ;   in Loop: Header=BB25_10 Depth=1
	v_cmp_eq_u32_e64 s4, 0, v1
	s_delay_alu instid0(VALU_DEP_1)
	s_or_not1_b32 s5, s4, exec_lo
; %bb.143:                              ;   in Loop: Header=BB25_10 Depth=1
	s_or_b32 exec_lo, exec_lo, s7
	s_delay_alu instid0(SALU_CYCLE_1)
	s_and_b32 exec_lo, exec_lo, s5
	s_cbranch_execz .LBB25_206
; %bb.144:                              ;   in Loop: Header=BB25_10 Depth=1
	s_clause 0x1
	scratch_load_b32 v1, off, off offset:448
	scratch_load_b64 v[3:4], off, off offset:428
	s_waitcnt vmcnt(1)
	v_add_nc_u32_e32 v2, vcc_hi, v1
	s_waitcnt vmcnt(0)
	v_or_b32_e32 v1, s88, v3
	s_delay_alu instid0(VALU_DEP_1) | instskip(SKIP_2) | instid1(VALU_DEP_1)
	v_cmp_gt_i32_e64 s5, s68, v1
	v_mov_b32_e32 v1, 0x47
	v_cmp_gt_i32_e64 s4, s8, v2
	s_and_b32 s4, s4, s5
	s_delay_alu instid0(SALU_CYCLE_1)
	s_and_saveexec_b32 s5, s4
	s_cbranch_execz .LBB25_146
; %bb.145:                              ;   in Loop: Header=BB25_10 Depth=1
	s_clause 0x1
	scratch_load_b32 v1, off, off offset:460
	scratch_load_b32 v9, off, off offset:464
	s_waitcnt vmcnt(1)
	v_add_nc_u32_e32 v1, 0, v1
	s_waitcnt vmcnt(0)
	ds_load_2addr_b32 v[3:4], v9 offset1:32
	ds_load_2addr_stride64_b32 v[5:6], v1 offset0:1 offset1:18
	s_clause 0x1
	scratch_load_b64 v[10:11], off, off offset:428
	scratch_load_b32 v1, off, off offset:84
	s_waitcnt lgkmcnt(0)
	v_fma_mix_f32 v12, v5, v4, 0 op_sel:[0,1,0] op_sel_hi:[0,1,0]
	s_waitcnt vmcnt(1)
	v_mad_u64_u32 v[7:8], null, v2, s9, v[10:11]
	scratch_load_b32 v2, off, off offset:468 ; 4-byte Folded Reload
	ds_load_b32 v8, v9 offset:4352
	v_fma_mix_f32 v10, v5, v3, 0 op_sel:[0,1,0] op_sel_hi:[0,1,0]
	v_fma_mix_f32 v11, v5, v4, 0 op_sel_hi:[0,1,0]
	s_waitcnt vmcnt(1)
	v_lshl_add_u32 v1, v7, 6, v1
	v_fma_mix_f32 v7, v5, v3, 0 op_sel_hi:[0,1,0]
	s_waitcnt lgkmcnt(0)
	s_delay_alu instid0(VALU_DEP_1) | instskip(SKIP_4) | instid1(VALU_DEP_1)
	v_fma_mix_f32 v7, v6, v8, v7 op_sel_hi:[0,1,0]
	v_fma_mix_f32 v8, v6, v8, v10 op_sel:[0,1,0] op_sel_hi:[0,1,0]
	s_waitcnt vmcnt(0)
	ds_load_b32 v9, v2 offset:4352
	v_ashrrev_i32_e32 v2, 31, v1
	v_lshlrev_b64 v[1:2], 3, v[1:2]
	s_delay_alu instid0(VALU_DEP_1) | instskip(NEXT) | instid1(VALU_DEP_1)
	v_add_co_u32 v3, s4, s59, v1
	v_add_co_ci_u32_e64 v4, s4, s87, v2, s4
	v_mov_b32_e32 v1, 0
	s_waitcnt lgkmcnt(0)
	v_fma_mix_f32 v5, v6, v9, v11 op_sel_hi:[0,1,0]
	v_fma_mix_f32 v6, v6, v9, v12 op_sel:[0,1,0] op_sel_hi:[0,1,0]
	s_clause 0x1
	global_store_b64 v[3:4], v[7:8], off
	global_store_b64 v[3:4], v[5:6], off offset:256
.LBB25_146:                             ;   in Loop: Header=BB25_10 Depth=1
	s_or_b32 exec_lo, exec_lo, s5
	s_mov_b32 s5, -1
	s_mov_b32 s7, exec_lo
	v_cmpx_gt_i32_e32 0x47, v1
; %bb.147:                              ;   in Loop: Header=BB25_10 Depth=1
	v_cmp_eq_u32_e64 s4, 0, v1
	s_delay_alu instid0(VALU_DEP_1)
	s_or_not1_b32 s5, s4, exec_lo
; %bb.148:                              ;   in Loop: Header=BB25_10 Depth=1
	s_or_b32 exec_lo, exec_lo, s7
	s_delay_alu instid0(SALU_CYCLE_1)
	s_and_b32 exec_lo, exec_lo, s5
	s_cbranch_execz .LBB25_206
; %bb.149:                              ;   in Loop: Header=BB25_10 Depth=1
	s_clause 0x1
	scratch_load_b32 v1, off, off offset:472
	scratch_load_b64 v[3:4], off, off offset:452
	s_waitcnt vmcnt(1)
	v_add_nc_u32_e32 v2, vcc_hi, v1
	s_waitcnt vmcnt(0)
	v_or_b32_e32 v1, s88, v3
	s_delay_alu instid0(VALU_DEP_1) | instskip(SKIP_2) | instid1(VALU_DEP_1)
	v_cmp_gt_i32_e64 s5, s68, v1
	v_mov_b32_e32 v1, 0x47
	v_cmp_gt_i32_e64 s4, s8, v2
	s_and_b32 s4, s4, s5
	s_delay_alu instid0(SALU_CYCLE_1)
	s_and_saveexec_b32 s5, s4
	s_cbranch_execz .LBB25_151
; %bb.150:                              ;   in Loop: Header=BB25_10 Depth=1
	s_clause 0x1
	scratch_load_b32 v1, off, off offset:524
	scratch_load_b32 v9, off, off offset:528
	s_waitcnt vmcnt(1)
	v_add_nc_u32_e32 v1, 0, v1
	s_waitcnt vmcnt(0)
	ds_load_2addr_b32 v[3:4], v9 offset1:32
	ds_load_2addr_stride64_b32 v[5:6], v1 offset0:1 offset1:18
	s_clause 0x1
	scratch_load_b64 v[10:11], off, off offset:452
	scratch_load_b32 v1, off, off offset:84
	s_waitcnt lgkmcnt(0)
	v_fma_mix_f32 v12, v5, v4, 0 op_sel:[0,1,0] op_sel_hi:[0,1,0]
	s_waitcnt vmcnt(1)
	v_mad_u64_u32 v[7:8], null, v2, s9, v[10:11]
	scratch_load_b32 v2, off, off offset:532 ; 4-byte Folded Reload
	ds_load_b32 v8, v9 offset:4352
	v_fma_mix_f32 v10, v5, v3, 0 op_sel:[0,1,0] op_sel_hi:[0,1,0]
	v_fma_mix_f32 v11, v5, v4, 0 op_sel_hi:[0,1,0]
	s_waitcnt vmcnt(1)
	v_lshl_add_u32 v1, v7, 6, v1
	v_fma_mix_f32 v7, v5, v3, 0 op_sel_hi:[0,1,0]
	s_waitcnt lgkmcnt(0)
	s_delay_alu instid0(VALU_DEP_1) | instskip(SKIP_4) | instid1(VALU_DEP_1)
	v_fma_mix_f32 v7, v6, v8, v7 op_sel_hi:[0,1,0]
	v_fma_mix_f32 v8, v6, v8, v10 op_sel:[0,1,0] op_sel_hi:[0,1,0]
	s_waitcnt vmcnt(0)
	ds_load_b32 v9, v2 offset:4352
	v_ashrrev_i32_e32 v2, 31, v1
	v_lshlrev_b64 v[1:2], 3, v[1:2]
	s_delay_alu instid0(VALU_DEP_1) | instskip(NEXT) | instid1(VALU_DEP_1)
	v_add_co_u32 v3, s4, s59, v1
	v_add_co_ci_u32_e64 v4, s4, s87, v2, s4
	v_mov_b32_e32 v1, 0
	s_waitcnt lgkmcnt(0)
	v_fma_mix_f32 v5, v6, v9, v11 op_sel_hi:[0,1,0]
	v_fma_mix_f32 v6, v6, v9, v12 op_sel:[0,1,0] op_sel_hi:[0,1,0]
	s_clause 0x1
	global_store_b64 v[3:4], v[7:8], off
	global_store_b64 v[3:4], v[5:6], off offset:256
.LBB25_151:                             ;   in Loop: Header=BB25_10 Depth=1
	s_or_b32 exec_lo, exec_lo, s5
	s_mov_b32 s5, -1
	s_mov_b32 s7, exec_lo
	v_cmpx_gt_i32_e32 0x47, v1
; %bb.152:                              ;   in Loop: Header=BB25_10 Depth=1
	v_cmp_eq_u32_e64 s4, 0, v1
	s_delay_alu instid0(VALU_DEP_1)
	s_or_not1_b32 s5, s4, exec_lo
; %bb.153:                              ;   in Loop: Header=BB25_10 Depth=1
	s_or_b32 exec_lo, exec_lo, s7
	s_delay_alu instid0(SALU_CYCLE_1)
	s_and_b32 exec_lo, exec_lo, s5
	s_cbranch_execz .LBB25_206
; %bb.154:                              ;   in Loop: Header=BB25_10 Depth=1
	s_clause 0x1
	scratch_load_b32 v1, off, off offset:536
	scratch_load_b64 v[3:4], off, off offset:516
	s_waitcnt vmcnt(1)
	v_add_nc_u32_e32 v2, vcc_hi, v1
	s_waitcnt vmcnt(0)
	v_or_b32_e32 v1, s88, v3
	s_delay_alu instid0(VALU_DEP_1) | instskip(SKIP_2) | instid1(VALU_DEP_1)
	v_cmp_gt_i32_e64 s5, s68, v1
	v_mov_b32_e32 v1, 0x47
	v_cmp_gt_i32_e64 s4, s8, v2
	s_and_b32 s4, s4, s5
	s_delay_alu instid0(SALU_CYCLE_1)
	s_and_saveexec_b32 s5, s4
	s_cbranch_execz .LBB25_156
; %bb.155:                              ;   in Loop: Header=BB25_10 Depth=1
	s_clause 0x1
	scratch_load_b32 v1, off, off offset:548
	scratch_load_b32 v9, off, off offset:552
	s_waitcnt vmcnt(1)
	v_add_nc_u32_e32 v1, 0, v1
	s_waitcnt vmcnt(0)
	ds_load_2addr_b32 v[3:4], v9 offset1:32
	ds_load_2addr_stride64_b32 v[5:6], v1 offset0:1 offset1:18
	s_clause 0x1
	scratch_load_b64 v[10:11], off, off offset:516
	scratch_load_b32 v1, off, off offset:84
	s_waitcnt lgkmcnt(0)
	v_fma_mix_f32 v12, v5, v4, 0 op_sel:[0,1,0] op_sel_hi:[0,1,0]
	s_waitcnt vmcnt(1)
	v_mad_u64_u32 v[7:8], null, v2, s9, v[10:11]
	scratch_load_b32 v2, off, off offset:556 ; 4-byte Folded Reload
	ds_load_b32 v8, v9 offset:4352
	v_fma_mix_f32 v10, v5, v3, 0 op_sel:[0,1,0] op_sel_hi:[0,1,0]
	v_fma_mix_f32 v11, v5, v4, 0 op_sel_hi:[0,1,0]
	s_waitcnt vmcnt(1)
	v_lshl_add_u32 v1, v7, 6, v1
	v_fma_mix_f32 v7, v5, v3, 0 op_sel_hi:[0,1,0]
	s_waitcnt lgkmcnt(0)
	s_delay_alu instid0(VALU_DEP_1) | instskip(SKIP_4) | instid1(VALU_DEP_1)
	v_fma_mix_f32 v7, v6, v8, v7 op_sel_hi:[0,1,0]
	v_fma_mix_f32 v8, v6, v8, v10 op_sel:[0,1,0] op_sel_hi:[0,1,0]
	s_waitcnt vmcnt(0)
	ds_load_b32 v9, v2 offset:4352
	v_ashrrev_i32_e32 v2, 31, v1
	v_lshlrev_b64 v[1:2], 3, v[1:2]
	s_delay_alu instid0(VALU_DEP_1) | instskip(NEXT) | instid1(VALU_DEP_1)
	v_add_co_u32 v3, s4, s59, v1
	v_add_co_ci_u32_e64 v4, s4, s87, v2, s4
	v_mov_b32_e32 v1, 0
	s_waitcnt lgkmcnt(0)
	v_fma_mix_f32 v5, v6, v9, v11 op_sel_hi:[0,1,0]
	v_fma_mix_f32 v6, v6, v9, v12 op_sel:[0,1,0] op_sel_hi:[0,1,0]
	s_clause 0x1
	global_store_b64 v[3:4], v[7:8], off
	global_store_b64 v[3:4], v[5:6], off offset:256
.LBB25_156:                             ;   in Loop: Header=BB25_10 Depth=1
	s_or_b32 exec_lo, exec_lo, s5
	s_mov_b32 s5, -1
	s_mov_b32 s7, exec_lo
	v_cmpx_gt_i32_e32 0x47, v1
; %bb.157:                              ;   in Loop: Header=BB25_10 Depth=1
	v_cmp_eq_u32_e64 s4, 0, v1
	s_delay_alu instid0(VALU_DEP_1)
	s_or_not1_b32 s5, s4, exec_lo
; %bb.158:                              ;   in Loop: Header=BB25_10 Depth=1
	s_or_b32 exec_lo, exec_lo, s7
	s_delay_alu instid0(SALU_CYCLE_1)
	s_and_b32 exec_lo, exec_lo, s5
	s_cbranch_execz .LBB25_206
; %bb.159:                              ;   in Loop: Header=BB25_10 Depth=1
	s_clause 0x1
	scratch_load_b32 v1, off, off offset:560
	scratch_load_b64 v[3:4], off, off offset:540
	s_waitcnt vmcnt(1)
	v_add_nc_u32_e32 v2, vcc_hi, v1
	s_waitcnt vmcnt(0)
	v_or_b32_e32 v1, s88, v3
	s_delay_alu instid0(VALU_DEP_1) | instskip(SKIP_2) | instid1(VALU_DEP_1)
	v_cmp_gt_i32_e64 s5, s68, v1
	v_mov_b32_e32 v1, 0x47
	v_cmp_gt_i32_e64 s4, s8, v2
	s_and_b32 s4, s4, s5
	s_delay_alu instid0(SALU_CYCLE_1)
	s_and_saveexec_b32 s5, s4
	s_cbranch_execz .LBB25_161
; %bb.160:                              ;   in Loop: Header=BB25_10 Depth=1
	s_clause 0x1
	scratch_load_b32 v1, off, off offset:572
	scratch_load_b32 v9, off, off offset:576
	s_waitcnt vmcnt(1)
	v_add_nc_u32_e32 v1, 0, v1
	s_waitcnt vmcnt(0)
	ds_load_2addr_b32 v[3:4], v9 offset1:32
	ds_load_2addr_stride64_b32 v[5:6], v1 offset0:1 offset1:18
	s_clause 0x1
	scratch_load_b64 v[10:11], off, off offset:540
	scratch_load_b32 v1, off, off offset:84
	s_waitcnt lgkmcnt(0)
	v_fma_mix_f32 v12, v5, v4, 0 op_sel:[0,1,0] op_sel_hi:[0,1,0]
	s_waitcnt vmcnt(1)
	v_mad_u64_u32 v[7:8], null, v2, s9, v[10:11]
	scratch_load_b32 v2, off, off offset:580 ; 4-byte Folded Reload
	ds_load_b32 v8, v9 offset:4352
	v_fma_mix_f32 v10, v5, v3, 0 op_sel:[0,1,0] op_sel_hi:[0,1,0]
	v_fma_mix_f32 v11, v5, v4, 0 op_sel_hi:[0,1,0]
	s_waitcnt vmcnt(1)
	v_lshl_add_u32 v1, v7, 6, v1
	v_fma_mix_f32 v7, v5, v3, 0 op_sel_hi:[0,1,0]
	s_waitcnt lgkmcnt(0)
	s_delay_alu instid0(VALU_DEP_1) | instskip(SKIP_4) | instid1(VALU_DEP_1)
	v_fma_mix_f32 v7, v6, v8, v7 op_sel_hi:[0,1,0]
	v_fma_mix_f32 v8, v6, v8, v10 op_sel:[0,1,0] op_sel_hi:[0,1,0]
	s_waitcnt vmcnt(0)
	ds_load_b32 v9, v2 offset:4352
	v_ashrrev_i32_e32 v2, 31, v1
	v_lshlrev_b64 v[1:2], 3, v[1:2]
	s_delay_alu instid0(VALU_DEP_1) | instskip(NEXT) | instid1(VALU_DEP_1)
	v_add_co_u32 v3, s4, s59, v1
	v_add_co_ci_u32_e64 v4, s4, s87, v2, s4
	v_mov_b32_e32 v1, 0
	s_waitcnt lgkmcnt(0)
	v_fma_mix_f32 v5, v6, v9, v11 op_sel_hi:[0,1,0]
	v_fma_mix_f32 v6, v6, v9, v12 op_sel:[0,1,0] op_sel_hi:[0,1,0]
	s_clause 0x1
	global_store_b64 v[3:4], v[7:8], off
	global_store_b64 v[3:4], v[5:6], off offset:256
.LBB25_161:                             ;   in Loop: Header=BB25_10 Depth=1
	s_or_b32 exec_lo, exec_lo, s5
	s_mov_b32 s5, -1
	s_mov_b32 s7, exec_lo
	v_cmpx_gt_i32_e32 0x47, v1
; %bb.162:                              ;   in Loop: Header=BB25_10 Depth=1
	v_cmp_eq_u32_e64 s4, 0, v1
	s_delay_alu instid0(VALU_DEP_1)
	s_or_not1_b32 s5, s4, exec_lo
; %bb.163:                              ;   in Loop: Header=BB25_10 Depth=1
	s_or_b32 exec_lo, exec_lo, s7
	s_delay_alu instid0(SALU_CYCLE_1)
	s_and_b32 exec_lo, exec_lo, s5
	s_cbranch_execz .LBB25_206
; %bb.164:                              ;   in Loop: Header=BB25_10 Depth=1
	s_clause 0x1
	scratch_load_b32 v1, off, off offset:584
	scratch_load_b64 v[3:4], off, off offset:564
	s_waitcnt vmcnt(1)
	v_add_nc_u32_e32 v2, vcc_hi, v1
	s_waitcnt vmcnt(0)
	v_or_b32_e32 v1, s88, v3
	s_delay_alu instid0(VALU_DEP_1) | instskip(SKIP_2) | instid1(VALU_DEP_1)
	v_cmp_gt_i32_e64 s5, s68, v1
	v_mov_b32_e32 v1, 0x47
	v_cmp_gt_i32_e64 s4, s8, v2
	s_and_b32 s4, s4, s5
	s_delay_alu instid0(SALU_CYCLE_1)
	s_and_saveexec_b32 s5, s4
	s_cbranch_execz .LBB25_166
; %bb.165:                              ;   in Loop: Header=BB25_10 Depth=1
	s_clause 0x1
	scratch_load_b32 v1, off, off offset:588
	scratch_load_b32 v9, off, off offset:592
	s_waitcnt vmcnt(1)
	v_add_nc_u32_e32 v1, 0, v1
	s_waitcnt vmcnt(0)
	ds_load_2addr_b32 v[3:4], v9 offset1:32
	ds_load_2addr_stride64_b32 v[5:6], v1 offset0:1 offset1:18
	s_clause 0x1
	scratch_load_b64 v[10:11], off, off offset:564
	scratch_load_b32 v1, off, off offset:84
	s_waitcnt lgkmcnt(0)
	v_fma_mix_f32 v12, v5, v4, 0 op_sel:[0,1,0] op_sel_hi:[0,1,0]
	s_waitcnt vmcnt(1)
	v_mad_u64_u32 v[7:8], null, v2, s9, v[10:11]
	scratch_load_b32 v2, off, off offset:596 ; 4-byte Folded Reload
	ds_load_b32 v8, v9 offset:4352
	v_fma_mix_f32 v10, v5, v3, 0 op_sel:[0,1,0] op_sel_hi:[0,1,0]
	v_fma_mix_f32 v11, v5, v4, 0 op_sel_hi:[0,1,0]
	s_waitcnt vmcnt(1)
	v_lshl_add_u32 v1, v7, 6, v1
	v_fma_mix_f32 v7, v5, v3, 0 op_sel_hi:[0,1,0]
	s_waitcnt lgkmcnt(0)
	s_delay_alu instid0(VALU_DEP_1) | instskip(SKIP_4) | instid1(VALU_DEP_1)
	v_fma_mix_f32 v7, v6, v8, v7 op_sel_hi:[0,1,0]
	v_fma_mix_f32 v8, v6, v8, v10 op_sel:[0,1,0] op_sel_hi:[0,1,0]
	s_waitcnt vmcnt(0)
	ds_load_b32 v9, v2 offset:4352
	v_ashrrev_i32_e32 v2, 31, v1
	v_lshlrev_b64 v[1:2], 3, v[1:2]
	s_delay_alu instid0(VALU_DEP_1) | instskip(NEXT) | instid1(VALU_DEP_1)
	v_add_co_u32 v3, s4, s59, v1
	v_add_co_ci_u32_e64 v4, s4, s87, v2, s4
	v_mov_b32_e32 v1, 0
	s_waitcnt lgkmcnt(0)
	v_fma_mix_f32 v5, v6, v9, v11 op_sel_hi:[0,1,0]
	v_fma_mix_f32 v6, v6, v9, v12 op_sel:[0,1,0] op_sel_hi:[0,1,0]
	s_clause 0x1
	global_store_b64 v[3:4], v[7:8], off
	global_store_b64 v[3:4], v[5:6], off offset:256
.LBB25_166:                             ;   in Loop: Header=BB25_10 Depth=1
	s_or_b32 exec_lo, exec_lo, s5
	s_mov_b32 s5, -1
	s_mov_b32 s7, exec_lo
	v_cmpx_gt_i32_e32 0x47, v1
; %bb.167:                              ;   in Loop: Header=BB25_10 Depth=1
	v_cmp_eq_u32_e64 s4, 0, v1
	s_delay_alu instid0(VALU_DEP_1)
	s_or_not1_b32 s5, s4, exec_lo
; %bb.168:                              ;   in Loop: Header=BB25_10 Depth=1
	s_or_b32 exec_lo, exec_lo, s7
	s_delay_alu instid0(SALU_CYCLE_1)
	s_and_b32 exec_lo, exec_lo, s5
	s_cbranch_execz .LBB25_206
; %bb.169:                              ;   in Loop: Header=BB25_10 Depth=1
	scratch_load_b32 v1, off, off offset:600 ; 4-byte Folded Reload
	s_waitcnt vmcnt(0)
	v_dual_mov_b32 v1, 0x47 :: v_dual_add_nc_u32 v2, vcc_hi, v1
	s_delay_alu instid0(VALU_DEP_1) | instskip(NEXT) | instid1(VALU_DEP_1)
	v_cmp_gt_i32_e64 s4, s8, v2
	s_and_b32 s5, s4, vcc_lo
	s_delay_alu instid0(SALU_CYCLE_1)
	s_and_saveexec_b32 s4, s5
	s_cbranch_execz .LBB25_171
; %bb.170:                              ;   in Loop: Header=BB25_10 Depth=1
	s_clause 0x1
	scratch_load_b32 v1, off, off offset:612
	scratch_load_b32 v9, off, off offset:616
	s_waitcnt vmcnt(1)
	v_add_nc_u32_e32 v1, 0, v1
	s_waitcnt vmcnt(0)
	ds_load_2addr_b32 v[3:4], v9 offset1:32
	ds_load_2addr_stride64_b32 v[5:6], v1 offset0:1 offset1:18
	s_clause 0x1
	scratch_load_b64 v[10:11], off, off offset:196
	scratch_load_b32 v1, off, off offset:84
	s_waitcnt lgkmcnt(0)
	v_fma_mix_f32 v12, v5, v4, 0 op_sel:[0,1,0] op_sel_hi:[0,1,0]
	s_waitcnt vmcnt(1)
	v_mad_u64_u32 v[7:8], null, v2, s9, v[10:11]
	scratch_load_b32 v2, off, off offset:620 ; 4-byte Folded Reload
	ds_load_b32 v8, v9 offset:4352
	v_fma_mix_f32 v10, v5, v3, 0 op_sel:[0,1,0] op_sel_hi:[0,1,0]
	v_fma_mix_f32 v11, v5, v4, 0 op_sel_hi:[0,1,0]
	s_waitcnt vmcnt(1)
	v_lshl_add_u32 v1, v7, 6, v1
	v_fma_mix_f32 v7, v5, v3, 0 op_sel_hi:[0,1,0]
	s_waitcnt lgkmcnt(0)
	s_delay_alu instid0(VALU_DEP_1) | instskip(SKIP_4) | instid1(VALU_DEP_1)
	v_fma_mix_f32 v7, v6, v8, v7 op_sel_hi:[0,1,0]
	v_fma_mix_f32 v8, v6, v8, v10 op_sel:[0,1,0] op_sel_hi:[0,1,0]
	s_waitcnt vmcnt(0)
	ds_load_b32 v9, v2 offset:4352
	v_ashrrev_i32_e32 v2, 31, v1
	v_lshlrev_b64 v[1:2], 3, v[1:2]
	s_delay_alu instid0(VALU_DEP_1) | instskip(NEXT) | instid1(VALU_DEP_2)
	v_add_co_u32 v3, vcc_lo, s59, v1
	v_add_co_ci_u32_e32 v4, vcc_lo, s87, v2, vcc_lo
	v_mov_b32_e32 v1, 0
	s_waitcnt lgkmcnt(0)
	v_fma_mix_f32 v5, v6, v9, v11 op_sel_hi:[0,1,0]
	v_fma_mix_f32 v6, v6, v9, v12 op_sel:[0,1,0] op_sel_hi:[0,1,0]
	s_clause 0x1
	global_store_b64 v[3:4], v[7:8], off
	global_store_b64 v[3:4], v[5:6], off offset:256
.LBB25_171:                             ;   in Loop: Header=BB25_10 Depth=1
	s_or_b32 exec_lo, exec_lo, s4
	s_mov_b32 s4, -1
	s_mov_b32 s5, exec_lo
	v_cmpx_gt_i32_e32 0x47, v1
; %bb.172:                              ;   in Loop: Header=BB25_10 Depth=1
	v_cmp_eq_u32_e32 vcc_lo, 0, v1
	s_or_not1_b32 s4, vcc_lo, exec_lo
; %bb.173:                              ;   in Loop: Header=BB25_10 Depth=1
	s_or_b32 exec_lo, exec_lo, s5
	s_delay_alu instid0(SALU_CYCLE_1)
	s_and_b32 exec_lo, exec_lo, s4
	s_cbranch_execz .LBB25_206
; %bb.174:                              ;   in Loop: Header=BB25_10 Depth=1
	s_clause 0x1
	scratch_load_b32 v1, off, off offset:624
	scratch_load_b64 v[3:4], off, off offset:604
	s_waitcnt vmcnt(1)
	v_add_nc_u32_e32 v2, vcc_hi, v1
	s_waitcnt vmcnt(0)
	v_or_b32_e32 v1, s88, v3
	s_delay_alu instid0(VALU_DEP_1) | instskip(SKIP_2) | instid1(VALU_DEP_3)
	v_cmp_gt_i32_e64 s4, s68, v1
	v_mov_b32_e32 v1, 0x47
	v_cmp_gt_i32_e32 vcc_lo, s8, v2
	s_and_b32 s5, vcc_lo, s4
	s_delay_alu instid0(SALU_CYCLE_1)
	s_and_saveexec_b32 s4, s5
	s_cbranch_execz .LBB25_176
; %bb.175:                              ;   in Loop: Header=BB25_10 Depth=1
	s_clause 0x1
	scratch_load_b32 v1, off, off offset:636
	scratch_load_b32 v9, off, off offset:640
	s_waitcnt vmcnt(1)
	v_add_nc_u32_e32 v1, 0, v1
	s_waitcnt vmcnt(0)
	ds_load_2addr_b32 v[3:4], v9 offset1:32
	ds_load_2addr_stride64_b32 v[5:6], v1 offset0:1 offset1:18
	s_clause 0x1
	scratch_load_b64 v[10:11], off, off offset:604
	scratch_load_b32 v1, off, off offset:84
	s_waitcnt lgkmcnt(0)
	v_fma_mix_f32 v12, v5, v4, 0 op_sel:[0,1,0] op_sel_hi:[0,1,0]
	s_waitcnt vmcnt(1)
	v_mad_u64_u32 v[7:8], null, v2, s9, v[10:11]
	scratch_load_b32 v2, off, off offset:644 ; 4-byte Folded Reload
	ds_load_b32 v8, v9 offset:4352
	v_fma_mix_f32 v10, v5, v3, 0 op_sel:[0,1,0] op_sel_hi:[0,1,0]
	v_fma_mix_f32 v11, v5, v4, 0 op_sel_hi:[0,1,0]
	s_waitcnt vmcnt(1)
	v_lshl_add_u32 v1, v7, 6, v1
	v_fma_mix_f32 v7, v5, v3, 0 op_sel_hi:[0,1,0]
	s_waitcnt lgkmcnt(0)
	s_delay_alu instid0(VALU_DEP_1) | instskip(SKIP_4) | instid1(VALU_DEP_1)
	v_fma_mix_f32 v7, v6, v8, v7 op_sel_hi:[0,1,0]
	v_fma_mix_f32 v8, v6, v8, v10 op_sel:[0,1,0] op_sel_hi:[0,1,0]
	s_waitcnt vmcnt(0)
	ds_load_b32 v9, v2 offset:4352
	v_ashrrev_i32_e32 v2, 31, v1
	v_lshlrev_b64 v[1:2], 3, v[1:2]
	s_delay_alu instid0(VALU_DEP_1) | instskip(NEXT) | instid1(VALU_DEP_2)
	v_add_co_u32 v3, vcc_lo, s59, v1
	v_add_co_ci_u32_e32 v4, vcc_lo, s87, v2, vcc_lo
	v_mov_b32_e32 v1, 0
	s_waitcnt lgkmcnt(0)
	v_fma_mix_f32 v5, v6, v9, v11 op_sel_hi:[0,1,0]
	v_fma_mix_f32 v6, v6, v9, v12 op_sel:[0,1,0] op_sel_hi:[0,1,0]
	s_clause 0x1
	global_store_b64 v[3:4], v[7:8], off
	global_store_b64 v[3:4], v[5:6], off offset:256
.LBB25_176:                             ;   in Loop: Header=BB25_10 Depth=1
	s_or_b32 exec_lo, exec_lo, s4
	s_mov_b32 s4, -1
	s_mov_b32 s5, exec_lo
	v_cmpx_gt_i32_e32 0x47, v1
; %bb.177:                              ;   in Loop: Header=BB25_10 Depth=1
	v_cmp_eq_u32_e32 vcc_lo, 0, v1
	s_or_not1_b32 s4, vcc_lo, exec_lo
; %bb.178:                              ;   in Loop: Header=BB25_10 Depth=1
	s_or_b32 exec_lo, exec_lo, s5
	s_delay_alu instid0(SALU_CYCLE_1)
	s_and_b32 exec_lo, exec_lo, s4
	s_cbranch_execz .LBB25_206
; %bb.179:                              ;   in Loop: Header=BB25_10 Depth=1
	s_clause 0x1
	scratch_load_b32 v1, off, off offset:648
	scratch_load_b64 v[3:4], off, off offset:628
	s_waitcnt vmcnt(1)
	v_add_nc_u32_e32 v2, vcc_hi, v1
	s_waitcnt vmcnt(0)
	v_or_b32_e32 v1, s88, v3
	s_delay_alu instid0(VALU_DEP_1) | instskip(SKIP_2) | instid1(VALU_DEP_3)
	v_cmp_gt_i32_e64 s4, s68, v1
	v_mov_b32_e32 v1, 0x47
	v_cmp_gt_i32_e32 vcc_lo, s8, v2
	s_and_b32 s5, vcc_lo, s4
	s_delay_alu instid0(SALU_CYCLE_1)
	s_and_saveexec_b32 s4, s5
	s_cbranch_execz .LBB25_181
; %bb.180:                              ;   in Loop: Header=BB25_10 Depth=1
	s_clause 0x1
	scratch_load_b32 v1, off, off offset:660
	scratch_load_b32 v9, off, off offset:664
	s_waitcnt vmcnt(1)
	v_add_nc_u32_e32 v1, 0, v1
	s_waitcnt vmcnt(0)
	ds_load_2addr_b32 v[3:4], v9 offset1:32
	ds_load_2addr_stride64_b32 v[5:6], v1 offset0:1 offset1:18
	s_clause 0x1
	scratch_load_b64 v[10:11], off, off offset:628
	scratch_load_b32 v1, off, off offset:84
	s_waitcnt lgkmcnt(0)
	v_fma_mix_f32 v12, v5, v4, 0 op_sel:[0,1,0] op_sel_hi:[0,1,0]
	s_waitcnt vmcnt(1)
	v_mad_u64_u32 v[7:8], null, v2, s9, v[10:11]
	scratch_load_b32 v2, off, off offset:668 ; 4-byte Folded Reload
	ds_load_b32 v8, v9 offset:4352
	v_fma_mix_f32 v10, v5, v3, 0 op_sel:[0,1,0] op_sel_hi:[0,1,0]
	v_fma_mix_f32 v11, v5, v4, 0 op_sel_hi:[0,1,0]
	s_waitcnt vmcnt(1)
	v_lshl_add_u32 v1, v7, 6, v1
	v_fma_mix_f32 v7, v5, v3, 0 op_sel_hi:[0,1,0]
	s_waitcnt lgkmcnt(0)
	s_delay_alu instid0(VALU_DEP_1) | instskip(SKIP_4) | instid1(VALU_DEP_1)
	v_fma_mix_f32 v7, v6, v8, v7 op_sel_hi:[0,1,0]
	v_fma_mix_f32 v8, v6, v8, v10 op_sel:[0,1,0] op_sel_hi:[0,1,0]
	s_waitcnt vmcnt(0)
	ds_load_b32 v9, v2 offset:4352
	v_ashrrev_i32_e32 v2, 31, v1
	v_lshlrev_b64 v[1:2], 3, v[1:2]
	s_delay_alu instid0(VALU_DEP_1) | instskip(NEXT) | instid1(VALU_DEP_2)
	v_add_co_u32 v3, vcc_lo, s59, v1
	v_add_co_ci_u32_e32 v4, vcc_lo, s87, v2, vcc_lo
	v_mov_b32_e32 v1, 0
	s_waitcnt lgkmcnt(0)
	v_fma_mix_f32 v5, v6, v9, v11 op_sel_hi:[0,1,0]
	v_fma_mix_f32 v6, v6, v9, v12 op_sel:[0,1,0] op_sel_hi:[0,1,0]
	s_clause 0x1
	global_store_b64 v[3:4], v[7:8], off
	global_store_b64 v[3:4], v[5:6], off offset:256
.LBB25_181:                             ;   in Loop: Header=BB25_10 Depth=1
	s_or_b32 exec_lo, exec_lo, s4
	s_mov_b32 s4, -1
	s_mov_b32 s5, exec_lo
	v_cmpx_gt_i32_e32 0x47, v1
; %bb.182:                              ;   in Loop: Header=BB25_10 Depth=1
	v_cmp_eq_u32_e32 vcc_lo, 0, v1
	s_or_not1_b32 s4, vcc_lo, exec_lo
; %bb.183:                              ;   in Loop: Header=BB25_10 Depth=1
	s_or_b32 exec_lo, exec_lo, s5
	s_delay_alu instid0(SALU_CYCLE_1)
	s_and_b32 exec_lo, exec_lo, s4
	s_cbranch_execz .LBB25_206
; %bb.184:                              ;   in Loop: Header=BB25_10 Depth=1
	s_clause 0x1
	scratch_load_b32 v1, off, off offset:672
	scratch_load_b64 v[3:4], off, off offset:652
	s_waitcnt vmcnt(1)
	v_add_nc_u32_e32 v2, vcc_hi, v1
	s_waitcnt vmcnt(0)
	v_or_b32_e32 v1, s88, v3
	s_delay_alu instid0(VALU_DEP_1) | instskip(SKIP_2) | instid1(VALU_DEP_3)
	v_cmp_gt_i32_e64 s4, s68, v1
	v_mov_b32_e32 v1, 0x47
	v_cmp_gt_i32_e32 vcc_lo, s8, v2
	s_and_b32 s5, vcc_lo, s4
	s_delay_alu instid0(SALU_CYCLE_1)
	s_and_saveexec_b32 s4, s5
	s_cbranch_execz .LBB25_186
; %bb.185:                              ;   in Loop: Header=BB25_10 Depth=1
	s_clause 0x1
	scratch_load_b32 v1, off, off offset:684
	scratch_load_b32 v9, off, off offset:688
	s_waitcnt vmcnt(1)
	v_add_nc_u32_e32 v1, 0, v1
	s_waitcnt vmcnt(0)
	ds_load_2addr_b32 v[3:4], v9 offset1:32
	ds_load_2addr_stride64_b32 v[5:6], v1 offset0:1 offset1:18
	s_clause 0x1
	scratch_load_b64 v[10:11], off, off offset:652
	scratch_load_b32 v1, off, off offset:84
	s_waitcnt lgkmcnt(0)
	v_fma_mix_f32 v12, v5, v4, 0 op_sel:[0,1,0] op_sel_hi:[0,1,0]
	s_waitcnt vmcnt(1)
	v_mad_u64_u32 v[7:8], null, v2, s9, v[10:11]
	scratch_load_b32 v2, off, off offset:692 ; 4-byte Folded Reload
	ds_load_b32 v8, v9 offset:4352
	v_fma_mix_f32 v10, v5, v3, 0 op_sel:[0,1,0] op_sel_hi:[0,1,0]
	v_fma_mix_f32 v11, v5, v4, 0 op_sel_hi:[0,1,0]
	s_waitcnt vmcnt(1)
	v_lshl_add_u32 v1, v7, 6, v1
	v_fma_mix_f32 v7, v5, v3, 0 op_sel_hi:[0,1,0]
	s_waitcnt lgkmcnt(0)
	s_delay_alu instid0(VALU_DEP_1) | instskip(SKIP_4) | instid1(VALU_DEP_1)
	v_fma_mix_f32 v7, v6, v8, v7 op_sel_hi:[0,1,0]
	v_fma_mix_f32 v8, v6, v8, v10 op_sel:[0,1,0] op_sel_hi:[0,1,0]
	s_waitcnt vmcnt(0)
	ds_load_b32 v9, v2 offset:4352
	v_ashrrev_i32_e32 v2, 31, v1
	v_lshlrev_b64 v[1:2], 3, v[1:2]
	s_delay_alu instid0(VALU_DEP_1) | instskip(NEXT) | instid1(VALU_DEP_2)
	v_add_co_u32 v3, vcc_lo, s59, v1
	v_add_co_ci_u32_e32 v4, vcc_lo, s87, v2, vcc_lo
	v_mov_b32_e32 v1, 0
	s_waitcnt lgkmcnt(0)
	v_fma_mix_f32 v5, v6, v9, v11 op_sel_hi:[0,1,0]
	v_fma_mix_f32 v6, v6, v9, v12 op_sel:[0,1,0] op_sel_hi:[0,1,0]
	s_clause 0x1
	global_store_b64 v[3:4], v[7:8], off
	global_store_b64 v[3:4], v[5:6], off offset:256
.LBB25_186:                             ;   in Loop: Header=BB25_10 Depth=1
	s_or_b32 exec_lo, exec_lo, s4
	s_mov_b32 s4, -1
	s_mov_b32 s5, exec_lo
	v_cmpx_gt_i32_e32 0x47, v1
; %bb.187:                              ;   in Loop: Header=BB25_10 Depth=1
	v_cmp_eq_u32_e32 vcc_lo, 0, v1
	s_or_not1_b32 s4, vcc_lo, exec_lo
; %bb.188:                              ;   in Loop: Header=BB25_10 Depth=1
	s_or_b32 exec_lo, exec_lo, s5
	s_delay_alu instid0(SALU_CYCLE_1)
	s_and_b32 exec_lo, exec_lo, s4
	s_cbranch_execz .LBB25_206
; %bb.189:                              ;   in Loop: Header=BB25_10 Depth=1
	s_clause 0x1
	scratch_load_b32 v1, off, off offset:696
	scratch_load_b64 v[3:4], off, off offset:676
	s_waitcnt vmcnt(1)
	v_add_nc_u32_e32 v2, vcc_hi, v1
	s_waitcnt vmcnt(0)
	v_or_b32_e32 v1, s88, v3
	s_delay_alu instid0(VALU_DEP_1) | instskip(SKIP_2) | instid1(VALU_DEP_3)
	v_cmp_gt_i32_e64 s4, s68, v1
	v_mov_b32_e32 v1, 0x47
	v_cmp_gt_i32_e32 vcc_lo, s8, v2
	s_and_b32 s5, vcc_lo, s4
	s_delay_alu instid0(SALU_CYCLE_1)
	s_and_saveexec_b32 s4, s5
	s_cbranch_execz .LBB25_191
; %bb.190:                              ;   in Loop: Header=BB25_10 Depth=1
	s_clause 0x1
	scratch_load_b32 v1, off, off offset:708
	scratch_load_b32 v9, off, off offset:712
	s_waitcnt vmcnt(1)
	v_add_nc_u32_e32 v1, 0, v1
	s_waitcnt vmcnt(0)
	ds_load_2addr_b32 v[3:4], v9 offset1:32
	ds_load_2addr_stride64_b32 v[5:6], v1 offset0:1 offset1:18
	s_clause 0x1
	scratch_load_b64 v[10:11], off, off offset:676
	scratch_load_b32 v1, off, off offset:84
	s_waitcnt lgkmcnt(0)
	v_fma_mix_f32 v12, v5, v4, 0 op_sel:[0,1,0] op_sel_hi:[0,1,0]
	s_waitcnt vmcnt(1)
	v_mad_u64_u32 v[7:8], null, v2, s9, v[10:11]
	scratch_load_b32 v2, off, off offset:716 ; 4-byte Folded Reload
	ds_load_b32 v8, v9 offset:4352
	v_fma_mix_f32 v10, v5, v3, 0 op_sel:[0,1,0] op_sel_hi:[0,1,0]
	v_fma_mix_f32 v11, v5, v4, 0 op_sel_hi:[0,1,0]
	s_waitcnt vmcnt(1)
	v_lshl_add_u32 v1, v7, 6, v1
	v_fma_mix_f32 v7, v5, v3, 0 op_sel_hi:[0,1,0]
	s_waitcnt lgkmcnt(0)
	s_delay_alu instid0(VALU_DEP_1) | instskip(SKIP_4) | instid1(VALU_DEP_1)
	v_fma_mix_f32 v7, v6, v8, v7 op_sel_hi:[0,1,0]
	v_fma_mix_f32 v8, v6, v8, v10 op_sel:[0,1,0] op_sel_hi:[0,1,0]
	s_waitcnt vmcnt(0)
	ds_load_b32 v9, v2 offset:4352
	v_ashrrev_i32_e32 v2, 31, v1
	v_lshlrev_b64 v[1:2], 3, v[1:2]
	s_delay_alu instid0(VALU_DEP_1) | instskip(NEXT) | instid1(VALU_DEP_2)
	v_add_co_u32 v3, vcc_lo, s59, v1
	v_add_co_ci_u32_e32 v4, vcc_lo, s87, v2, vcc_lo
	v_mov_b32_e32 v1, 0
	s_waitcnt lgkmcnt(0)
	v_fma_mix_f32 v5, v6, v9, v11 op_sel_hi:[0,1,0]
	v_fma_mix_f32 v6, v6, v9, v12 op_sel:[0,1,0] op_sel_hi:[0,1,0]
	s_clause 0x1
	global_store_b64 v[3:4], v[7:8], off
	global_store_b64 v[3:4], v[5:6], off offset:256
.LBB25_191:                             ;   in Loop: Header=BB25_10 Depth=1
	s_or_b32 exec_lo, exec_lo, s4
	s_mov_b32 s4, -1
	s_mov_b32 s5, exec_lo
	v_cmpx_gt_i32_e32 0x47, v1
; %bb.192:                              ;   in Loop: Header=BB25_10 Depth=1
	v_cmp_eq_u32_e32 vcc_lo, 0, v1
	s_or_not1_b32 s4, vcc_lo, exec_lo
; %bb.193:                              ;   in Loop: Header=BB25_10 Depth=1
	s_or_b32 exec_lo, exec_lo, s5
	s_delay_alu instid0(SALU_CYCLE_1)
	s_and_b32 exec_lo, exec_lo, s4
	s_cbranch_execz .LBB25_206
; %bb.194:                              ;   in Loop: Header=BB25_10 Depth=1
	s_clause 0x1
	scratch_load_b32 v1, off, off offset:720
	scratch_load_b64 v[3:4], off, off offset:700
	s_waitcnt vmcnt(1)
	v_add_nc_u32_e32 v2, vcc_hi, v1
	s_waitcnt vmcnt(0)
	v_or_b32_e32 v1, s88, v3
	s_delay_alu instid0(VALU_DEP_1) | instskip(SKIP_2) | instid1(VALU_DEP_3)
	v_cmp_gt_i32_e64 s4, s68, v1
	v_mov_b32_e32 v1, 0x47
	v_cmp_gt_i32_e32 vcc_lo, s8, v2
	s_and_b32 s5, vcc_lo, s4
	s_delay_alu instid0(SALU_CYCLE_1)
	s_and_saveexec_b32 s4, s5
	s_cbranch_execz .LBB25_196
; %bb.195:                              ;   in Loop: Header=BB25_10 Depth=1
	s_clause 0x1
	scratch_load_b32 v1, off, off offset:732
	scratch_load_b32 v9, off, off offset:736
	s_waitcnt vmcnt(1)
	v_add_nc_u32_e32 v1, 0, v1
	s_waitcnt vmcnt(0)
	ds_load_2addr_b32 v[3:4], v9 offset1:32
	ds_load_2addr_stride64_b32 v[5:6], v1 offset0:1 offset1:18
	s_clause 0x1
	scratch_load_b64 v[10:11], off, off offset:700
	scratch_load_b32 v1, off, off offset:84
	s_waitcnt lgkmcnt(0)
	v_fma_mix_f32 v12, v5, v4, 0 op_sel:[0,1,0] op_sel_hi:[0,1,0]
	s_waitcnt vmcnt(1)
	v_mad_u64_u32 v[7:8], null, v2, s9, v[10:11]
	scratch_load_b32 v2, off, off offset:740 ; 4-byte Folded Reload
	ds_load_b32 v8, v9 offset:4352
	v_fma_mix_f32 v10, v5, v3, 0 op_sel:[0,1,0] op_sel_hi:[0,1,0]
	v_fma_mix_f32 v11, v5, v4, 0 op_sel_hi:[0,1,0]
	s_waitcnt vmcnt(1)
	v_lshl_add_u32 v1, v7, 6, v1
	v_fma_mix_f32 v7, v5, v3, 0 op_sel_hi:[0,1,0]
	s_waitcnt lgkmcnt(0)
	s_delay_alu instid0(VALU_DEP_1) | instskip(SKIP_4) | instid1(VALU_DEP_1)
	v_fma_mix_f32 v7, v6, v8, v7 op_sel_hi:[0,1,0]
	v_fma_mix_f32 v8, v6, v8, v10 op_sel:[0,1,0] op_sel_hi:[0,1,0]
	s_waitcnt vmcnt(0)
	ds_load_b32 v9, v2 offset:4352
	v_ashrrev_i32_e32 v2, 31, v1
	v_lshlrev_b64 v[1:2], 3, v[1:2]
	s_delay_alu instid0(VALU_DEP_1) | instskip(NEXT) | instid1(VALU_DEP_2)
	v_add_co_u32 v3, vcc_lo, s59, v1
	v_add_co_ci_u32_e32 v4, vcc_lo, s87, v2, vcc_lo
	v_mov_b32_e32 v1, 0
	s_waitcnt lgkmcnt(0)
	v_fma_mix_f32 v5, v6, v9, v11 op_sel_hi:[0,1,0]
	v_fma_mix_f32 v6, v6, v9, v12 op_sel:[0,1,0] op_sel_hi:[0,1,0]
	s_clause 0x1
	global_store_b64 v[3:4], v[7:8], off
	global_store_b64 v[3:4], v[5:6], off offset:256
.LBB25_196:                             ;   in Loop: Header=BB25_10 Depth=1
	s_or_b32 exec_lo, exec_lo, s4
	s_mov_b32 s4, -1
	s_mov_b32 s5, exec_lo
	v_cmpx_gt_i32_e32 0x47, v1
; %bb.197:                              ;   in Loop: Header=BB25_10 Depth=1
	v_cmp_eq_u32_e32 vcc_lo, 0, v1
	s_or_not1_b32 s4, vcc_lo, exec_lo
; %bb.198:                              ;   in Loop: Header=BB25_10 Depth=1
	s_or_b32 exec_lo, exec_lo, s5
	s_delay_alu instid0(SALU_CYCLE_1)
	s_and_b32 exec_lo, exec_lo, s4
	s_cbranch_execz .LBB25_206
; %bb.199:                              ;   in Loop: Header=BB25_10 Depth=1
	s_clause 0x1
	scratch_load_b32 v1, off, off offset:744
	scratch_load_b64 v[3:4], off, off offset:724
	s_waitcnt vmcnt(1)
	v_add_nc_u32_e32 v2, vcc_hi, v1
	s_waitcnt vmcnt(0)
	v_or_b32_e32 v1, s88, v3
	s_delay_alu instid0(VALU_DEP_1) | instskip(SKIP_2) | instid1(VALU_DEP_3)
	v_cmp_gt_i32_e64 s4, s68, v1
	v_mov_b32_e32 v1, 0x47
	v_cmp_gt_i32_e32 vcc_lo, s8, v2
	s_and_b32 s5, vcc_lo, s4
	s_delay_alu instid0(SALU_CYCLE_1)
	s_and_saveexec_b32 s4, s5
	s_cbranch_execz .LBB25_201
; %bb.200:                              ;   in Loop: Header=BB25_10 Depth=1
	s_clause 0x1
	scratch_load_b32 v1, off, off offset:756
	scratch_load_b32 v9, off, off offset:760
	s_waitcnt vmcnt(1)
	v_add_nc_u32_e32 v1, 0, v1
	s_waitcnt vmcnt(0)
	ds_load_2addr_b32 v[3:4], v9 offset1:32
	ds_load_2addr_stride64_b32 v[5:6], v1 offset0:1 offset1:18
	s_clause 0x1
	scratch_load_b64 v[10:11], off, off offset:724
	scratch_load_b32 v1, off, off offset:84
	s_waitcnt lgkmcnt(0)
	v_fma_mix_f32 v12, v5, v4, 0 op_sel:[0,1,0] op_sel_hi:[0,1,0]
	s_waitcnt vmcnt(1)
	v_mad_u64_u32 v[7:8], null, v2, s9, v[10:11]
	scratch_load_b32 v2, off, off offset:764 ; 4-byte Folded Reload
	ds_load_b32 v8, v9 offset:4352
	v_fma_mix_f32 v10, v5, v3, 0 op_sel:[0,1,0] op_sel_hi:[0,1,0]
	v_fma_mix_f32 v11, v5, v4, 0 op_sel_hi:[0,1,0]
	s_waitcnt vmcnt(1)
	v_lshl_add_u32 v1, v7, 6, v1
	v_fma_mix_f32 v7, v5, v3, 0 op_sel_hi:[0,1,0]
	s_waitcnt lgkmcnt(0)
	s_delay_alu instid0(VALU_DEP_1) | instskip(SKIP_4) | instid1(VALU_DEP_1)
	v_fma_mix_f32 v7, v6, v8, v7 op_sel_hi:[0,1,0]
	v_fma_mix_f32 v8, v6, v8, v10 op_sel:[0,1,0] op_sel_hi:[0,1,0]
	s_waitcnt vmcnt(0)
	ds_load_b32 v9, v2 offset:4352
	v_ashrrev_i32_e32 v2, 31, v1
	v_lshlrev_b64 v[1:2], 3, v[1:2]
	s_delay_alu instid0(VALU_DEP_1) | instskip(NEXT) | instid1(VALU_DEP_2)
	v_add_co_u32 v3, vcc_lo, s59, v1
	v_add_co_ci_u32_e32 v4, vcc_lo, s87, v2, vcc_lo
	v_mov_b32_e32 v1, 0
	s_waitcnt lgkmcnt(0)
	v_fma_mix_f32 v5, v6, v9, v11 op_sel_hi:[0,1,0]
	v_fma_mix_f32 v6, v6, v9, v12 op_sel:[0,1,0] op_sel_hi:[0,1,0]
	s_clause 0x1
	global_store_b64 v[3:4], v[7:8], off
	global_store_b64 v[3:4], v[5:6], off offset:256
.LBB25_201:                             ;   in Loop: Header=BB25_10 Depth=1
	s_or_b32 exec_lo, exec_lo, s4
	s_mov_b32 s4, -1
	s_mov_b32 s5, exec_lo
	v_cmpx_gt_i32_e32 0x47, v1
; %bb.202:                              ;   in Loop: Header=BB25_10 Depth=1
	v_cmp_eq_u32_e32 vcc_lo, 0, v1
	s_or_not1_b32 s4, vcc_lo, exec_lo
; %bb.203:                              ;   in Loop: Header=BB25_10 Depth=1
	s_or_b32 exec_lo, exec_lo, s5
	s_delay_alu instid0(SALU_CYCLE_1)
	s_and_b32 exec_lo, exec_lo, s4
	s_cbranch_execz .LBB25_206
; %bb.204:                              ;   in Loop: Header=BB25_10 Depth=1
	s_clause 0x1
	scratch_load_b32 v1, off, off offset:768
	scratch_load_b64 v[2:3], off, off offset:748
	s_waitcnt vmcnt(1)
	v_add_nc_u32_e32 v1, vcc_hi, v1
	s_waitcnt vmcnt(0)
	v_or_b32_e32 v2, s88, v2
	s_delay_alu instid0(VALU_DEP_2) | instskip(NEXT) | instid1(VALU_DEP_2)
	v_cmp_gt_i32_e32 vcc_lo, s8, v1
	v_cmp_gt_i32_e64 s4, s68, v2
	s_delay_alu instid0(VALU_DEP_1) | instskip(NEXT) | instid1(SALU_CYCLE_1)
	s_and_b32 s4, vcc_lo, s4
	s_and_b32 exec_lo, exec_lo, s4
	s_cbranch_execz .LBB25_206
; %bb.205:                              ;   in Loop: Header=BB25_10 Depth=1
	s_clause 0x1
	scratch_load_b32 v2, off, off offset:772
	scratch_load_b32 v8, off, off offset:776
	s_waitcnt vmcnt(1)
	v_add_nc_u32_e32 v4, 0, v2
	s_waitcnt vmcnt(0)
	ds_load_2addr_b32 v[2:3], v8 offset1:32
	ds_load_2addr_stride64_b32 v[4:5], v4 offset0:1 offset1:18
	scratch_load_b64 v[9:10], off, off offset:748 ; 8-byte Folded Reload
	ds_load_b32 v8, v8 offset:4352
	s_waitcnt lgkmcnt(1)
	v_fma_mix_f32 v11, v4, v2, 0 op_sel:[0,1,0] op_sel_hi:[0,1,0]
	v_fma_mix_f32 v12, v4, v3, 0 op_sel_hi:[0,1,0]
	v_fma_mix_f32 v13, v4, v3, 0 op_sel:[0,1,0] op_sel_hi:[0,1,0]
	s_waitcnt vmcnt(0)
	v_mad_u64_u32 v[6:7], null, v1, s9, v[9:10]
	scratch_load_b32 v1, off, off offset:84 ; 4-byte Folded Reload
	v_fma_mix_f32 v10, v4, v2, 0 op_sel_hi:[0,1,0]
	s_waitcnt vmcnt(0)
	v_lshl_add_u32 v6, v6, 6, v1
	scratch_load_b32 v1, off, off offset:780 ; 4-byte Folded Reload
	v_ashrrev_i32_e32 v7, 31, v6
	s_delay_alu instid0(VALU_DEP_1)
	v_lshlrev_b64 v[6:7], 3, v[6:7]
	s_waitcnt vmcnt(0)
	ds_load_b32 v9, v1 offset:4352
	v_add_co_u32 v1, vcc_lo, s59, v6
	v_add_co_ci_u32_e32 v2, vcc_lo, s87, v7, vcc_lo
	s_waitcnt lgkmcnt(1)
	v_fma_mix_f32 v3, v5, v8, v10 op_sel_hi:[0,1,0]
	v_fma_mix_f32 v4, v5, v8, v11 op_sel:[0,1,0] op_sel_hi:[0,1,0]
	s_waitcnt lgkmcnt(0)
	v_fma_mix_f32 v6, v5, v9, v12 op_sel_hi:[0,1,0]
	v_fma_mix_f32 v7, v5, v9, v13 op_sel:[0,1,0] op_sel_hi:[0,1,0]
	s_clause 0x1
	global_store_b64 v[1:2], v[3:4], off
	global_store_b64 v[1:2], v[6:7], off offset:256
.LBB25_206:                             ;   in Loop: Header=BB25_10 Depth=1
	s_or_b32 exec_lo, exec_lo, s6
	s_waitcnt_vscnt null, 0x0
	s_barrier
	s_branch .LBB25_398
.LBB25_207:                             ;   in Loop: Header=BB25_10 Depth=1
	scratch_load_b32 v1, off, off offset:100 ; 4-byte Folded Reload
	s_lshl_b32 s66, s91, 1
	v_cmp_gt_i32_e32 vcc_lo, s68, v166
	s_xor_b32 s5, vcc_lo, -1
	s_waitcnt vmcnt(0)
	v_add_nc_u32_e32 v1, s66, v1
	s_delay_alu instid0(VALU_DEP_1) | instskip(NEXT) | instid1(VALU_DEP_1)
	v_cmp_le_i32_e64 s4, s8, v1
	s_or_b32 s4, s4, s5
	s_delay_alu instid0(SALU_CYCLE_1) | instskip(NEXT) | instid1(SALU_CYCLE_1)
	s_and_saveexec_b32 s6, s4
	s_xor_b32 s4, exec_lo, s6
	s_cbranch_execz .LBB25_209
; %bb.208:                              ;   in Loop: Header=BB25_10 Depth=1
	scratch_load_b32 v1, off, off offset:120 ; 4-byte Folded Reload
	s_waitcnt vmcnt(0)
	ds_store_2addr_b32 v1, v0, v0 offset1:32
                                        ; implicit-def: $vgpr1
.LBB25_209:                             ;   in Loop: Header=BB25_10 Depth=1
	s_and_not1_saveexec_b32 s4, s4
	s_cbranch_execz .LBB25_211
; %bb.210:                              ;   in Loop: Header=BB25_10 Depth=1
	s_clause 0x1
	scratch_load_b32 v2, off, off offset:84
	scratch_load_b32 v3, off, off offset:128
	v_mul_lo_u32 v1, v1, s51
	s_waitcnt vmcnt(0)
	s_delay_alu instid0(VALU_DEP_1) | instskip(NEXT) | instid1(VALU_DEP_1)
	v_add3_u32 v1, v1, v3, v2
	v_ashrrev_i32_e32 v2, 31, v1
	s_delay_alu instid0(VALU_DEP_1) | instskip(NEXT) | instid1(VALU_DEP_1)
	v_lshlrev_b64 v[1:2], 3, v[1:2]
	v_add_co_u32 v1, vcc_lo, s102, v1
	s_delay_alu instid0(VALU_DEP_2)
	v_add_co_ci_u32_e32 v2, vcc_lo, s103, v2, vcc_lo
	s_clause 0x1
	global_load_b64 v[3:4], v[1:2], off
	global_load_b64 v[1:2], v[1:2], off offset:256
	s_waitcnt vmcnt(1)
	v_cvt_f16_f32_e32 v3, v3
	v_cvt_f16_f32_e32 v4, v4
	s_waitcnt vmcnt(0)
	v_cvt_f16_f32_e32 v1, v1
	v_cvt_f16_f32_e32 v2, v2
	s_delay_alu instid0(VALU_DEP_3)
	v_pack_b32_f16 v3, v3, v4
	scratch_load_b32 v4, off, off offset:88 ; 4-byte Folded Reload
	v_pack_b32_f16 v1, v1, v2
	s_waitcnt vmcnt(0)
	v_pk_mul_f16 v2, v4, v3
	scratch_load_b32 v3, off, off offset:120 ; 4-byte Folded Reload
	v_pk_mul_f16 v1, v4, v1
	s_waitcnt vmcnt(0)
	ds_store_2addr_b32 v3, v2, v1 offset1:32
.LBB25_211:                             ;   in Loop: Header=BB25_10 Depth=1
	s_or_b32 exec_lo, exec_lo, s4
	s_clause 0x1
	scratch_load_b32 v1, off, off offset:136
	scratch_load_b32 v2, off, off offset:132
	s_waitcnt vmcnt(1)
	v_add_nc_u32_e32 v1, s66, v1
	s_waitcnt vmcnt(0)
	v_or_b32_e32 v2, s88, v2
	s_delay_alu instid0(VALU_DEP_2) | instskip(NEXT) | instid1(VALU_DEP_2)
	v_cmp_le_i32_e32 vcc_lo, s8, v1
	v_cmp_le_i32_e64 s4, s68, v2
	s_delay_alu instid0(VALU_DEP_1) | instskip(NEXT) | instid1(SALU_CYCLE_1)
	s_or_b32 s4, vcc_lo, s4
	s_and_saveexec_b32 s6, s4
	s_delay_alu instid0(SALU_CYCLE_1)
	s_xor_b32 s4, exec_lo, s6
	s_cbranch_execz .LBB25_213
; %bb.212:                              ;   in Loop: Header=BB25_10 Depth=1
	scratch_load_b32 v1, off, off offset:80 ; 4-byte Folded Reload
	s_waitcnt vmcnt(0)
	ds_store_2addr_b32 v1, v0, v0 offset1:32
                                        ; implicit-def: $vgpr1
.LBB25_213:                             ;   in Loop: Header=BB25_10 Depth=1
	s_and_not1_saveexec_b32 s4, s4
	s_cbranch_execz .LBB25_215
; %bb.214:                              ;   in Loop: Header=BB25_10 Depth=1
	s_clause 0x1
	scratch_load_b32 v2, off, off offset:84
	scratch_load_b32 v3, off, off offset:208
	v_mul_lo_u32 v1, v1, s51
	s_waitcnt vmcnt(0)
	s_delay_alu instid0(VALU_DEP_1) | instskip(NEXT) | instid1(VALU_DEP_1)
	v_add3_u32 v1, v1, v3, v2
	v_ashrrev_i32_e32 v2, 31, v1
	s_delay_alu instid0(VALU_DEP_1) | instskip(NEXT) | instid1(VALU_DEP_1)
	v_lshlrev_b64 v[1:2], 3, v[1:2]
	v_add_co_u32 v1, vcc_lo, s102, v1
	s_delay_alu instid0(VALU_DEP_2)
	v_add_co_ci_u32_e32 v2, vcc_lo, s103, v2, vcc_lo
	s_clause 0x1
	global_load_b64 v[3:4], v[1:2], off
	global_load_b64 v[1:2], v[1:2], off offset:256
	s_waitcnt vmcnt(1)
	v_cvt_f16_f32_e32 v3, v3
	v_cvt_f16_f32_e32 v4, v4
	s_waitcnt vmcnt(0)
	v_cvt_f16_f32_e32 v1, v1
	v_cvt_f16_f32_e32 v2, v2
	s_delay_alu instid0(VALU_DEP_3)
	v_pack_b32_f16 v3, v3, v4
	scratch_load_b32 v4, off, off offset:88 ; 4-byte Folded Reload
	v_pack_b32_f16 v1, v1, v2
	s_waitcnt vmcnt(0)
	v_pk_mul_f16 v2, v4, v3
	scratch_load_b32 v3, off, off offset:80 ; 4-byte Folded Reload
	v_pk_mul_f16 v1, v4, v1
	s_waitcnt vmcnt(0)
	ds_store_2addr_b32 v3, v2, v1 offset1:32
.LBB25_215:                             ;   in Loop: Header=BB25_10 Depth=1
	s_or_b32 exec_lo, exec_lo, s4
	s_clause 0x1
	scratch_load_b32 v1, off, off offset:148
	scratch_load_b32 v2, off, off offset:140
	s_waitcnt vmcnt(1)
	v_add_nc_u32_e32 v1, s66, v1
	s_waitcnt vmcnt(0)
	v_or_b32_e32 v2, s88, v2
	s_delay_alu instid0(VALU_DEP_2) | instskip(NEXT) | instid1(VALU_DEP_2)
	v_cmp_le_i32_e32 vcc_lo, s8, v1
	v_cmp_le_i32_e64 s4, s68, v2
	s_delay_alu instid0(VALU_DEP_1) | instskip(NEXT) | instid1(SALU_CYCLE_1)
	s_or_b32 s4, vcc_lo, s4
	s_and_saveexec_b32 s6, s4
	s_delay_alu instid0(SALU_CYCLE_1)
	s_xor_b32 s4, exec_lo, s6
	s_cbranch_execz .LBB25_217
; %bb.216:                              ;   in Loop: Header=BB25_10 Depth=1
	scratch_load_b32 v1, off, off offset:80 ; 4-byte Folded Reload
	s_waitcnt vmcnt(0)
	ds_store_2addr_b32 v1, v0, v0 offset0:136 offset1:168
                                        ; implicit-def: $vgpr1
.LBB25_217:                             ;   in Loop: Header=BB25_10 Depth=1
	s_and_not1_saveexec_b32 s4, s4
	s_cbranch_execz .LBB25_219
; %bb.218:                              ;   in Loop: Header=BB25_10 Depth=1
	s_clause 0x1
	scratch_load_b32 v2, off, off offset:84
	scratch_load_b32 v3, off, off offset:212
	v_mul_lo_u32 v1, v1, s51
	s_waitcnt vmcnt(0)
	s_delay_alu instid0(VALU_DEP_1) | instskip(NEXT) | instid1(VALU_DEP_1)
	v_add3_u32 v1, v1, v3, v2
	v_ashrrev_i32_e32 v2, 31, v1
	s_delay_alu instid0(VALU_DEP_1) | instskip(NEXT) | instid1(VALU_DEP_1)
	v_lshlrev_b64 v[1:2], 3, v[1:2]
	v_add_co_u32 v1, vcc_lo, s102, v1
	s_delay_alu instid0(VALU_DEP_2)
	v_add_co_ci_u32_e32 v2, vcc_lo, s103, v2, vcc_lo
	s_clause 0x1
	global_load_b64 v[3:4], v[1:2], off
	global_load_b64 v[1:2], v[1:2], off offset:256
	s_waitcnt vmcnt(1)
	v_cvt_f16_f32_e32 v3, v3
	v_cvt_f16_f32_e32 v4, v4
	s_waitcnt vmcnt(0)
	v_cvt_f16_f32_e32 v1, v1
	v_cvt_f16_f32_e32 v2, v2
	s_delay_alu instid0(VALU_DEP_3)
	v_pack_b32_f16 v3, v3, v4
	scratch_load_b32 v4, off, off offset:88 ; 4-byte Folded Reload
	v_pack_b32_f16 v1, v1, v2
	s_waitcnt vmcnt(0)
	v_pk_mul_f16 v2, v4, v3
	scratch_load_b32 v3, off, off offset:80 ; 4-byte Folded Reload
	v_pk_mul_f16 v1, v4, v1
	s_waitcnt vmcnt(0)
	ds_store_2addr_b32 v3, v2, v1 offset0:136 offset1:168
.LBB25_219:                             ;   in Loop: Header=BB25_10 Depth=1
	s_or_b32 exec_lo, exec_lo, s4
	s_clause 0x1
	scratch_load_b32 v1, off, off offset:152
	scratch_load_b32 v2, off, off offset:144
	s_waitcnt vmcnt(1)
	v_add_nc_u32_e32 v1, s66, v1
	s_waitcnt vmcnt(0)
	v_or_b32_e32 v2, s88, v2
	s_delay_alu instid0(VALU_DEP_2) | instskip(NEXT) | instid1(VALU_DEP_2)
	v_cmp_le_i32_e32 vcc_lo, s8, v1
	v_cmp_le_i32_e64 s4, s68, v2
	s_delay_alu instid0(VALU_DEP_1) | instskip(NEXT) | instid1(SALU_CYCLE_1)
	s_or_b32 s4, vcc_lo, s4
	s_and_saveexec_b32 s6, s4
	s_delay_alu instid0(SALU_CYCLE_1)
	s_xor_b32 s4, exec_lo, s6
	s_cbranch_execz .LBB25_221
; %bb.220:                              ;   in Loop: Header=BB25_10 Depth=1
	scratch_load_b32 v1, off, off offset:80 ; 4-byte Folded Reload
	s_waitcnt vmcnt(0)
	v_add_nc_u32_e32 v1, 0x400, v1
	ds_store_2addr_b32 v1, v0, v0 offset0:16 offset1:48
                                        ; implicit-def: $vgpr1
.LBB25_221:                             ;   in Loop: Header=BB25_10 Depth=1
	s_and_not1_saveexec_b32 s4, s4
	s_cbranch_execz .LBB25_223
; %bb.222:                              ;   in Loop: Header=BB25_10 Depth=1
	s_clause 0x1
	scratch_load_b32 v2, off, off offset:84
	scratch_load_b32 v3, off, off offset:216
	v_mul_lo_u32 v1, v1, s51
	s_waitcnt vmcnt(0)
	s_delay_alu instid0(VALU_DEP_1) | instskip(NEXT) | instid1(VALU_DEP_1)
	v_add3_u32 v1, v1, v3, v2
	v_ashrrev_i32_e32 v2, 31, v1
	s_delay_alu instid0(VALU_DEP_1) | instskip(NEXT) | instid1(VALU_DEP_1)
	v_lshlrev_b64 v[1:2], 3, v[1:2]
	v_add_co_u32 v1, vcc_lo, s102, v1
	s_delay_alu instid0(VALU_DEP_2)
	v_add_co_ci_u32_e32 v2, vcc_lo, s103, v2, vcc_lo
	s_clause 0x1
	global_load_b64 v[3:4], v[1:2], off
	global_load_b64 v[1:2], v[1:2], off offset:256
	s_waitcnt vmcnt(1)
	v_cvt_f16_f32_e32 v3, v3
	v_cvt_f16_f32_e32 v4, v4
	s_waitcnt vmcnt(0)
	v_cvt_f16_f32_e32 v1, v1
	v_cvt_f16_f32_e32 v2, v2
	s_delay_alu instid0(VALU_DEP_3)
	v_pack_b32_f16 v3, v3, v4
	scratch_load_b32 v4, off, off offset:88 ; 4-byte Folded Reload
	v_pack_b32_f16 v1, v1, v2
	s_waitcnt vmcnt(0)
	v_pk_mul_f16 v2, v4, v3
	scratch_load_b32 v3, off, off offset:80 ; 4-byte Folded Reload
	v_pk_mul_f16 v1, v4, v1
	s_waitcnt vmcnt(0)
	v_add_nc_u32_e32 v3, 0x400, v3
	ds_store_2addr_b32 v3, v2, v1 offset0:16 offset1:48
.LBB25_223:                             ;   in Loop: Header=BB25_10 Depth=1
	s_or_b32 exec_lo, exec_lo, s4
	scratch_load_b32 v1, off, off offset:160 ; 4-byte Folded Reload
	s_waitcnt vmcnt(0)
	v_add_nc_u32_e32 v1, s66, v1
	s_delay_alu instid0(VALU_DEP_1) | instskip(SKIP_1) | instid1(SALU_CYCLE_1)
	v_cmp_le_i32_e32 vcc_lo, s8, v1
	s_or_b32 s4, vcc_lo, s5
	s_and_saveexec_b32 s5, s4
	s_delay_alu instid0(SALU_CYCLE_1)
	s_xor_b32 s4, exec_lo, s5
	s_cbranch_execz .LBB25_225
; %bb.224:                              ;   in Loop: Header=BB25_10 Depth=1
	scratch_load_b32 v1, off, off offset:80 ; 4-byte Folded Reload
	s_waitcnt vmcnt(0)
	v_add_nc_u32_e32 v1, 0x400, v1
	ds_store_2addr_b32 v1, v0, v0 offset0:152 offset1:184
                                        ; implicit-def: $vgpr1
.LBB25_225:                             ;   in Loop: Header=BB25_10 Depth=1
	s_and_not1_saveexec_b32 s4, s4
	s_cbranch_execz .LBB25_227
; %bb.226:                              ;   in Loop: Header=BB25_10 Depth=1
	s_clause 0x1
	scratch_load_b32 v2, off, off offset:84
	scratch_load_b32 v3, off, off offset:128
	v_mul_lo_u32 v1, v1, s51
	s_waitcnt vmcnt(0)
	s_delay_alu instid0(VALU_DEP_1) | instskip(NEXT) | instid1(VALU_DEP_1)
	v_add3_u32 v1, v1, v3, v2
	v_ashrrev_i32_e32 v2, 31, v1
	s_delay_alu instid0(VALU_DEP_1) | instskip(NEXT) | instid1(VALU_DEP_1)
	v_lshlrev_b64 v[1:2], 3, v[1:2]
	v_add_co_u32 v1, vcc_lo, s102, v1
	s_delay_alu instid0(VALU_DEP_2)
	v_add_co_ci_u32_e32 v2, vcc_lo, s103, v2, vcc_lo
	s_clause 0x1
	global_load_b64 v[3:4], v[1:2], off
	global_load_b64 v[1:2], v[1:2], off offset:256
	s_waitcnt vmcnt(1)
	v_cvt_f16_f32_e32 v3, v3
	v_cvt_f16_f32_e32 v4, v4
	s_waitcnt vmcnt(0)
	v_cvt_f16_f32_e32 v1, v1
	v_cvt_f16_f32_e32 v2, v2
	s_delay_alu instid0(VALU_DEP_3)
	v_pack_b32_f16 v3, v3, v4
	scratch_load_b32 v4, off, off offset:88 ; 4-byte Folded Reload
	v_pack_b32_f16 v1, v1, v2
	s_waitcnt vmcnt(0)
	v_pk_mul_f16 v2, v4, v3
	scratch_load_b32 v3, off, off offset:80 ; 4-byte Folded Reload
	v_pk_mul_f16 v1, v4, v1
	s_waitcnt vmcnt(0)
	v_add_nc_u32_e32 v3, 0x400, v3
	ds_store_2addr_b32 v3, v2, v1 offset0:152 offset1:184
.LBB25_227:                             ;   in Loop: Header=BB25_10 Depth=1
	s_or_b32 exec_lo, exec_lo, s4
	s_clause 0x1
	scratch_load_b32 v1, off, off offset:168
	scratch_load_b32 v2, off, off offset:156
	s_waitcnt vmcnt(1)
	v_add_nc_u32_e32 v1, s66, v1
	s_waitcnt vmcnt(0)
	v_or_b32_e32 v2, s88, v2
	s_delay_alu instid0(VALU_DEP_2) | instskip(NEXT) | instid1(VALU_DEP_2)
	v_cmp_le_i32_e32 vcc_lo, s8, v1
	v_cmp_le_i32_e64 s4, s68, v2
	s_delay_alu instid0(VALU_DEP_1) | instskip(NEXT) | instid1(SALU_CYCLE_1)
	s_or_b32 s4, vcc_lo, s4
	s_and_saveexec_b32 s5, s4
	s_delay_alu instid0(SALU_CYCLE_1)
	s_xor_b32 s4, exec_lo, s5
	s_cbranch_execz .LBB25_229
; %bb.228:                              ;   in Loop: Header=BB25_10 Depth=1
	scratch_load_b32 v1, off, off offset:80 ; 4-byte Folded Reload
	s_waitcnt vmcnt(0)
	v_add_nc_u32_e32 v1, 0x800, v1
	ds_store_2addr_b32 v1, v0, v0 offset0:32 offset1:64
                                        ; implicit-def: $vgpr1
.LBB25_229:                             ;   in Loop: Header=BB25_10 Depth=1
	s_and_not1_saveexec_b32 s4, s4
	s_cbranch_execz .LBB25_231
; %bb.230:                              ;   in Loop: Header=BB25_10 Depth=1
	s_clause 0x1
	scratch_load_b32 v2, off, off offset:84
	scratch_load_b32 v3, off, off offset:220
	v_mul_lo_u32 v1, v1, s51
	s_waitcnt vmcnt(0)
	s_delay_alu instid0(VALU_DEP_1) | instskip(NEXT) | instid1(VALU_DEP_1)
	v_add3_u32 v1, v1, v3, v2
	v_ashrrev_i32_e32 v2, 31, v1
	s_delay_alu instid0(VALU_DEP_1) | instskip(NEXT) | instid1(VALU_DEP_1)
	v_lshlrev_b64 v[1:2], 3, v[1:2]
	v_add_co_u32 v1, vcc_lo, s102, v1
	s_delay_alu instid0(VALU_DEP_2)
	v_add_co_ci_u32_e32 v2, vcc_lo, s103, v2, vcc_lo
	s_clause 0x1
	global_load_b64 v[3:4], v[1:2], off
	global_load_b64 v[1:2], v[1:2], off offset:256
	s_waitcnt vmcnt(1)
	v_cvt_f16_f32_e32 v3, v3
	v_cvt_f16_f32_e32 v4, v4
	s_waitcnt vmcnt(0)
	v_cvt_f16_f32_e32 v1, v1
	v_cvt_f16_f32_e32 v2, v2
	s_delay_alu instid0(VALU_DEP_3)
	v_pack_b32_f16 v3, v3, v4
	scratch_load_b32 v4, off, off offset:88 ; 4-byte Folded Reload
	v_pack_b32_f16 v1, v1, v2
	s_waitcnt vmcnt(0)
	v_pk_mul_f16 v2, v4, v3
	scratch_load_b32 v3, off, off offset:80 ; 4-byte Folded Reload
	v_pk_mul_f16 v1, v4, v1
	s_waitcnt vmcnt(0)
	v_add_nc_u32_e32 v3, 0x800, v3
	ds_store_2addr_b32 v3, v2, v1 offset0:32 offset1:64
.LBB25_231:                             ;   in Loop: Header=BB25_10 Depth=1
	s_or_b32 exec_lo, exec_lo, s4
	s_clause 0x1
	scratch_load_b32 v1, off, off offset:176
	scratch_load_b32 v2, off, off offset:164
	s_waitcnt vmcnt(1)
	v_add_nc_u32_e32 v1, s66, v1
	s_waitcnt vmcnt(0)
	v_or_b32_e32 v2, s88, v2
	s_delay_alu instid0(VALU_DEP_2) | instskip(NEXT) | instid1(VALU_DEP_2)
	v_cmp_le_i32_e32 vcc_lo, s8, v1
	v_cmp_le_i32_e64 s4, s68, v2
	s_delay_alu instid0(VALU_DEP_1) | instskip(NEXT) | instid1(SALU_CYCLE_1)
	;; [unrolled: 61-line block ×3, first 2 shown]
	s_or_b32 s4, vcc_lo, s4
	s_and_saveexec_b32 s5, s4
	s_delay_alu instid0(SALU_CYCLE_1)
	s_xor_b32 s4, exec_lo, s5
	s_cbranch_execz .LBB25_237
; %bb.236:                              ;   in Loop: Header=BB25_10 Depth=1
	scratch_load_b32 v1, off, off offset:80 ; 4-byte Folded Reload
	s_waitcnt vmcnt(0)
	v_add_nc_u32_e32 v1, 0xc00, v1
	ds_store_2addr_b32 v1, v0, v0 offset0:48 offset1:80
                                        ; implicit-def: $vgpr1
.LBB25_237:                             ;   in Loop: Header=BB25_10 Depth=1
	s_and_not1_saveexec_b32 s4, s4
	s_cbranch_execz .LBB25_239
; %bb.238:                              ;   in Loop: Header=BB25_10 Depth=1
	s_clause 0x1
	scratch_load_b32 v2, off, off offset:84
	scratch_load_b32 v3, off, off offset:228
	v_mul_lo_u32 v1, v1, s51
	s_waitcnt vmcnt(0)
	s_delay_alu instid0(VALU_DEP_1) | instskip(NEXT) | instid1(VALU_DEP_1)
	v_add3_u32 v1, v1, v3, v2
	v_ashrrev_i32_e32 v2, 31, v1
	s_delay_alu instid0(VALU_DEP_1) | instskip(NEXT) | instid1(VALU_DEP_1)
	v_lshlrev_b64 v[1:2], 3, v[1:2]
	v_add_co_u32 v1, vcc_lo, s102, v1
	s_delay_alu instid0(VALU_DEP_2)
	v_add_co_ci_u32_e32 v2, vcc_lo, s103, v2, vcc_lo
	s_clause 0x1
	global_load_b64 v[3:4], v[1:2], off
	global_load_b64 v[1:2], v[1:2], off offset:256
	s_waitcnt vmcnt(1)
	v_cvt_f16_f32_e32 v3, v3
	v_cvt_f16_f32_e32 v4, v4
	s_waitcnt vmcnt(0)
	v_cvt_f16_f32_e32 v1, v1
	v_cvt_f16_f32_e32 v2, v2
	s_delay_alu instid0(VALU_DEP_3)
	v_pack_b32_f16 v3, v3, v4
	scratch_load_b32 v4, off, off offset:88 ; 4-byte Folded Reload
	v_pack_b32_f16 v1, v1, v2
	s_waitcnt vmcnt(0)
	v_pk_mul_f16 v2, v4, v3
	scratch_load_b32 v3, off, off offset:80 ; 4-byte Folded Reload
	v_pk_mul_f16 v1, v4, v1
	s_waitcnt vmcnt(0)
	v_add_nc_u32_e32 v3, 0xc00, v3
	ds_store_2addr_b32 v3, v2, v1 offset0:48 offset1:80
.LBB25_239:                             ;   in Loop: Header=BB25_10 Depth=1
	s_or_b32 exec_lo, exec_lo, s4
	s_clause 0x1
	scratch_load_b32 v1, off, off offset:108
	scratch_load_b32 v2, off, off offset:124
	s_waitcnt vmcnt(0) lgkmcnt(0)
	s_waitcnt_vscnt null, 0x0
	s_barrier
	buffer_gl0_inv
	v_xor_b32_e32 v131, 16, v15
	v_mov_b32_e32 v39, 0
	s_cmp_lt_i32 s52, 2
	s_mov_b32 s67, 0
	v_add_nc_u32_e32 v1, v1, v2
	ds_load_b128 v[80:83], v1
	ds_load_b128 v[84:87], v1 offset:16
	ds_load_b128 v[40:43], v1 offset:32
	;; [unrolled: 1-line block ×15, first 2 shown]
	s_waitcnt lgkmcnt(0)
	s_barrier
	buffer_gl0_inv
	s_cbranch_scc1 .LBB25_276
; %bb.240:                              ;   in Loop: Header=BB25_10 Depth=1
	scratch_load_b32 v1, off, off offset:104 ; 4-byte Folded Reload
	v_mov_b32_e32 v4, v15
	s_add_i32 s67, s52, -1
	s_add_u32 s4, s99, s56
	s_addc_u32 s5, s100, s101
	s_add_u32 s6, s96, s97
	s_addc_u32 s7, s95, s98
	s_mov_b32 s52, s67
	v_dual_mov_b32 v150, 0 :: v_dual_mov_b32 v147, 0xfeffffff
	s_waitcnt vmcnt(0)
	v_add_nc_u32_e32 v1, s91, v1
	s_delay_alu instid0(VALU_DEP_1) | instskip(NEXT) | instid1(VALU_DEP_1)
	v_lshl_add_u32 v1, v1, 1, v178
	v_mul_hi_u32 v2, s12, v1
	s_delay_alu instid0(VALU_DEP_1) | instskip(NEXT) | instid1(VALU_DEP_1)
	v_add_nc_u32_e32 v2, v1, v2
	v_lshrrev_b32_e32 v2, s13, v2
	s_delay_alu instid0(VALU_DEP_1) | instskip(NEXT) | instid1(VALU_DEP_1)
	v_mul_lo_u32 v2, v2, s8
	v_sub_nc_u32_e32 v3, v1, v2
	s_delay_alu instid0(VALU_DEP_1)
	v_mad_i64_i32 v[1:2], null, s58, v3, v[161:162]
	scratch_load_b32 v3, off, off offset:260 ; 4-byte Folded Reload
	s_waitcnt vmcnt(0)
	v_add_co_u32 v161, vcc_lo, v3, v1
	scratch_load_b32 v1, off, off offset:264 ; 4-byte Folded Reload
	s_waitcnt vmcnt(0)
	v_add_co_ci_u32_e32 v162, vcc_lo, v1, v2, vcc_lo
	v_cmp_gt_i32_e32 vcc_lo, 32, v131
	v_dual_mov_b32 v8, 0 :: v_dual_cndmask_b32 v1, v4, v131
	s_delay_alu instid0(VALU_DEP_1)
	v_mov_b32_e32 v11, v8
	v_mov_b32_e32 v9, v8
	;; [unrolled: 1-line block ×4, first 2 shown]
	v_lshlrev_b32_e32 v172, 2, v1
	scratch_load_b32 v1, off, off offset:268 ; 4-byte Folded Reload
	v_mov_b32_e32 v13, v8
	v_mov_b32_e32 v14, v8
	;; [unrolled: 1-line block ×27, first 2 shown]
	s_waitcnt vmcnt(0)
	v_add_co_u32 v193, vcc_lo, v1, s4
	scratch_load_b32 v1, off, off offset:272 ; 4-byte Folded Reload
	s_waitcnt vmcnt(0)
	v_add_co_ci_u32_e32 v195, vcc_lo, s5, v1, vcc_lo
	scratch_load_b32 v1, off, off offset:276 ; 4-byte Folded Reload
	s_waitcnt vmcnt(0)
	v_add_co_u32 v197, vcc_lo, v1, s4
	scratch_load_b32 v1, off, off offset:280 ; 4-byte Folded Reload
	s_waitcnt vmcnt(0)
	v_add_co_ci_u32_e32 v221, vcc_lo, s5, v1, vcc_lo
	scratch_load_b32 v1, off, off offset:284 ; 4-byte Folded Reload
	;; [unrolled: 6-line block ×15, first 2 shown]
	s_waitcnt vmcnt(0)
	v_add_co_u32 v207, vcc_lo, v1, s6
	scratch_load_b32 v1, off, off offset:392 ; 4-byte Folded Reload
	s_waitcnt vmcnt(0)
	v_add_co_ci_u32_e32 v209, vcc_lo, s7, v1, vcc_lo
	s_and_saveexec_b32 s4, s0
	s_cbranch_execz .LBB25_242
.LBB25_241:                             ;   in Loop: Header=BB25_10 Depth=1
	global_load_b32 v1, v[161:162], off
	scratch_load_b32 v2, off, off offset:76 ; 4-byte Folded Reload
	s_waitcnt vmcnt(0)
	ds_store_b32 v2, v1 offset:8704
.LBB25_242:                             ;   Parent Loop BB25_10 Depth=1
                                        ; =>  This Inner Loop Header: Depth=2
	s_or_b32 exec_lo, exec_lo, s4
	v_add_co_u32 v1, vcc_lo, v216, v244
	v_add_co_ci_u32_e32 v2, vcc_lo, 0, v217, vcc_lo
	v_add_co_u32 v5, vcc_lo, v219, v244
	v_add_co_ci_u32_e32 v6, vcc_lo, 0, v211, vcc_lo
	v_mov_b32_e32 v7, v0
	global_load_b128 v[1:4], v[1:2], off
	global_load_b128 v[104:107], v[5:6], off
	s_waitcnt vmcnt(1)
	ds_store_b128 v184, v[1:4]
	s_waitcnt vmcnt(0)
	ds_store_b128 v245, v[104:107]
	v_add_co_u32 v1, vcc_lo, v213, v244
	v_add_co_ci_u32_e32 v2, vcc_lo, 0, v215, vcc_lo
	v_add_co_u32 v5, vcc_lo, v222, v244
	v_add_co_ci_u32_e32 v6, vcc_lo, 0, v152, vcc_lo
	global_load_b128 v[1:4], v[1:2], off
	global_load_b128 v[104:107], v[5:6], off
	v_mov_b32_e32 v5, v0
	v_mov_b32_e32 v6, v0
	s_waitcnt vmcnt(1)
	ds_store_b128 v246, v[1:4]
	s_waitcnt vmcnt(0)
	ds_store_b128 v247, v[104:107]
	v_add_co_u32 v1, vcc_lo, v208, v244
	v_add_co_ci_u32_e32 v2, vcc_lo, 0, v210, vcc_lo
	global_load_b128 v[1:4], v[1:2], off
	s_waitcnt vmcnt(0)
	ds_store_b128 v248, v[1:4]
	v_add_co_u32 v1, vcc_lo, v212, v244
	v_add_co_ci_u32_e32 v2, vcc_lo, 0, v220, vcc_lo
	global_load_b128 v[1:4], v[1:2], off
	;; [unrolled: 5-line block ×4, first 2 shown]
	s_waitcnt vmcnt(0)
	ds_store_b128 v251, v[1:4]
	s_waitcnt lgkmcnt(0)
	s_barrier
	buffer_gl0_inv
	ds_load_b128 v[230:233], v182
	ds_load_b128 v[234:237], v182 offset:16
	v_mov_b32_e32 v1, v0
	v_mov_b32_e32 v2, v0
	;; [unrolled: 1-line block ×4, first 2 shown]
	v_dual_mov_b32 v111, v7 :: v_dual_mov_b32 v110, v6
	v_mov_b32_e32 v109, v5
	s_delay_alu instid0(VALU_DEP_4) | instskip(NEXT) | instid1(VALU_DEP_4)
	v_dual_mov_b32 v107, v3 :: v_dual_mov_b32 v106, v2
	v_dual_mov_b32 v108, v4 :: v_dual_mov_b32 v105, v1
	v_mov_b32_e32 v104, v0
                                        ; implicit-def: $vgpr1
	s_waitcnt lgkmcnt(0)
	s_delay_alu instid0(VALU_DEP_1)
	v_wmma_f32_16x16x16_f16 v[104:111], v[230:237], v[80:87], v[104:111]
	ds_load_b128 v[230:233], v182 offset:32
	ds_load_b128 v[234:237], v182 offset:48
	s_waitcnt lgkmcnt(0)
	v_wmma_f32_16x16x16_f16 v[104:111], v[230:237], v[40:47], v[104:111]
	ds_load_b128 v[230:233], v182 offset:64
	ds_load_b128 v[234:237], v182 offset:80
	s_waitcnt lgkmcnt(0)
	;; [unrolled: 4-line block ×7, first 2 shown]
	s_barrier
	buffer_gl0_inv
	v_wmma_f32_16x16x16_f16 v[104:111], v[230:237], v[96:103], v[104:111]
	s_delay_alu instid0(VALU_DEP_1) | instskip(NEXT) | instid1(VALU_DEP_1)
	v_cmp_ngt_f32_e64 s4, 0x3f200000, |v104|
	s_and_saveexec_b32 s5, s4
	s_delay_alu instid0(SALU_CYCLE_1)
	s_xor_b32 s4, exec_lo, s5
	s_cbranch_execz .LBB25_244
; %bb.243:                              ;   in Loop: Header=BB25_242 Depth=2
	v_add_f32_e64 v1, |v104|, |v104|
	s_delay_alu instid0(VALU_DEP_1) | instskip(SKIP_1) | instid1(VALU_DEP_2)
	v_mul_f32_e32 v2, 0x3fb8aa3b, v1
	v_cmp_ngt_f32_e32 vcc_lo, 0xc2ce8ed0, v1
	v_rndne_f32_e32 v3, v2
	v_fma_f32 v4, 0x3fb8aa3b, v1, -v2
	s_delay_alu instid0(VALU_DEP_2) | instskip(NEXT) | instid1(VALU_DEP_2)
	v_sub_f32_e32 v2, v2, v3
	v_fmac_f32_e32 v4, 0x32a5705f, v1
	v_cvt_i32_f32_e32 v3, v3
	s_delay_alu instid0(VALU_DEP_2) | instskip(NEXT) | instid1(VALU_DEP_1)
	v_add_f32_e32 v2, v2, v4
	v_exp_f32_e32 v2, v2
	s_waitcnt_depctr 0xfff
	v_ldexp_f32 v2, v2, v3
	s_delay_alu instid0(VALU_DEP_1) | instskip(SKIP_1) | instid1(VALU_DEP_2)
	v_cndmask_b32_e32 v2, 0, v2, vcc_lo
	v_cmp_nlt_f32_e32 vcc_lo, 0x42b17218, v1
	v_cndmask_b32_e32 v1, 0x7f800000, v2, vcc_lo
	s_delay_alu instid0(VALU_DEP_1) | instskip(NEXT) | instid1(VALU_DEP_1)
	v_add_f32_e32 v1, 1.0, v1
	v_rcp_f32_e32 v1, v1
	s_waitcnt_depctr 0xfff
	v_fma_f32 v1, v1, -2.0, 1.0
.LBB25_244:                             ;   in Loop: Header=BB25_242 Depth=2
	s_and_not1_saveexec_b32 s4, s4
; %bb.245:                              ;   in Loop: Header=BB25_242 Depth=2
	v_mul_f32_e32 v1, v104, v104
	s_delay_alu instid0(VALU_DEP_1) | instskip(NEXT) | instid1(VALU_DEP_1)
	v_fmaak_f32 v2, s41, v1, 0x3ca908c9
	v_fmaak_f32 v2, v1, v2, 0xbd5c1c4e
	s_delay_alu instid0(VALU_DEP_1) | instskip(NEXT) | instid1(VALU_DEP_1)
	v_fmaak_f32 v2, v1, v2, 0x3e088382
	v_fmaak_f32 v2, v1, v2, 0xbeaaaa99
	s_delay_alu instid0(VALU_DEP_1) | instskip(NEXT) | instid1(VALU_DEP_1)
	v_mul_f32_e64 v2, |v104|, v2
	v_fma_f32 v1, v1, v2, |v104|
; %bb.246:                              ;   in Loop: Header=BB25_242 Depth=2
	s_or_b32 exec_lo, exec_lo, s4
	v_cmp_ngt_f32_e64 s4, 0x3f200000, |v105|
                                        ; implicit-def: $vgpr2
	s_delay_alu instid0(VALU_DEP_1) | instskip(NEXT) | instid1(SALU_CYCLE_1)
	s_and_saveexec_b32 s5, s4
	s_xor_b32 s4, exec_lo, s5
	s_cbranch_execz .LBB25_248
; %bb.247:                              ;   in Loop: Header=BB25_242 Depth=2
	v_add_f32_e64 v2, |v105|, |v105|
	s_delay_alu instid0(VALU_DEP_1) | instskip(SKIP_1) | instid1(VALU_DEP_2)
	v_mul_f32_e32 v3, 0x3fb8aa3b, v2
	v_cmp_ngt_f32_e32 vcc_lo, 0xc2ce8ed0, v2
	v_rndne_f32_e32 v4, v3
	v_fma_f32 v5, 0x3fb8aa3b, v2, -v3
	s_delay_alu instid0(VALU_DEP_2) | instskip(NEXT) | instid1(VALU_DEP_2)
	v_sub_f32_e32 v3, v3, v4
	v_fmac_f32_e32 v5, 0x32a5705f, v2
	v_cvt_i32_f32_e32 v4, v4
	s_delay_alu instid0(VALU_DEP_2) | instskip(NEXT) | instid1(VALU_DEP_1)
	v_add_f32_e32 v3, v3, v5
	v_exp_f32_e32 v3, v3
	s_waitcnt_depctr 0xfff
	v_ldexp_f32 v3, v3, v4
	s_delay_alu instid0(VALU_DEP_1) | instskip(SKIP_1) | instid1(VALU_DEP_2)
	v_cndmask_b32_e32 v3, 0, v3, vcc_lo
	v_cmp_nlt_f32_e32 vcc_lo, 0x42b17218, v2
	v_cndmask_b32_e32 v2, 0x7f800000, v3, vcc_lo
	s_delay_alu instid0(VALU_DEP_1) | instskip(NEXT) | instid1(VALU_DEP_1)
	v_add_f32_e32 v2, 1.0, v2
	v_rcp_f32_e32 v2, v2
	s_waitcnt_depctr 0xfff
	v_fma_f32 v2, v2, -2.0, 1.0
.LBB25_248:                             ;   in Loop: Header=BB25_242 Depth=2
	s_and_not1_saveexec_b32 s4, s4
; %bb.249:                              ;   in Loop: Header=BB25_242 Depth=2
	v_mul_f32_e32 v2, v105, v105
	s_delay_alu instid0(VALU_DEP_1) | instskip(NEXT) | instid1(VALU_DEP_1)
	v_fmaak_f32 v3, s41, v2, 0x3ca908c9
	v_fmaak_f32 v3, v2, v3, 0xbd5c1c4e
	s_delay_alu instid0(VALU_DEP_1) | instskip(NEXT) | instid1(VALU_DEP_1)
	v_fmaak_f32 v3, v2, v3, 0x3e088382
	v_fmaak_f32 v3, v2, v3, 0xbeaaaa99
	s_delay_alu instid0(VALU_DEP_1) | instskip(NEXT) | instid1(VALU_DEP_1)
	v_mul_f32_e64 v3, |v105|, v3
	v_fma_f32 v2, v2, v3, |v105|
; %bb.250:                              ;   in Loop: Header=BB25_242 Depth=2
	s_or_b32 exec_lo, exec_lo, s4
	v_cmp_ngt_f32_e64 s4, 0x3f200000, |v106|
                                        ; implicit-def: $vgpr3
	s_delay_alu instid0(VALU_DEP_1) | instskip(NEXT) | instid1(SALU_CYCLE_1)
	s_and_saveexec_b32 s5, s4
	s_xor_b32 s4, exec_lo, s5
	s_cbranch_execz .LBB25_252
; %bb.251:                              ;   in Loop: Header=BB25_242 Depth=2
	v_add_f32_e64 v3, |v106|, |v106|
	s_delay_alu instid0(VALU_DEP_1) | instskip(SKIP_1) | instid1(VALU_DEP_2)
	v_mul_f32_e32 v4, 0x3fb8aa3b, v3
	v_cmp_ngt_f32_e32 vcc_lo, 0xc2ce8ed0, v3
	v_rndne_f32_e32 v5, v4
	v_fma_f32 v6, 0x3fb8aa3b, v3, -v4
	s_delay_alu instid0(VALU_DEP_2) | instskip(NEXT) | instid1(VALU_DEP_2)
	v_sub_f32_e32 v4, v4, v5
	v_fmac_f32_e32 v6, 0x32a5705f, v3
	v_cvt_i32_f32_e32 v5, v5
	s_delay_alu instid0(VALU_DEP_2) | instskip(NEXT) | instid1(VALU_DEP_1)
	v_add_f32_e32 v4, v4, v6
	v_exp_f32_e32 v4, v4
	s_waitcnt_depctr 0xfff
	v_ldexp_f32 v4, v4, v5
	s_delay_alu instid0(VALU_DEP_1) | instskip(SKIP_1) | instid1(VALU_DEP_2)
	v_cndmask_b32_e32 v4, 0, v4, vcc_lo
	v_cmp_nlt_f32_e32 vcc_lo, 0x42b17218, v3
	v_cndmask_b32_e32 v3, 0x7f800000, v4, vcc_lo
	s_delay_alu instid0(VALU_DEP_1) | instskip(NEXT) | instid1(VALU_DEP_1)
	v_add_f32_e32 v3, 1.0, v3
	v_rcp_f32_e32 v3, v3
	s_waitcnt_depctr 0xfff
	v_fma_f32 v3, v3, -2.0, 1.0
.LBB25_252:                             ;   in Loop: Header=BB25_242 Depth=2
	s_and_not1_saveexec_b32 s4, s4
; %bb.253:                              ;   in Loop: Header=BB25_242 Depth=2
	v_mul_f32_e32 v3, v106, v106
	s_delay_alu instid0(VALU_DEP_1) | instskip(NEXT) | instid1(VALU_DEP_1)
	v_fmaak_f32 v4, s41, v3, 0x3ca908c9
	v_fmaak_f32 v4, v3, v4, 0xbd5c1c4e
	s_delay_alu instid0(VALU_DEP_1) | instskip(NEXT) | instid1(VALU_DEP_1)
	v_fmaak_f32 v4, v3, v4, 0x3e088382
	v_fmaak_f32 v4, v3, v4, 0xbeaaaa99
	s_delay_alu instid0(VALU_DEP_1) | instskip(NEXT) | instid1(VALU_DEP_1)
	v_mul_f32_e64 v4, |v106|, v4
	v_fma_f32 v3, v3, v4, |v106|
; %bb.254:                              ;   in Loop: Header=BB25_242 Depth=2
	s_or_b32 exec_lo, exec_lo, s4
	v_cmp_ngt_f32_e64 s4, 0x3f200000, |v107|
                                        ; implicit-def: $vgpr4
	s_delay_alu instid0(VALU_DEP_1) | instskip(NEXT) | instid1(SALU_CYCLE_1)
	s_and_saveexec_b32 s5, s4
	s_xor_b32 s4, exec_lo, s5
	s_cbranch_execz .LBB25_256
; %bb.255:                              ;   in Loop: Header=BB25_242 Depth=2
	v_add_f32_e64 v4, |v107|, |v107|
	s_delay_alu instid0(VALU_DEP_1) | instskip(SKIP_1) | instid1(VALU_DEP_2)
	v_mul_f32_e32 v5, 0x3fb8aa3b, v4
	v_cmp_ngt_f32_e32 vcc_lo, 0xc2ce8ed0, v4
	v_rndne_f32_e32 v6, v5
	v_fma_f32 v7, 0x3fb8aa3b, v4, -v5
	s_delay_alu instid0(VALU_DEP_2) | instskip(NEXT) | instid1(VALU_DEP_2)
	v_sub_f32_e32 v5, v5, v6
	v_fmac_f32_e32 v7, 0x32a5705f, v4
	v_cvt_i32_f32_e32 v6, v6
	s_delay_alu instid0(VALU_DEP_2) | instskip(NEXT) | instid1(VALU_DEP_1)
	v_add_f32_e32 v5, v5, v7
	v_exp_f32_e32 v5, v5
	s_waitcnt_depctr 0xfff
	v_ldexp_f32 v5, v5, v6
	s_delay_alu instid0(VALU_DEP_1) | instskip(SKIP_1) | instid1(VALU_DEP_2)
	v_cndmask_b32_e32 v5, 0, v5, vcc_lo
	v_cmp_nlt_f32_e32 vcc_lo, 0x42b17218, v4
	v_cndmask_b32_e32 v4, 0x7f800000, v5, vcc_lo
	s_delay_alu instid0(VALU_DEP_1) | instskip(NEXT) | instid1(VALU_DEP_1)
	v_add_f32_e32 v4, 1.0, v4
	v_rcp_f32_e32 v4, v4
	s_waitcnt_depctr 0xfff
	v_fma_f32 v4, v4, -2.0, 1.0
.LBB25_256:                             ;   in Loop: Header=BB25_242 Depth=2
	s_and_not1_saveexec_b32 s4, s4
; %bb.257:                              ;   in Loop: Header=BB25_242 Depth=2
	v_mul_f32_e32 v4, v107, v107
	s_delay_alu instid0(VALU_DEP_1) | instskip(NEXT) | instid1(VALU_DEP_1)
	v_fmaak_f32 v5, s41, v4, 0x3ca908c9
	v_fmaak_f32 v5, v4, v5, 0xbd5c1c4e
	s_delay_alu instid0(VALU_DEP_1) | instskip(NEXT) | instid1(VALU_DEP_1)
	v_fmaak_f32 v5, v4, v5, 0x3e088382
	v_fmaak_f32 v5, v4, v5, 0xbeaaaa99
	s_delay_alu instid0(VALU_DEP_1) | instskip(NEXT) | instid1(VALU_DEP_1)
	v_mul_f32_e64 v5, |v107|, v5
	v_fma_f32 v4, v4, v5, |v107|
; %bb.258:                              ;   in Loop: Header=BB25_242 Depth=2
	s_or_b32 exec_lo, exec_lo, s4
	v_cmp_ngt_f32_e64 s4, 0x3f200000, |v108|
                                        ; implicit-def: $vgpr5
	s_delay_alu instid0(VALU_DEP_1) | instskip(NEXT) | instid1(SALU_CYCLE_1)
	s_and_saveexec_b32 s5, s4
	s_xor_b32 s4, exec_lo, s5
	s_cbranch_execz .LBB25_260
; %bb.259:                              ;   in Loop: Header=BB25_242 Depth=2
	v_add_f32_e64 v5, |v108|, |v108|
	s_delay_alu instid0(VALU_DEP_1) | instskip(SKIP_1) | instid1(VALU_DEP_2)
	v_mul_f32_e32 v6, 0x3fb8aa3b, v5
	v_cmp_ngt_f32_e32 vcc_lo, 0xc2ce8ed0, v5
	v_rndne_f32_e32 v7, v6
	v_fma_f32 v114, 0x3fb8aa3b, v5, -v6
	s_delay_alu instid0(VALU_DEP_2) | instskip(NEXT) | instid1(VALU_DEP_2)
	v_sub_f32_e32 v6, v6, v7
	v_fmac_f32_e32 v114, 0x32a5705f, v5
	v_cvt_i32_f32_e32 v7, v7
	s_delay_alu instid0(VALU_DEP_2) | instskip(NEXT) | instid1(VALU_DEP_1)
	v_add_f32_e32 v6, v6, v114
	v_exp_f32_e32 v6, v6
	s_waitcnt_depctr 0xfff
	v_ldexp_f32 v6, v6, v7
	s_delay_alu instid0(VALU_DEP_1) | instskip(SKIP_1) | instid1(VALU_DEP_2)
	v_cndmask_b32_e32 v6, 0, v6, vcc_lo
	v_cmp_nlt_f32_e32 vcc_lo, 0x42b17218, v5
	v_cndmask_b32_e32 v5, 0x7f800000, v6, vcc_lo
	s_delay_alu instid0(VALU_DEP_1) | instskip(NEXT) | instid1(VALU_DEP_1)
	v_add_f32_e32 v5, 1.0, v5
	v_rcp_f32_e32 v5, v5
	s_waitcnt_depctr 0xfff
	v_fma_f32 v5, v5, -2.0, 1.0
.LBB25_260:                             ;   in Loop: Header=BB25_242 Depth=2
	s_and_not1_saveexec_b32 s4, s4
; %bb.261:                              ;   in Loop: Header=BB25_242 Depth=2
	v_mul_f32_e32 v5, v108, v108
	s_delay_alu instid0(VALU_DEP_1) | instskip(NEXT) | instid1(VALU_DEP_1)
	v_fmaak_f32 v6, s41, v5, 0x3ca908c9
	v_fmaak_f32 v6, v5, v6, 0xbd5c1c4e
	s_delay_alu instid0(VALU_DEP_1) | instskip(NEXT) | instid1(VALU_DEP_1)
	v_fmaak_f32 v6, v5, v6, 0x3e088382
	v_fmaak_f32 v6, v5, v6, 0xbeaaaa99
	s_delay_alu instid0(VALU_DEP_1) | instskip(NEXT) | instid1(VALU_DEP_1)
	v_mul_f32_e64 v6, |v108|, v6
	v_fma_f32 v5, v5, v6, |v108|
; %bb.262:                              ;   in Loop: Header=BB25_242 Depth=2
	s_or_b32 exec_lo, exec_lo, s4
	v_cmp_ngt_f32_e64 s4, 0x3f200000, |v109|
                                        ; implicit-def: $vgpr6
	s_delay_alu instid0(VALU_DEP_1) | instskip(NEXT) | instid1(SALU_CYCLE_1)
	s_and_saveexec_b32 s5, s4
	s_xor_b32 s4, exec_lo, s5
	s_cbranch_execz .LBB25_264
; %bb.263:                              ;   in Loop: Header=BB25_242 Depth=2
	v_add_f32_e64 v6, |v109|, |v109|
	s_delay_alu instid0(VALU_DEP_1) | instskip(SKIP_1) | instid1(VALU_DEP_2)
	v_mul_f32_e32 v7, 0x3fb8aa3b, v6
	v_cmp_ngt_f32_e32 vcc_lo, 0xc2ce8ed0, v6
	v_rndne_f32_e32 v114, v7
	v_fma_f32 v115, 0x3fb8aa3b, v6, -v7
	s_delay_alu instid0(VALU_DEP_2) | instskip(NEXT) | instid1(VALU_DEP_2)
	v_sub_f32_e32 v7, v7, v114
	v_fmac_f32_e32 v115, 0x32a5705f, v6
	v_cvt_i32_f32_e32 v114, v114
	s_delay_alu instid0(VALU_DEP_2) | instskip(NEXT) | instid1(VALU_DEP_1)
	v_add_f32_e32 v7, v7, v115
	v_exp_f32_e32 v7, v7
	s_waitcnt_depctr 0xfff
	v_ldexp_f32 v7, v7, v114
	s_delay_alu instid0(VALU_DEP_1) | instskip(SKIP_1) | instid1(VALU_DEP_2)
	v_cndmask_b32_e32 v7, 0, v7, vcc_lo
	v_cmp_nlt_f32_e32 vcc_lo, 0x42b17218, v6
	v_cndmask_b32_e32 v6, 0x7f800000, v7, vcc_lo
	s_delay_alu instid0(VALU_DEP_1) | instskip(NEXT) | instid1(VALU_DEP_1)
	v_add_f32_e32 v6, 1.0, v6
	v_rcp_f32_e32 v6, v6
	s_waitcnt_depctr 0xfff
	v_fma_f32 v6, v6, -2.0, 1.0
.LBB25_264:                             ;   in Loop: Header=BB25_242 Depth=2
	s_and_not1_saveexec_b32 s4, s4
; %bb.265:                              ;   in Loop: Header=BB25_242 Depth=2
	v_mul_f32_e32 v6, v109, v109
	s_delay_alu instid0(VALU_DEP_1) | instskip(NEXT) | instid1(VALU_DEP_1)
	v_fmaak_f32 v7, s41, v6, 0x3ca908c9
	v_fmaak_f32 v7, v6, v7, 0xbd5c1c4e
	s_delay_alu instid0(VALU_DEP_1) | instskip(NEXT) | instid1(VALU_DEP_1)
	v_fmaak_f32 v7, v6, v7, 0x3e088382
	v_fmaak_f32 v7, v6, v7, 0xbeaaaa99
	s_delay_alu instid0(VALU_DEP_1) | instskip(NEXT) | instid1(VALU_DEP_1)
	v_mul_f32_e64 v7, |v109|, v7
	v_fma_f32 v6, v6, v7, |v109|
; %bb.266:                              ;   in Loop: Header=BB25_242 Depth=2
	s_or_b32 exec_lo, exec_lo, s4
	v_cmp_ngt_f32_e64 s4, 0x3f200000, |v110|
                                        ; implicit-def: $vgpr7
	s_delay_alu instid0(VALU_DEP_1) | instskip(NEXT) | instid1(SALU_CYCLE_1)
	s_and_saveexec_b32 s5, s4
	s_xor_b32 s4, exec_lo, s5
	s_cbranch_execz .LBB25_268
; %bb.267:                              ;   in Loop: Header=BB25_242 Depth=2
	v_add_f32_e64 v7, |v110|, |v110|
	s_delay_alu instid0(VALU_DEP_1) | instskip(SKIP_1) | instid1(VALU_DEP_2)
	v_mul_f32_e32 v114, 0x3fb8aa3b, v7
	v_cmp_ngt_f32_e32 vcc_lo, 0xc2ce8ed0, v7
	v_rndne_f32_e32 v115, v114
	v_fma_f32 v116, 0x3fb8aa3b, v7, -v114
	s_delay_alu instid0(VALU_DEP_2) | instskip(NEXT) | instid1(VALU_DEP_2)
	v_sub_f32_e32 v114, v114, v115
	v_fmac_f32_e32 v116, 0x32a5705f, v7
	v_cvt_i32_f32_e32 v115, v115
	s_delay_alu instid0(VALU_DEP_2) | instskip(NEXT) | instid1(VALU_DEP_1)
	v_add_f32_e32 v114, v114, v116
	v_exp_f32_e32 v114, v114
	s_waitcnt_depctr 0xfff
	v_ldexp_f32 v114, v114, v115
	s_delay_alu instid0(VALU_DEP_1) | instskip(SKIP_1) | instid1(VALU_DEP_2)
	v_cndmask_b32_e32 v114, 0, v114, vcc_lo
	v_cmp_nlt_f32_e32 vcc_lo, 0x42b17218, v7
	v_cndmask_b32_e32 v7, 0x7f800000, v114, vcc_lo
	s_delay_alu instid0(VALU_DEP_1) | instskip(NEXT) | instid1(VALU_DEP_1)
	v_add_f32_e32 v7, 1.0, v7
	v_rcp_f32_e32 v7, v7
	s_waitcnt_depctr 0xfff
	v_fma_f32 v7, v7, -2.0, 1.0
.LBB25_268:                             ;   in Loop: Header=BB25_242 Depth=2
	s_and_not1_saveexec_b32 s4, s4
; %bb.269:                              ;   in Loop: Header=BB25_242 Depth=2
	v_mul_f32_e32 v7, v110, v110
	s_delay_alu instid0(VALU_DEP_1) | instskip(NEXT) | instid1(VALU_DEP_1)
	v_fmaak_f32 v114, s41, v7, 0x3ca908c9
	v_fmaak_f32 v114, v7, v114, 0xbd5c1c4e
	s_delay_alu instid0(VALU_DEP_1) | instskip(NEXT) | instid1(VALU_DEP_1)
	v_fmaak_f32 v114, v7, v114, 0x3e088382
	v_fmaak_f32 v114, v7, v114, 0xbeaaaa99
	s_delay_alu instid0(VALU_DEP_1) | instskip(NEXT) | instid1(VALU_DEP_1)
	v_mul_f32_e64 v114, |v110|, v114
	v_fma_f32 v7, v7, v114, |v110|
; %bb.270:                              ;   in Loop: Header=BB25_242 Depth=2
	s_or_b32 exec_lo, exec_lo, s4
	v_cmp_ngt_f32_e64 s4, 0x3f200000, |v111|
                                        ; implicit-def: $vgpr218
	s_delay_alu instid0(VALU_DEP_1) | instskip(NEXT) | instid1(SALU_CYCLE_1)
	s_and_saveexec_b32 s5, s4
	s_xor_b32 s4, exec_lo, s5
	s_cbranch_execz .LBB25_272
; %bb.271:                              ;   in Loop: Header=BB25_242 Depth=2
	v_add_f32_e64 v114, |v111|, |v111|
	s_delay_alu instid0(VALU_DEP_1) | instskip(SKIP_1) | instid1(VALU_DEP_2)
	v_mul_f32_e32 v115, 0x3fb8aa3b, v114
	v_cmp_ngt_f32_e32 vcc_lo, 0xc2ce8ed0, v114
	v_rndne_f32_e32 v116, v115
	v_fma_f32 v117, 0x3fb8aa3b, v114, -v115
	s_delay_alu instid0(VALU_DEP_2) | instskip(NEXT) | instid1(VALU_DEP_2)
	v_sub_f32_e32 v115, v115, v116
	v_fmac_f32_e32 v117, 0x32a5705f, v114
	v_cvt_i32_f32_e32 v116, v116
	s_delay_alu instid0(VALU_DEP_2) | instskip(NEXT) | instid1(VALU_DEP_1)
	v_add_f32_e32 v115, v115, v117
	v_exp_f32_e32 v115, v115
	s_waitcnt_depctr 0xfff
	v_ldexp_f32 v115, v115, v116
	s_delay_alu instid0(VALU_DEP_1) | instskip(SKIP_1) | instid1(VALU_DEP_2)
	v_cndmask_b32_e32 v115, 0, v115, vcc_lo
	v_cmp_nlt_f32_e32 vcc_lo, 0x42b17218, v114
	v_cndmask_b32_e32 v114, 0x7f800000, v115, vcc_lo
	s_delay_alu instid0(VALU_DEP_1) | instskip(NEXT) | instid1(VALU_DEP_1)
	v_add_f32_e32 v114, 1.0, v114
	v_rcp_f32_e32 v114, v114
	s_waitcnt_depctr 0xfff
	v_fma_f32 v218, v114, -2.0, 1.0
.LBB25_272:                             ;   in Loop: Header=BB25_242 Depth=2
	s_and_not1_saveexec_b32 s4, s4
; %bb.273:                              ;   in Loop: Header=BB25_242 Depth=2
	v_mul_f32_e32 v114, v111, v111
	s_delay_alu instid0(VALU_DEP_1) | instskip(NEXT) | instid1(VALU_DEP_1)
	v_fmaak_f32 v115, s41, v114, 0x3ca908c9
	v_fmaak_f32 v115, v114, v115, 0xbd5c1c4e
	s_delay_alu instid0(VALU_DEP_1) | instskip(NEXT) | instid1(VALU_DEP_1)
	v_fmaak_f32 v115, v114, v115, 0x3e088382
	v_fmaak_f32 v115, v114, v115, 0xbeaaaa99
	s_delay_alu instid0(VALU_DEP_1) | instskip(NEXT) | instid1(VALU_DEP_1)
	v_mul_f32_e64 v115, |v111|, v115
	v_fma_f32 v218, v114, v115, |v111|
; %bb.274:                              ;   in Loop: Header=BB25_242 Depth=2
	s_or_b32 exec_lo, exec_lo, s4
	v_bfi_b32 v114, 0x7fffffff, v1, v104
	v_add_co_u32 v1, vcc_lo, v193, v244
	v_bfi_b32 v115, 0x7fffffff, v2, v105
	v_add_co_ci_u32_e32 v2, vcc_lo, 0, v195, vcc_lo
	v_bfi_b32 v108, 0x7fffffff, v5, v108
	v_add_co_u32 v5, vcc_lo, v197, v244
	v_bfi_b32 v109, 0x7fffffff, v6, v109
	v_add_co_ci_u32_e32 v6, vcc_lo, 0, v221, vcc_lo
	v_bfi_b32 v116, 0x7fffffff, v3, v106
	v_bfi_b32 v117, 0x7fffffff, v4, v107
	;; [unrolled: 1-line block ×4, first 2 shown]
	ds_load_u16 v111, v185 offset:8704
	ds_load_u16 v118, v185 offset:8708
	;; [unrolled: 1-line block ×8, first 2 shown]
	global_load_b128 v[1:4], v[1:2], off
	global_load_b128 v[104:107], v[5:6], off
	v_cmp_eq_u32_e64 s5, 0, v178
	v_cmp_eq_u32_e64 s6, 1, v178
	v_add_nc_u32_e32 v126, 0xc00, v243
	s_add_i32 s52, s52, -1
	s_waitcnt vmcnt(1)
	ds_store_b128 v184, v[1:4]
	s_waitcnt vmcnt(0)
	ds_store_b128 v245, v[104:107]
	v_add_co_u32 v1, vcc_lo, v169, v244
	v_add_co_ci_u32_e32 v2, vcc_lo, 0, v170, vcc_lo
	v_add_co_u32 v5, vcc_lo, v171, v244
	v_add_co_ci_u32_e32 v6, vcc_lo, 0, v174, vcc_lo
	global_load_b128 v[1:4], v[1:2], off
	global_load_b128 v[104:107], v[5:6], off
	s_waitcnt lgkmcnt(4)
	v_fma_mix_f32 v109, v109, s33, v122 op_sel_hi:[0,0,1]
	s_waitcnt lgkmcnt(3)
	v_fma_mix_f32 v7, v7, s33, v123 op_sel_hi:[0,0,1]
	s_cmp_lg_u32 s52, 0
	s_waitcnt vmcnt(1)
	ds_store_b128 v246, v[1:4]
	s_waitcnt vmcnt(0)
	ds_store_b128 v247, v[104:107]
	v_add_co_u32 v1, vcc_lo, v175, v244
	v_add_co_ci_u32_e32 v2, vcc_lo, 0, v176, vcc_lo
	v_add_f32_e32 v105, 0x40051340, v109
	global_load_b128 v[1:4], v[1:2], off
	s_waitcnt vmcnt(0)
	ds_store_b128 v248, v[1:4]
	v_add_co_u32 v1, vcc_lo, v146, v244
	v_add_co_ci_u32_e32 v2, vcc_lo, 0, v112, vcc_lo
	global_load_b128 v[1:4], v[1:2], off
	s_waitcnt vmcnt(0)
	ds_store_b128 v249, v[1:4]
	v_add_co_u32 v1, vcc_lo, v113, v244
	v_add_co_ci_u32_e32 v2, vcc_lo, 0, v154, vcc_lo
	;; [unrolled: 5-line block ×3, first 2 shown]
	global_load_b128 v[1:4], v[1:2], off
	s_waitcnt vmcnt(0)
	ds_store_b128 v251, v[1:4]
	v_fma_mix_f32 v1, v114, s33, v111 op_sel_hi:[0,0,1]
	v_fma_mix_f32 v2, v115, s33, v118 op_sel_hi:[0,0,1]
	v_fma_mix_f32 v3, v116, s33, v119 op_sel_hi:[0,0,1]
	v_fma_mix_f32 v4, v117, s33, v120 op_sel_hi:[0,0,1]
	s_waitcnt lgkmcnt(8)
	v_fma_mix_f32 v111, v110, s33, v124 op_sel_hi:[0,0,1]
	v_dual_add_f32 v5, 0x40051340, v1 :: v_dual_add_f32 v6, 0x40051340, v2
	s_waitcnt lgkmcnt(0)
	v_add_f32_e32 v104, 0x40051340, v4
	s_barrier
	buffer_gl0_inv
	v_max3_f32 v5, v147, v5, v6
	v_add_f32_e32 v6, 0x40051340, v3
	s_delay_alu instid0(VALU_DEP_1) | instskip(SKIP_1) | instid1(VALU_DEP_1)
	v_max3_f32 v5, v5, v6, v104
	v_fma_mix_f32 v6, v108, s33, v121 op_sel_hi:[0,0,1]
	v_add_f32_e32 v104, 0x40051340, v6
	s_delay_alu instid0(VALU_DEP_1) | instskip(SKIP_2) | instid1(VALU_DEP_1)
	v_max3_f32 v5, v5, v104, v105
	v_add_f32_e32 v104, 0x40051340, v7
	v_add_f32_e32 v105, 0x40051340, v111
	v_max3_f32 v5, v5, v104, v105
	ds_bpermute_b32 v104, v172, v5
	s_waitcnt lgkmcnt(0)
	v_max_f32_e32 v104, v104, v104
	s_delay_alu instid0(VALU_DEP_1) | instskip(NEXT) | instid1(VALU_DEP_1)
	v_max_f32_e32 v218, v5, v104
	v_sub_f32_e32 v2, v2, v218
	s_delay_alu instid0(VALU_DEP_1) | instskip(NEXT) | instid1(VALU_DEP_1)
	v_mul_f32_e32 v5, 0x3fb8aa3b, v2
	v_fma_f32 v104, 0x3fb8aa3b, v2, -v5
	v_rndne_f32_e32 v105, v5
	s_delay_alu instid0(VALU_DEP_1) | instskip(SKIP_1) | instid1(VALU_DEP_2)
	v_dual_fmac_f32 v104, 0x32a5705f, v2 :: v_dual_sub_f32 v5, v5, v105
	v_cvt_i32_f32_e32 v105, v105
	v_add_f32_e32 v5, v5, v104
	v_cmp_ngt_f32_e32 vcc_lo, 0xc2ce8ed0, v2
	s_delay_alu instid0(VALU_DEP_2) | instskip(SKIP_2) | instid1(VALU_DEP_1)
	v_exp_f32_e32 v5, v5
	s_waitcnt_depctr 0xfff
	v_ldexp_f32 v5, v5, v105
	v_cndmask_b32_e32 v5, 0, v5, vcc_lo
	v_sub_f32_e32 v1, v1, v218
	v_sub_f32_e32 v3, v3, v218
	v_cmp_nlt_f32_e32 vcc_lo, 0x42b17218, v2
	v_sub_f32_e32 v111, v111, v218
	v_sub_f32_e32 v4, v4, v218
	v_mul_f32_e32 v104, 0x3fb8aa3b, v1
	v_cmp_ngt_f32_e64 s4, 0xc2ce8ed0, v1
	v_cmp_ngt_f32_e64 s7, 0xc2ce8ed0, v3
	v_sub_f32_e32 v109, v109, v218
	v_sub_f32_e32 v7, v7, v218
	v_fma_f32 v106, 0x3fb8aa3b, v1, -v104
	v_rndne_f32_e32 v107, v104
	s_delay_alu instid0(VALU_DEP_2) | instskip(NEXT) | instid1(VALU_DEP_2)
	v_fmac_f32_e32 v106, 0x32a5705f, v1
	v_sub_f32_e32 v104, v104, v107
	v_cvt_i32_f32_e32 v105, v107
	s_delay_alu instid0(VALU_DEP_2) | instskip(NEXT) | instid1(VALU_DEP_1)
	v_add_f32_e32 v104, v104, v106
	v_exp_f32_e32 v104, v104
	s_waitcnt_depctr 0xfff
	v_ldexp_f32 v104, v104, v105
	s_delay_alu instid0(VALU_DEP_1) | instskip(SKIP_1) | instid1(VALU_DEP_1)
	v_cndmask_b32_e64 v2, 0, v104, s4
	v_cmp_nlt_f32_e64 s4, 0x42b17218, v1
	v_cndmask_b32_e64 v1, 0x7f800000, v2, s4
	v_cndmask_b32_e32 v2, 0x7f800000, v5, vcc_lo
	v_cmp_eq_u32_e32 vcc_lo, 0, v252
	v_cmp_eq_u32_e64 s4, 1, v252
	ds_bpermute_b32 v5, v172, v1
	ds_bpermute_b32 v105, v172, v2
	s_waitcnt lgkmcnt(1)
	v_cndmask_b32_e64 v104, v1, v5, s4
	v_cndmask_b32_e32 v5, v1, v5, vcc_lo
	s_delay_alu instid0(VALU_DEP_2) | instskip(NEXT) | instid1(VALU_DEP_2)
	v_cndmask_b32_e64 v107, v104, v2, s6
	v_cndmask_b32_e64 v106, v5, v2, s5
	v_cvt_f16_f32_e32 v5, v5
	v_cvt_f16_f32_e32 v104, v104
	s_waitcnt lgkmcnt(0)
	v_cndmask_b32_e64 v107, v107, v105, s4
	v_cndmask_b32_e32 v106, v106, v105, vcc_lo
	s_delay_alu instid0(VALU_DEP_3) | instskip(SKIP_1) | instid1(VALU_DEP_4)
	v_pack_b32_f16 v104, v5, v104
	v_mul_f32_e32 v5, 0x3fb8aa3b, v3
	v_cvt_f16_f32_e32 v108, v107
	s_delay_alu instid0(VALU_DEP_4) | instskip(NEXT) | instid1(VALU_DEP_3)
	v_cvt_f16_f32_e32 v105, v106
	v_rndne_f32_e32 v110, v5
	s_delay_alu instid0(VALU_DEP_2) | instskip(SKIP_1) | instid1(VALU_DEP_1)
	v_pack_b32_f16 v105, v105, v108
	v_fma_f32 v108, 0x3fb8aa3b, v3, -v5
	v_dual_sub_f32 v5, v5, v110 :: v_dual_fmac_f32 v108, 0x32a5705f, v3
	s_delay_alu instid0(VALU_DEP_1) | instskip(SKIP_1) | instid1(VALU_DEP_2)
	v_add_f32_e32 v5, v5, v108
	v_cvt_i32_f32_e32 v108, v110
	v_exp_f32_e32 v5, v5
	s_waitcnt_depctr 0xfff
	v_ldexp_f32 v5, v5, v108
	s_delay_alu instid0(VALU_DEP_1) | instskip(SKIP_1) | instid1(VALU_DEP_1)
	v_cndmask_b32_e64 v5, 0, v5, s7
	v_cmp_nlt_f32_e64 s7, 0x42b17218, v3
	v_cndmask_b32_e64 v3, 0x7f800000, v5, s7
	v_cmp_ngt_f32_e64 s7, 0xc2ce8ed0, v4
	s_delay_alu instid0(VALU_DEP_2) | instskip(SKIP_3) | instid1(VALU_DEP_1)
	v_cndmask_b32_e64 v5, v107, v3, s6
	ds_bpermute_b32 v107, v172, v3
	v_cndmask_b32_e64 v106, v106, v3, s5
	s_waitcnt lgkmcnt(0)
	v_cndmask_b32_e32 v108, v106, v107, vcc_lo
	v_cndmask_b32_e64 v5, v5, v107, s4
	s_delay_alu instid0(VALU_DEP_2) | instskip(NEXT) | instid1(VALU_DEP_2)
	v_cvt_f16_f32_e32 v106, v108
	v_cvt_f16_f32_e32 v107, v5
	s_delay_alu instid0(VALU_DEP_1) | instskip(SKIP_1) | instid1(VALU_DEP_1)
	v_pack_b32_f16 v106, v106, v107
	v_mul_f32_e32 v107, 0x3fb8aa3b, v4
	v_fma_f32 v110, 0x3fb8aa3b, v4, -v107
	v_rndne_f32_e32 v114, v107
	s_delay_alu instid0(VALU_DEP_1) | instskip(SKIP_2) | instid1(VALU_DEP_3)
	v_dual_fmac_f32 v110, 0x32a5705f, v4 :: v_dual_sub_f32 v107, v107, v114
	v_dual_add_f32 v1, v1, v2 :: v_dual_add_nc_u32 v124, 0x800, v243
	v_sub_f32_e32 v6, v6, v218
	v_add_f32_e32 v107, v107, v110
	v_cvt_i32_f32_e32 v110, v114
	s_delay_alu instid0(VALU_DEP_4) | instskip(NEXT) | instid1(VALU_DEP_3)
	v_add_f32_e32 v1, v3, v1
	v_exp_f32_e32 v107, v107
	s_waitcnt_depctr 0xfff
	v_ldexp_f32 v107, v107, v110
	s_delay_alu instid0(VALU_DEP_1) | instskip(SKIP_1) | instid1(VALU_DEP_1)
	v_cndmask_b32_e64 v107, 0, v107, s7
	v_cmp_nlt_f32_e64 s7, 0x42b17218, v4
	v_cndmask_b32_e64 v4, 0x7f800000, v107, s7
	v_cmp_ngt_f32_e64 s7, 0xc2ce8ed0, v6
	s_delay_alu instid0(VALU_DEP_2) | instskip(SKIP_4) | instid1(VALU_DEP_2)
	v_cndmask_b32_e64 v107, v108, v4, s5
	ds_bpermute_b32 v108, v172, v4
	v_cndmask_b32_e64 v5, v5, v4, s6
	s_waitcnt lgkmcnt(0)
	v_dual_add_f32 v1, v4, v1 :: v_dual_cndmask_b32 v110, v107, v108
	v_cndmask_b32_e64 v5, v5, v108, s4
	s_delay_alu instid0(VALU_DEP_2) | instskip(NEXT) | instid1(VALU_DEP_2)
	v_cvt_f16_f32_e32 v107, v110
	v_cvt_f16_f32_e32 v108, v5
	s_delay_alu instid0(VALU_DEP_1) | instskip(SKIP_1) | instid1(VALU_DEP_1)
	v_pack_b32_f16 v107, v107, v108
	v_mul_f32_e32 v108, 0x3fb8aa3b, v6
	v_fma_f32 v114, 0x3fb8aa3b, v6, -v108
	v_rndne_f32_e32 v115, v108
	s_delay_alu instid0(VALU_DEP_2) | instskip(NEXT) | instid1(VALU_DEP_2)
	v_fmac_f32_e32 v114, 0x32a5705f, v6
	v_sub_f32_e32 v108, v108, v115
	s_delay_alu instid0(VALU_DEP_1) | instskip(SKIP_1) | instid1(VALU_DEP_2)
	v_add_f32_e32 v108, v108, v114
	v_cvt_i32_f32_e32 v114, v115
	v_exp_f32_e32 v108, v108
	s_waitcnt_depctr 0xfff
	v_ldexp_f32 v108, v108, v114
	s_delay_alu instid0(VALU_DEP_1) | instskip(SKIP_1) | instid1(VALU_DEP_1)
	v_cndmask_b32_e64 v108, 0, v108, s7
	v_cmp_nlt_f32_e64 s7, 0x42b17218, v6
	v_cndmask_b32_e64 v173, 0x7f800000, v108, s7
	v_cmp_ngt_f32_e64 s7, 0xc2ce8ed0, v109
	ds_bpermute_b32 v108, v172, v173
	v_cndmask_b32_e64 v5, v5, v173, s6
	v_cndmask_b32_e64 v6, v110, v173, s5
	s_waitcnt lgkmcnt(0)
	s_delay_alu instid0(VALU_DEP_1) | instskip(NEXT) | instid1(VALU_DEP_3)
	v_dual_add_f32 v1, v173, v1 :: v_dual_cndmask_b32 v6, v6, v108
	v_cndmask_b32_e64 v5, v5, v108, s4
	s_delay_alu instid0(VALU_DEP_2) | instskip(NEXT) | instid1(VALU_DEP_2)
	v_cvt_f16_f32_e32 v108, v6
	v_cvt_f16_f32_e32 v110, v5
	s_delay_alu instid0(VALU_DEP_1) | instskip(SKIP_1) | instid1(VALU_DEP_1)
	v_pack_b32_f16 v108, v108, v110
	v_mul_f32_e32 v110, 0x3fb8aa3b, v109
	v_fma_f32 v114, 0x3fb8aa3b, v109, -v110
	v_rndne_f32_e32 v115, v110
	s_delay_alu instid0(VALU_DEP_2) | instskip(NEXT) | instid1(VALU_DEP_2)
	v_fmac_f32_e32 v114, 0x32a5705f, v109
	v_sub_f32_e32 v110, v110, v115
	s_delay_alu instid0(VALU_DEP_1) | instskip(SKIP_1) | instid1(VALU_DEP_2)
	v_add_f32_e32 v110, v110, v114
	v_cvt_i32_f32_e32 v114, v115
	v_exp_f32_e32 v110, v110
	s_waitcnt_depctr 0xfff
	v_ldexp_f32 v110, v110, v114
	s_delay_alu instid0(VALU_DEP_1) | instskip(SKIP_1) | instid1(VALU_DEP_1)
	v_cndmask_b32_e64 v110, 0, v110, s7
	v_cmp_nlt_f32_e64 s7, 0x42b17218, v109
	v_cndmask_b32_e64 v200, 0x7f800000, v110, s7
	v_cmp_ngt_f32_e64 s7, 0xc2ce8ed0, v7
	ds_bpermute_b32 v109, v172, v200
	v_cndmask_b32_e64 v5, v5, v200, s6
	v_add_f32_e32 v1, v200, v1
	v_cndmask_b32_e64 v6, v6, v200, s5
	s_waitcnt lgkmcnt(0)
	s_delay_alu instid0(VALU_DEP_1) | instskip(SKIP_1) | instid1(VALU_DEP_2)
	v_cndmask_b32_e32 v6, v6, v109, vcc_lo
	v_cndmask_b32_e64 v5, v5, v109, s4
	v_cvt_f16_f32_e32 v109, v6
	s_delay_alu instid0(VALU_DEP_2) | instskip(NEXT) | instid1(VALU_DEP_1)
	v_cvt_f16_f32_e32 v110, v5
	v_pack_b32_f16 v109, v109, v110
	v_mul_f32_e32 v110, 0x3fb8aa3b, v7
	s_delay_alu instid0(VALU_DEP_1) | instskip(SKIP_1) | instid1(VALU_DEP_2)
	v_fma_f32 v114, 0x3fb8aa3b, v7, -v110
	v_rndne_f32_e32 v115, v110
	v_fmac_f32_e32 v114, 0x32a5705f, v7
	s_delay_alu instid0(VALU_DEP_2) | instskip(NEXT) | instid1(VALU_DEP_1)
	v_sub_f32_e32 v110, v110, v115
	v_add_f32_e32 v110, v110, v114
	v_cvt_i32_f32_e32 v114, v115
	s_delay_alu instid0(VALU_DEP_2) | instskip(SKIP_2) | instid1(VALU_DEP_1)
	v_exp_f32_e32 v110, v110
	s_waitcnt_depctr 0xfff
	v_ldexp_f32 v110, v110, v114
	v_cndmask_b32_e64 v110, 0, v110, s7
	v_cmp_nlt_f32_e64 s7, 0x42b17218, v7
	s_delay_alu instid0(VALU_DEP_1) | instskip(SKIP_4) | instid1(VALU_DEP_1)
	v_cndmask_b32_e64 v7, 0x7f800000, v110, s7
	ds_bpermute_b32 v110, v172, v7
	v_cndmask_b32_e64 v5, v5, v7, s6
	v_cndmask_b32_e64 v6, v6, v7, s5
	s_waitcnt lgkmcnt(0)
	v_dual_add_f32 v1, v7, v1 :: v_dual_cndmask_b32 v6, v6, v110
	s_delay_alu instid0(VALU_DEP_3) | instskip(NEXT) | instid1(VALU_DEP_2)
	v_cndmask_b32_e64 v5, v5, v110, s4
	v_cvt_f16_f32_e32 v110, v6
	s_delay_alu instid0(VALU_DEP_2) | instskip(NEXT) | instid1(VALU_DEP_1)
	v_cvt_f16_f32_e32 v114, v5
	v_pack_b32_f16 v110, v110, v114
	v_mul_f32_e32 v114, 0x3fb8aa3b, v111
	s_delay_alu instid0(VALU_DEP_1) | instskip(SKIP_1) | instid1(VALU_DEP_1)
	v_fma_f32 v115, 0x3fb8aa3b, v111, -v114
	v_rndne_f32_e32 v116, v114
	v_dual_sub_f32 v114, v114, v116 :: v_dual_fmac_f32 v115, 0x32a5705f, v111
	v_cmp_ngt_f32_e64 s7, 0xc2ce8ed0, v111
	s_delay_alu instid0(VALU_DEP_2) | instskip(SKIP_1) | instid1(VALU_DEP_2)
	v_add_f32_e32 v114, v114, v115
	v_cvt_i32_f32_e32 v115, v116
	v_exp_f32_e32 v114, v114
	s_waitcnt_depctr 0xfff
	v_ldexp_f32 v114, v114, v115
	s_delay_alu instid0(VALU_DEP_1) | instskip(SKIP_1) | instid1(VALU_DEP_1)
	v_cndmask_b32_e64 v114, 0, v114, s7
	v_cmp_nlt_f32_e64 s7, 0x42b17218, v111
	v_cndmask_b32_e64 v229, 0x7f800000, v114, s7
	ds_bpermute_b32 v111, v172, v229
	v_cndmask_b32_e64 v5, v5, v229, s6
	v_cndmask_b32_e64 v6, v6, v229, s5
	s_waitcnt lgkmcnt(0)
	s_delay_alu instid0(VALU_DEP_1) | instskip(NEXT) | instid1(VALU_DEP_3)
	v_cndmask_b32_e32 v6, v6, v111, vcc_lo
	v_cndmask_b32_e64 v5, v5, v111, s4
	s_delay_alu instid0(VALU_DEP_2) | instskip(NEXT) | instid1(VALU_DEP_2)
	v_cvt_f16_f32_e32 v6, v6
	v_cvt_f16_f32_e32 v5, v5
	s_delay_alu instid0(VALU_DEP_1) | instskip(SKIP_1) | instid1(VALU_DEP_1)
	v_pack_b32_f16 v111, v6, v5
	v_sub_f32_e32 v5, v147, v218
	v_mul_f32_e32 v6, 0x3fb8aa3b, v5
	v_cmp_ngt_f32_e32 vcc_lo, 0xc2ce8ed0, v5
	s_delay_alu instid0(VALU_DEP_2) | instskip(SKIP_1) | instid1(VALU_DEP_2)
	v_fma_f32 v114, 0x3fb8aa3b, v5, -v6
	v_rndne_f32_e32 v115, v6
	v_fmac_f32_e32 v114, 0x32a5705f, v5
	s_delay_alu instid0(VALU_DEP_2) | instskip(NEXT) | instid1(VALU_DEP_1)
	v_sub_f32_e32 v6, v6, v115
	v_add_f32_e32 v6, v6, v114
	v_cvt_i32_f32_e32 v114, v115
	s_delay_alu instid0(VALU_DEP_2) | instskip(SKIP_3) | instid1(VALU_DEP_2)
	v_exp_f32_e32 v6, v6
	s_waitcnt_depctr 0xfff
	v_ldexp_f32 v6, v6, v114
	v_add_nc_u32_e32 v114, 0x400, v243
	v_cndmask_b32_e32 v6, 0, v6, vcc_lo
	v_cmp_nlt_f32_e32 vcc_lo, 0x42b17218, v5
	s_delay_alu instid0(VALU_DEP_2) | instskip(SKIP_1) | instid1(VALU_DEP_2)
	v_cndmask_b32_e32 v6, 0x7f800000, v6, vcc_lo
	v_cmp_le_f32_e32 vcc_lo, 0xc1a00000, v5
	v_cndmask_b32_e32 v177, 0, v6, vcc_lo
	ds_load_2addr_b32 v[5:6], v243 offset1:16
	ds_load_2addr_b32 v[147:148], v243 offset0:68 offset1:84
	ds_load_2addr_b32 v[198:199], v243 offset0:136 offset1:152
	;; [unrolled: 1-line block ×13, first 2 shown]
	ds_load_b32 v238, v186 offset:2176
	ds_load_b32 v196, v186 offset:3264
	;; [unrolled: 1-line block ×8, first 2 shown]
	ds_load_2addr_b32 v[201:202], v114 offset0:100 offset1:116
	ds_load_2addr_b32 v[163:164], v114 offset0:168 offset1:184
	;; [unrolled: 1-line block ×3, first 2 shown]
	v_add_nc_u32_e32 v114, 0x1000, v243
	ds_load_2addr_b32 v[165:166], v126 offset0:132 offset1:148
	ds_load_2addr_b32 v[167:168], v114 offset0:12 offset1:28
	;; [unrolled: 1-line block ×3, first 2 shown]
	v_cvt_f16_f32_e64 v194, v177
	ds_load_2addr_b32 v[114:115], v243 offset0:32 offset1:48
	ds_load_2addr_b32 v[116:117], v243 offset0:100 offset1:116
	;; [unrolled: 1-line block ×7, first 2 shown]
	v_add_co_u32 v161, vcc_lo, v161, 64
	v_add_co_ci_u32_e32 v162, vcc_lo, 0, v162, vcc_lo
	v_add_co_u32 v193, vcc_lo, v193, s60
	v_pk_mul_f16 v32, v194, v32 op_sel_hi:[0,1]
	v_pk_mul_f16 v33, v194, v33 op_sel_hi:[0,1]
	;; [unrolled: 1-line block ×32, first 2 shown]
	ds_load_b32 v194, v188 offset:2176
	ds_load_b32 v130, v188 offset:3264
	v_add_co_ci_u32_e32 v195, vcc_lo, s61, v195, vcc_lo
	v_add_co_u32 v197, vcc_lo, v197, s60
	v_add_co_ci_u32_e32 v221, vcc_lo, s61, v221, vcc_lo
	v_add_co_u32 v169, vcc_lo, v169, s60
	s_waitcnt lgkmcnt(35)
	v_perm_b32 v230, v147, v5, 0x5040100
	s_waitcnt lgkmcnt(33)
	v_perm_b32 v231, v225, v198, 0x5040100
	;; [unrolled: 2-line block ×8, first 2 shown]
	v_add_co_ci_u32_e32 v170, vcc_lo, s61, v170, vcc_lo
	v_add_co_u32 v171, vcc_lo, v171, s60
	v_add_co_ci_u32_e32 v174, vcc_lo, s61, v174, vcc_lo
	s_delay_alu instid0(VALU_DEP_4)
	v_wmma_f16_16x16x16_f16 v[32:39], v[230:237], v[104:111], v[32:39]
	v_perm_b32 v230, v148, v6, 0x5040100
	v_perm_b32 v231, v226, v199, 0x5040100
	s_waitcnt lgkmcnt(14)
	v_perm_b32 v232, v201, v128, 0x5040100
	s_waitcnt lgkmcnt(12)
	v_perm_b32 v233, v223, v163, 0x5040100
	v_perm_b32 v234, v254, v238, 0x5040100
	;; [unrolled: 1-line block ×3, first 2 shown]
	s_waitcnt lgkmcnt(11)
	v_perm_b32 v236, v165, v196, 0x5040100
	s_waitcnt lgkmcnt(9)
	v_perm_b32 v237, v167, v191, 0x5040100
	v_add_co_u32 v175, vcc_lo, v175, s60
	v_add_co_ci_u32_e32 v176, vcc_lo, s61, v176, vcc_lo
	v_add_co_u32 v146, vcc_lo, v146, s60
	s_delay_alu instid0(VALU_DEP_4)
	v_wmma_f16_16x16x16_f16 v[24:31], v[230:237], v[104:111], v[24:31]
	s_waitcnt lgkmcnt(7)
	v_perm_b32 v230, v116, v114, 0x5040100
	s_waitcnt lgkmcnt(5)
	v_perm_b32 v231, v120, v118, 0x5040100
	v_perm_b32 v232, v202, v183, 0x5040100
	;; [unrolled: 1-line block ×3, first 2 shown]
	s_waitcnt lgkmcnt(4)
	v_perm_b32 v234, v122, v181, 0x5040100
	s_waitcnt lgkmcnt(2)
	v_perm_b32 v235, v126, v124, 0x5040100
	v_perm_b32 v236, v166, v206, 0x5040100
	;; [unrolled: 1-line block ×3, first 2 shown]
	v_add_co_ci_u32_e32 v112, vcc_lo, s61, v112, vcc_lo
	v_add_co_u32 v113, vcc_lo, v113, s60
	v_add_co_ci_u32_e32 v154, vcc_lo, s61, v154, vcc_lo
	v_add_co_u32 v153, vcc_lo, v153, s60
	v_wmma_f16_16x16x16_f16 v[16:23], v[230:237], v[104:111], v[16:23]
	v_perm_b32 v230, v117, v115, 0x5040100
	v_perm_b32 v231, v121, v119, 0x5040100
	;; [unrolled: 1-line block ×4, first 2 shown]
	s_waitcnt lgkmcnt(1)
	v_perm_b32 v234, v123, v194, 0x5040100
	v_perm_b32 v235, v127, v125, 0x5040100
	s_waitcnt lgkmcnt(0)
	v_perm_b32 v236, v239, v130, 0x5040100
	v_perm_b32 v237, v129, v241, 0x5040100
	v_add_co_ci_u32_e32 v214, vcc_lo, s61, v214, vcc_lo
	v_add_co_u32 v216, vcc_lo, v216, s62
	v_add_co_ci_u32_e32 v217, vcc_lo, s63, v217, vcc_lo
	s_delay_alu instid0(VALU_DEP_4)
	v_wmma_f16_16x16x16_f16 v[8:15], v[230:237], v[104:111], v[8:15]
	v_perm_b32 v232, v156, v155, 0x7060302
	v_perm_b32 v236, v158, v157, 0x7060302
	;; [unrolled: 1-line block ×8, first 2 shown]
	v_add_co_u32 v219, vcc_lo, v219, s62
	v_add_co_ci_u32_e32 v211, vcc_lo, s63, v211, vcc_lo
	v_add_co_u32 v213, vcc_lo, v213, s62
	s_delay_alu instid0(VALU_DEP_4)
	v_wmma_f16_16x16x16_f16 v[32:39], v[230:237], v[104:111], v[32:39] op_sel:[0,0,1]
	v_perm_b32 v230, v148, v6, 0x7060302
	v_perm_b32 v231, v226, v199, 0x7060302
	;; [unrolled: 1-line block ×8, first 2 shown]
	v_add_co_ci_u32_e32 v215, vcc_lo, s63, v215, vcc_lo
	v_add_co_u32 v222, vcc_lo, v222, s62
	v_add_co_ci_u32_e32 v152, vcc_lo, s63, v152, vcc_lo
	v_add_co_u32 v208, vcc_lo, v208, s62
	v_wmma_f16_16x16x16_f16 v[24:31], v[230:237], v[104:111], v[24:31] op_sel:[0,0,1]
	v_perm_b32 v233, v224, v164, 0x7060302
	v_perm_b32 v237, v168, v192, 0x7060302
	;; [unrolled: 1-line block ×8, first 2 shown]
	v_add_co_ci_u32_e32 v210, vcc_lo, s63, v210, vcc_lo
	v_add_co_u32 v212, vcc_lo, v212, s62
	v_add_co_ci_u32_e32 v220, vcc_lo, s63, v220, vcc_lo
	s_delay_alu instid0(VALU_DEP_4)
	v_wmma_f16_16x16x16_f16 v[16:23], v[230:237], v[104:111], v[16:23] op_sel:[0,0,1]
	v_perm_b32 v230, v117, v115, 0x7060302
	v_perm_b32 v231, v121, v119, 0x7060302
	;; [unrolled: 1-line block ×8, first 2 shown]
	v_add_f32_e32 v147, v229, v1
	v_add_co_u32 v151, vcc_lo, v151, s62
	v_add_co_ci_u32_e32 v205, vcc_lo, s63, v205, vcc_lo
	s_delay_alu instid0(VALU_DEP_3)
	v_fmac_f32_e32 v147, v150, v177
	v_add_co_u32 v207, vcc_lo, v207, s62
	v_wmma_f16_16x16x16_f16 v[8:15], v[230:237], v[104:111], v[8:15] op_sel:[0,0,1]
	v_add_co_ci_u32_e32 v209, vcc_lo, s63, v209, vcc_lo
	s_barrier
	buffer_gl0_inv
	s_cbranch_scc0 .LBB25_277
; %bb.275:                              ;   in Loop: Header=BB25_242 Depth=2
	v_dual_mov_b32 v150, v147 :: v_dual_mov_b32 v147, v218
	s_and_saveexec_b32 s4, s0
	s_cbranch_execnz .LBB25_241
	s_branch .LBB25_242
.LBB25_276:                             ;   in Loop: Header=BB25_10 Depth=1
	v_dual_mov_b32 v147, 0 :: v_dual_mov_b32 v218, 0xfeffffff
	v_dual_mov_b32 v38, 0 :: v_dual_mov_b32 v37, 0
	;; [unrolled: 1-line block ×16, first 2 shown]
	v_mov_b32_e32 v8, 0
.LBB25_277:                             ;   in Loop: Header=BB25_10 Depth=1
	s_lshl_b32 s56, s67, 5
	s_and_saveexec_b32 s4, s0
	s_cbranch_execz .LBB25_279
; %bb.278:                              ;   in Loop: Header=BB25_10 Depth=1
	scratch_load_b32 v1, off, off offset:104 ; 4-byte Folded Reload
	s_lshl_b64 s[6:7], s[56:57], 1
	s_clause 0x1
	scratch_load_b32 v4, off, off offset:96
	scratch_load_b32 v5, off, off offset:192
	s_waitcnt vmcnt(2)
	v_add_nc_u32_e32 v1, s91, v1
	s_waitcnt vmcnt(0)
	v_lshlrev_b32_e32 v5, 1, v5
	s_delay_alu instid0(VALU_DEP_2) | instskip(NEXT) | instid1(VALU_DEP_1)
	v_lshl_or_b32 v1, v1, 1, v178
	v_mul_hi_u32 v2, s12, v1
	s_delay_alu instid0(VALU_DEP_1) | instskip(NEXT) | instid1(VALU_DEP_1)
	v_add_nc_u32_e32 v2, v1, v2
	v_lshrrev_b32_e32 v2, s13, v2
	s_delay_alu instid0(VALU_DEP_1) | instskip(NEXT) | instid1(VALU_DEP_1)
	v_mul_lo_u32 v2, v2, s8
	v_sub_nc_u32_e32 v3, v1, v2
	s_delay_alu instid0(VALU_DEP_1)
	v_mad_i64_i32 v[1:2], null, v3, s40, 0
	scratch_load_b32 v3, off, off offset:92 ; 4-byte Folded Reload
	v_lshlrev_b64 v[1:2], 1, v[1:2]
	s_waitcnt vmcnt(0)
	v_add_co_u32 v3, vcc_lo, v3, s6
	v_add_co_ci_u32_e32 v4, vcc_lo, s7, v4, vcc_lo
	s_delay_alu instid0(VALU_DEP_2) | instskip(NEXT) | instid1(VALU_DEP_2)
	v_add_co_u32 v1, vcc_lo, v3, v1
	v_add_co_ci_u32_e32 v2, vcc_lo, v4, v2, vcc_lo
	s_delay_alu instid0(VALU_DEP_2) | instskip(NEXT) | instid1(VALU_DEP_2)
	v_add_co_u32 v1, vcc_lo, v1, v5
	v_add_co_ci_u32_e32 v2, vcc_lo, 0, v2, vcc_lo
	global_load_b32 v1, v[1:2], off
	scratch_load_b32 v2, off, off offset:76 ; 4-byte Folded Reload
	s_waitcnt vmcnt(0)
	ds_store_b32 v2, v1 offset:8704
.LBB25_279:                             ;   in Loop: Header=BB25_10 Depth=1
	s_or_b32 exec_lo, exec_lo, s4
	scratch_load_b32 v1, off, off           ; 4-byte Folded Reload
	s_mul_i32 s5, s56, s35
	s_mul_hi_u32 s6, s56, s34
	s_mul_i32 s4, s56, s34
	s_add_i32 s5, s6, s5
	v_mov_b32_e32 v7, v0
	s_lshl_b64 s[4:5], s[4:5], 2
	s_delay_alu instid0(SALU_CYCLE_1)
	s_add_u32 s4, s92, s4
	s_addc_u32 s5, s93, s5
	s_waitcnt vmcnt(0)
	v_lshlrev_b32_e32 v112, 2, v1
	scratch_load_b64 v[1:2], off, off offset:68 ; 8-byte Folded Reload
	s_waitcnt vmcnt(0)
	v_add_co_u32 v1, vcc_lo, s4, v1
	v_add_co_ci_u32_e32 v2, vcc_lo, s5, v2, vcc_lo
	s_delay_alu instid0(VALU_DEP_2) | instskip(NEXT) | instid1(VALU_DEP_2)
	v_add_co_u32 v1, vcc_lo, v1, v112
	v_add_co_ci_u32_e32 v2, vcc_lo, 0, v2, vcc_lo
	v_add_co_u32 v3, vcc_lo, s4, v132
	v_add_co_ci_u32_e32 v4, vcc_lo, s5, v133, vcc_lo
	s_delay_alu instid0(VALU_DEP_2) | instskip(NEXT) | instid1(VALU_DEP_2)
	v_add_co_u32 v5, vcc_lo, v3, v112
	v_add_co_ci_u32_e32 v6, vcc_lo, 0, v4, vcc_lo
	s_clause 0x1
	global_load_b128 v[1:4], v[1:2], off
	global_load_b128 v[104:107], v[5:6], off
	s_waitcnt vmcnt(1)
	ds_store_b128 v184, v[1:4]
	s_waitcnt vmcnt(0)
	ds_store_b128 v245, v[104:107]
	v_add_co_u32 v1, vcc_lo, s4, v134
	v_add_co_ci_u32_e32 v2, vcc_lo, s5, v135, vcc_lo
	s_delay_alu instid0(VALU_DEP_2) | instskip(NEXT) | instid1(VALU_DEP_2)
	v_add_co_u32 v1, vcc_lo, v1, v112
	v_add_co_ci_u32_e32 v2, vcc_lo, 0, v2, vcc_lo
	v_add_co_u32 v3, vcc_lo, s4, v136
	v_add_co_ci_u32_e32 v4, vcc_lo, s5, v137, vcc_lo
	s_delay_alu instid0(VALU_DEP_2) | instskip(NEXT) | instid1(VALU_DEP_2)
	v_add_co_u32 v5, vcc_lo, v3, v112
	v_add_co_ci_u32_e32 v6, vcc_lo, 0, v4, vcc_lo
	s_clause 0x1
	global_load_b128 v[1:4], v[1:2], off
	global_load_b128 v[104:107], v[5:6], off
	s_waitcnt vmcnt(1)
	ds_store_b128 v246, v[1:4]
	s_waitcnt vmcnt(0)
	ds_store_b128 v247, v[104:107]
	;; [unrolled: 17-line block ×3, first 2 shown]
	v_add_co_u32 v1, vcc_lo, s4, v142
	v_add_co_ci_u32_e32 v2, vcc_lo, s5, v143, vcc_lo
	s_delay_alu instid0(VALU_DEP_2) | instskip(NEXT) | instid1(VALU_DEP_2)
	v_add_co_u32 v1, vcc_lo, v1, v112
	v_add_co_ci_u32_e32 v2, vcc_lo, 0, v2, vcc_lo
	v_add_co_u32 v3, vcc_lo, s4, v144
	v_add_co_ci_u32_e32 v4, vcc_lo, s5, v145, vcc_lo
	s_delay_alu instid0(VALU_DEP_2) | instskip(NEXT) | instid1(VALU_DEP_2)
	v_add_co_u32 v5, vcc_lo, v3, v112
	v_add_co_ci_u32_e32 v6, vcc_lo, 0, v4, vcc_lo
	s_clause 0x1
	global_load_b128 v[1:4], v[1:2], off
	global_load_b128 v[104:107], v[5:6], off
	v_mov_b32_e32 v5, v0
	v_mov_b32_e32 v6, v0
	s_waitcnt vmcnt(1)
	ds_store_b128 v250, v[1:4]
	s_waitcnt vmcnt(0)
	ds_store_b128 v251, v[104:107]
	v_mov_b32_e32 v1, v0
	s_waitcnt lgkmcnt(0)
	s_barrier
	buffer_gl0_inv
	ds_load_b128 v[207:210], v182
	ds_load_b128 v[211:214], v182 offset:16
	v_mov_b32_e32 v2, v0
	v_mov_b32_e32 v3, v0
	v_mov_b32_e32 v4, v0
	v_dual_mov_b32 v111, v7 :: v_dual_mov_b32 v110, v6
	v_mov_b32_e32 v109, v5
	s_delay_alu instid0(VALU_DEP_4) | instskip(NEXT) | instid1(VALU_DEP_4)
	v_dual_mov_b32 v107, v3 :: v_dual_mov_b32 v106, v2
	v_dual_mov_b32 v108, v4 :: v_dual_mov_b32 v105, v1
	v_mov_b32_e32 v104, v0
                                        ; implicit-def: $vgpr3
	s_waitcnt lgkmcnt(0)
	s_delay_alu instid0(VALU_DEP_1)
	v_wmma_f32_16x16x16_f16 v[104:111], v[207:214], v[80:87], v[104:111]
	ds_load_b128 v[80:83], v182 offset:32
	ds_load_b128 v[84:87], v182 offset:48
	s_waitcnt lgkmcnt(0)
	v_wmma_f32_16x16x16_f16 v[104:111], v[80:87], v[40:47], v[104:111]
	ds_load_b128 v[40:43], v182 offset:64
	ds_load_b128 v[44:47], v182 offset:80
	s_waitcnt lgkmcnt(0)
	;; [unrolled: 4-line block ×7, first 2 shown]
	s_barrier
	buffer_gl0_inv
	v_wmma_f32_16x16x16_f16 v[104:111], v[40:47], v[96:103], v[104:111]
	s_delay_alu instid0(VALU_DEP_1) | instskip(NEXT) | instid1(VALU_DEP_1)
	v_cmp_ngt_f32_e64 s4, 0x3f200000, |v104|
	s_and_saveexec_b32 s5, s4
	s_delay_alu instid0(SALU_CYCLE_1)
	s_xor_b32 s4, exec_lo, s5
	s_cbranch_execz .LBB25_281
; %bb.280:                              ;   in Loop: Header=BB25_10 Depth=1
	v_add_f32_e64 v1, |v104|, |v104|
	s_delay_alu instid0(VALU_DEP_1) | instskip(SKIP_1) | instid1(VALU_DEP_2)
	v_mul_f32_e32 v2, 0x3fb8aa3b, v1
	v_cmp_ngt_f32_e32 vcc_lo, 0xc2ce8ed0, v1
	v_rndne_f32_e32 v3, v2
	v_fma_f32 v4, 0x3fb8aa3b, v1, -v2
	s_delay_alu instid0(VALU_DEP_2) | instskip(NEXT) | instid1(VALU_DEP_2)
	v_sub_f32_e32 v2, v2, v3
	v_fmac_f32_e32 v4, 0x32a5705f, v1
	v_cvt_i32_f32_e32 v3, v3
	s_delay_alu instid0(VALU_DEP_2) | instskip(NEXT) | instid1(VALU_DEP_1)
	v_add_f32_e32 v2, v2, v4
	v_exp_f32_e32 v2, v2
	s_waitcnt_depctr 0xfff
	v_ldexp_f32 v2, v2, v3
	s_delay_alu instid0(VALU_DEP_1) | instskip(SKIP_1) | instid1(VALU_DEP_2)
	v_cndmask_b32_e32 v2, 0, v2, vcc_lo
	v_cmp_nlt_f32_e32 vcc_lo, 0x42b17218, v1
	v_cndmask_b32_e32 v1, 0x7f800000, v2, vcc_lo
	s_delay_alu instid0(VALU_DEP_1) | instskip(NEXT) | instid1(VALU_DEP_1)
	v_add_f32_e32 v1, 1.0, v1
	v_rcp_f32_e32 v1, v1
	s_waitcnt_depctr 0xfff
	v_fma_f32 v3, v1, -2.0, 1.0
.LBB25_281:                             ;   in Loop: Header=BB25_10 Depth=1
	s_and_not1_saveexec_b32 s4, s4
; %bb.282:                              ;   in Loop: Header=BB25_10 Depth=1
	v_mul_f32_e32 v1, v104, v104
	s_delay_alu instid0(VALU_DEP_1) | instskip(NEXT) | instid1(VALU_DEP_1)
	v_fmaak_f32 v2, s41, v1, 0x3ca908c9
	v_fmaak_f32 v2, v1, v2, 0xbd5c1c4e
	s_delay_alu instid0(VALU_DEP_1) | instskip(NEXT) | instid1(VALU_DEP_1)
	v_fmaak_f32 v2, v1, v2, 0x3e088382
	v_fmaak_f32 v2, v1, v2, 0xbeaaaa99
	s_delay_alu instid0(VALU_DEP_1) | instskip(NEXT) | instid1(VALU_DEP_1)
	v_mul_f32_e64 v2, |v104|, v2
	v_fma_f32 v3, v1, v2, |v104|
; %bb.283:                              ;   in Loop: Header=BB25_10 Depth=1
	s_or_b32 exec_lo, exec_lo, s4
	v_cmp_ngt_f32_e64 s4, 0x3f200000, |v105|
                                        ; implicit-def: $vgpr4
	s_delay_alu instid0(VALU_DEP_1) | instskip(NEXT) | instid1(SALU_CYCLE_1)
	s_and_saveexec_b32 s5, s4
	s_xor_b32 s4, exec_lo, s5
	s_cbranch_execz .LBB25_285
; %bb.284:                              ;   in Loop: Header=BB25_10 Depth=1
	v_add_f32_e64 v1, |v105|, |v105|
	s_delay_alu instid0(VALU_DEP_1) | instskip(SKIP_1) | instid1(VALU_DEP_2)
	v_mul_f32_e32 v2, 0x3fb8aa3b, v1
	v_cmp_ngt_f32_e32 vcc_lo, 0xc2ce8ed0, v1
	v_rndne_f32_e32 v4, v2
	v_fma_f32 v5, 0x3fb8aa3b, v1, -v2
	s_delay_alu instid0(VALU_DEP_1) | instskip(SKIP_1) | instid1(VALU_DEP_2)
	v_dual_sub_f32 v2, v2, v4 :: v_dual_fmac_f32 v5, 0x32a5705f, v1
	v_cvt_i32_f32_e32 v4, v4
	v_add_f32_e32 v2, v2, v5
	s_delay_alu instid0(VALU_DEP_1) | instskip(SKIP_2) | instid1(VALU_DEP_1)
	v_exp_f32_e32 v2, v2
	s_waitcnt_depctr 0xfff
	v_ldexp_f32 v2, v2, v4
	v_cndmask_b32_e32 v2, 0, v2, vcc_lo
	v_cmp_nlt_f32_e32 vcc_lo, 0x42b17218, v1
	s_delay_alu instid0(VALU_DEP_2) | instskip(NEXT) | instid1(VALU_DEP_1)
	v_cndmask_b32_e32 v1, 0x7f800000, v2, vcc_lo
	v_add_f32_e32 v1, 1.0, v1
	s_delay_alu instid0(VALU_DEP_1)
	v_rcp_f32_e32 v1, v1
	s_waitcnt_depctr 0xfff
	v_fma_f32 v4, v1, -2.0, 1.0
.LBB25_285:                             ;   in Loop: Header=BB25_10 Depth=1
	s_and_not1_saveexec_b32 s4, s4
; %bb.286:                              ;   in Loop: Header=BB25_10 Depth=1
	v_mul_f32_e32 v1, v105, v105
	s_delay_alu instid0(VALU_DEP_1) | instskip(NEXT) | instid1(VALU_DEP_1)
	v_fmaak_f32 v2, s41, v1, 0x3ca908c9
	v_fmaak_f32 v2, v1, v2, 0xbd5c1c4e
	s_delay_alu instid0(VALU_DEP_1) | instskip(NEXT) | instid1(VALU_DEP_1)
	v_fmaak_f32 v2, v1, v2, 0x3e088382
	v_fmaak_f32 v2, v1, v2, 0xbeaaaa99
	s_delay_alu instid0(VALU_DEP_1) | instskip(NEXT) | instid1(VALU_DEP_1)
	v_mul_f32_e64 v2, |v105|, v2
	v_fma_f32 v4, v1, v2, |v105|
; %bb.287:                              ;   in Loop: Header=BB25_10 Depth=1
	s_or_b32 exec_lo, exec_lo, s4
	v_cmp_ngt_f32_e64 s4, 0x3f200000, |v106|
                                        ; implicit-def: $vgpr5
	s_delay_alu instid0(VALU_DEP_1) | instskip(NEXT) | instid1(SALU_CYCLE_1)
	s_and_saveexec_b32 s5, s4
	s_xor_b32 s4, exec_lo, s5
	s_cbranch_execz .LBB25_289
; %bb.288:                              ;   in Loop: Header=BB25_10 Depth=1
	v_add_f32_e64 v1, |v106|, |v106|
	s_delay_alu instid0(VALU_DEP_1) | instskip(SKIP_1) | instid1(VALU_DEP_2)
	v_mul_f32_e32 v2, 0x3fb8aa3b, v1
	v_cmp_ngt_f32_e32 vcc_lo, 0xc2ce8ed0, v1
	v_rndne_f32_e32 v5, v2
	v_fma_f32 v6, 0x3fb8aa3b, v1, -v2
	s_delay_alu instid0(VALU_DEP_2) | instskip(NEXT) | instid1(VALU_DEP_2)
	v_sub_f32_e32 v2, v2, v5
	v_fmac_f32_e32 v6, 0x32a5705f, v1
	v_cvt_i32_f32_e32 v5, v5
	s_delay_alu instid0(VALU_DEP_2) | instskip(NEXT) | instid1(VALU_DEP_1)
	v_add_f32_e32 v2, v2, v6
	v_exp_f32_e32 v2, v2
	s_waitcnt_depctr 0xfff
	v_ldexp_f32 v2, v2, v5
	s_delay_alu instid0(VALU_DEP_1) | instskip(SKIP_1) | instid1(VALU_DEP_2)
	v_cndmask_b32_e32 v2, 0, v2, vcc_lo
	v_cmp_nlt_f32_e32 vcc_lo, 0x42b17218, v1
	v_cndmask_b32_e32 v1, 0x7f800000, v2, vcc_lo
	s_delay_alu instid0(VALU_DEP_1) | instskip(NEXT) | instid1(VALU_DEP_1)
	v_add_f32_e32 v1, 1.0, v1
	v_rcp_f32_e32 v1, v1
	s_waitcnt_depctr 0xfff
	v_fma_f32 v5, v1, -2.0, 1.0
.LBB25_289:                             ;   in Loop: Header=BB25_10 Depth=1
	s_and_not1_saveexec_b32 s4, s4
; %bb.290:                              ;   in Loop: Header=BB25_10 Depth=1
	v_mul_f32_e32 v1, v106, v106
	s_delay_alu instid0(VALU_DEP_1) | instskip(NEXT) | instid1(VALU_DEP_1)
	v_fmaak_f32 v2, s41, v1, 0x3ca908c9
	v_fmaak_f32 v2, v1, v2, 0xbd5c1c4e
	s_delay_alu instid0(VALU_DEP_1) | instskip(NEXT) | instid1(VALU_DEP_1)
	v_fmaak_f32 v2, v1, v2, 0x3e088382
	v_fmaak_f32 v2, v1, v2, 0xbeaaaa99
	s_delay_alu instid0(VALU_DEP_1) | instskip(NEXT) | instid1(VALU_DEP_1)
	v_mul_f32_e64 v2, |v106|, v2
	v_fma_f32 v5, v1, v2, |v106|
; %bb.291:                              ;   in Loop: Header=BB25_10 Depth=1
	s_or_b32 exec_lo, exec_lo, s4
	v_cmp_ngt_f32_e64 s4, 0x3f200000, |v107|
                                        ; implicit-def: $vgpr6
	s_delay_alu instid0(VALU_DEP_1) | instskip(NEXT) | instid1(SALU_CYCLE_1)
	s_and_saveexec_b32 s5, s4
	s_xor_b32 s4, exec_lo, s5
	s_cbranch_execz .LBB25_293
; %bb.292:                              ;   in Loop: Header=BB25_10 Depth=1
	v_add_f32_e64 v1, |v107|, |v107|
	s_delay_alu instid0(VALU_DEP_1) | instskip(SKIP_1) | instid1(VALU_DEP_2)
	v_mul_f32_e32 v2, 0x3fb8aa3b, v1
	v_cmp_ngt_f32_e32 vcc_lo, 0xc2ce8ed0, v1
	v_rndne_f32_e32 v6, v2
	v_fma_f32 v7, 0x3fb8aa3b, v1, -v2
	s_delay_alu instid0(VALU_DEP_1) | instskip(SKIP_1) | instid1(VALU_DEP_2)
	v_dual_sub_f32 v2, v2, v6 :: v_dual_fmac_f32 v7, 0x32a5705f, v1
	v_cvt_i32_f32_e32 v6, v6
	v_add_f32_e32 v2, v2, v7
	s_delay_alu instid0(VALU_DEP_1) | instskip(SKIP_2) | instid1(VALU_DEP_1)
	v_exp_f32_e32 v2, v2
	s_waitcnt_depctr 0xfff
	v_ldexp_f32 v2, v2, v6
	v_cndmask_b32_e32 v2, 0, v2, vcc_lo
	v_cmp_nlt_f32_e32 vcc_lo, 0x42b17218, v1
	s_delay_alu instid0(VALU_DEP_2) | instskip(NEXT) | instid1(VALU_DEP_1)
	v_cndmask_b32_e32 v1, 0x7f800000, v2, vcc_lo
	v_add_f32_e32 v1, 1.0, v1
	s_delay_alu instid0(VALU_DEP_1)
	v_rcp_f32_e32 v1, v1
	s_waitcnt_depctr 0xfff
	v_fma_f32 v6, v1, -2.0, 1.0
.LBB25_293:                             ;   in Loop: Header=BB25_10 Depth=1
	s_and_not1_saveexec_b32 s4, s4
; %bb.294:                              ;   in Loop: Header=BB25_10 Depth=1
	v_mul_f32_e32 v1, v107, v107
	s_delay_alu instid0(VALU_DEP_1) | instskip(NEXT) | instid1(VALU_DEP_1)
	v_fmaak_f32 v2, s41, v1, 0x3ca908c9
	v_fmaak_f32 v2, v1, v2, 0xbd5c1c4e
	s_delay_alu instid0(VALU_DEP_1) | instskip(NEXT) | instid1(VALU_DEP_1)
	v_fmaak_f32 v2, v1, v2, 0x3e088382
	v_fmaak_f32 v2, v1, v2, 0xbeaaaa99
	s_delay_alu instid0(VALU_DEP_1) | instskip(NEXT) | instid1(VALU_DEP_1)
	v_mul_f32_e64 v2, |v107|, v2
	v_fma_f32 v6, v1, v2, |v107|
; %bb.295:                              ;   in Loop: Header=BB25_10 Depth=1
	s_or_b32 exec_lo, exec_lo, s4
	v_cmp_ngt_f32_e64 s4, 0x3f200000, |v108|
                                        ; implicit-def: $vgpr7
	s_delay_alu instid0(VALU_DEP_1) | instskip(NEXT) | instid1(SALU_CYCLE_1)
	s_and_saveexec_b32 s5, s4
	s_xor_b32 s4, exec_lo, s5
	s_cbranch_execz .LBB25_297
; %bb.296:                              ;   in Loop: Header=BB25_10 Depth=1
	v_add_f32_e64 v1, |v108|, |v108|
	s_delay_alu instid0(VALU_DEP_1) | instskip(SKIP_1) | instid1(VALU_DEP_2)
	v_mul_f32_e32 v2, 0x3fb8aa3b, v1
	v_cmp_ngt_f32_e32 vcc_lo, 0xc2ce8ed0, v1
	v_rndne_f32_e32 v7, v2
	v_fma_f32 v40, 0x3fb8aa3b, v1, -v2
	s_delay_alu instid0(VALU_DEP_2) | instskip(NEXT) | instid1(VALU_DEP_2)
	v_sub_f32_e32 v2, v2, v7
	v_fmac_f32_e32 v40, 0x32a5705f, v1
	v_cvt_i32_f32_e32 v7, v7
	s_delay_alu instid0(VALU_DEP_2) | instskip(NEXT) | instid1(VALU_DEP_1)
	v_add_f32_e32 v2, v2, v40
	v_exp_f32_e32 v2, v2
	s_waitcnt_depctr 0xfff
	v_ldexp_f32 v2, v2, v7
	s_delay_alu instid0(VALU_DEP_1) | instskip(SKIP_1) | instid1(VALU_DEP_2)
	v_cndmask_b32_e32 v2, 0, v2, vcc_lo
	v_cmp_nlt_f32_e32 vcc_lo, 0x42b17218, v1
	v_cndmask_b32_e32 v1, 0x7f800000, v2, vcc_lo
	s_delay_alu instid0(VALU_DEP_1) | instskip(NEXT) | instid1(VALU_DEP_1)
	v_add_f32_e32 v1, 1.0, v1
	v_rcp_f32_e32 v1, v1
	s_waitcnt_depctr 0xfff
	v_fma_f32 v7, v1, -2.0, 1.0
.LBB25_297:                             ;   in Loop: Header=BB25_10 Depth=1
	s_and_not1_saveexec_b32 s4, s4
; %bb.298:                              ;   in Loop: Header=BB25_10 Depth=1
	v_mul_f32_e32 v1, v108, v108
	s_delay_alu instid0(VALU_DEP_1) | instskip(NEXT) | instid1(VALU_DEP_1)
	v_fmaak_f32 v2, s41, v1, 0x3ca908c9
	v_fmaak_f32 v2, v1, v2, 0xbd5c1c4e
	s_delay_alu instid0(VALU_DEP_1) | instskip(NEXT) | instid1(VALU_DEP_1)
	v_fmaak_f32 v2, v1, v2, 0x3e088382
	v_fmaak_f32 v2, v1, v2, 0xbeaaaa99
	s_delay_alu instid0(VALU_DEP_1) | instskip(NEXT) | instid1(VALU_DEP_1)
	v_mul_f32_e64 v2, |v108|, v2
	v_fma_f32 v7, v1, v2, |v108|
; %bb.299:                              ;   in Loop: Header=BB25_10 Depth=1
	s_or_b32 exec_lo, exec_lo, s4
	v_cmp_ngt_f32_e64 s4, 0x3f200000, |v109|
                                        ; implicit-def: $vgpr40
	s_delay_alu instid0(VALU_DEP_1) | instskip(NEXT) | instid1(SALU_CYCLE_1)
	s_and_saveexec_b32 s5, s4
	s_xor_b32 s4, exec_lo, s5
	s_cbranch_execz .LBB25_301
; %bb.300:                              ;   in Loop: Header=BB25_10 Depth=1
	v_add_f32_e64 v1, |v109|, |v109|
	s_delay_alu instid0(VALU_DEP_1) | instskip(SKIP_1) | instid1(VALU_DEP_2)
	v_mul_f32_e32 v2, 0x3fb8aa3b, v1
	v_cmp_ngt_f32_e32 vcc_lo, 0xc2ce8ed0, v1
	v_rndne_f32_e32 v40, v2
	v_fma_f32 v41, 0x3fb8aa3b, v1, -v2
	s_delay_alu instid0(VALU_DEP_1) | instskip(SKIP_1) | instid1(VALU_DEP_2)
	v_dual_sub_f32 v2, v2, v40 :: v_dual_fmac_f32 v41, 0x32a5705f, v1
	v_cvt_i32_f32_e32 v40, v40
	v_add_f32_e32 v2, v2, v41
	s_delay_alu instid0(VALU_DEP_1) | instskip(SKIP_2) | instid1(VALU_DEP_1)
	v_exp_f32_e32 v2, v2
	s_waitcnt_depctr 0xfff
	v_ldexp_f32 v2, v2, v40
	v_cndmask_b32_e32 v2, 0, v2, vcc_lo
	v_cmp_nlt_f32_e32 vcc_lo, 0x42b17218, v1
	s_delay_alu instid0(VALU_DEP_2) | instskip(NEXT) | instid1(VALU_DEP_1)
	v_cndmask_b32_e32 v1, 0x7f800000, v2, vcc_lo
	v_add_f32_e32 v1, 1.0, v1
	s_delay_alu instid0(VALU_DEP_1)
	v_rcp_f32_e32 v1, v1
	s_waitcnt_depctr 0xfff
	v_fma_f32 v40, v1, -2.0, 1.0
.LBB25_301:                             ;   in Loop: Header=BB25_10 Depth=1
	s_and_not1_saveexec_b32 s4, s4
; %bb.302:                              ;   in Loop: Header=BB25_10 Depth=1
	v_mul_f32_e32 v1, v109, v109
	s_delay_alu instid0(VALU_DEP_1) | instskip(NEXT) | instid1(VALU_DEP_1)
	v_fmaak_f32 v2, s41, v1, 0x3ca908c9
	v_fmaak_f32 v2, v1, v2, 0xbd5c1c4e
	s_delay_alu instid0(VALU_DEP_1) | instskip(NEXT) | instid1(VALU_DEP_1)
	v_fmaak_f32 v2, v1, v2, 0x3e088382
	v_fmaak_f32 v2, v1, v2, 0xbeaaaa99
	s_delay_alu instid0(VALU_DEP_1) | instskip(NEXT) | instid1(VALU_DEP_1)
	v_mul_f32_e64 v2, |v109|, v2
	v_fma_f32 v40, v1, v2, |v109|
; %bb.303:                              ;   in Loop: Header=BB25_10 Depth=1
	s_or_b32 exec_lo, exec_lo, s4
	v_cmp_ngt_f32_e64 s4, 0x3f200000, |v110|
                                        ; implicit-def: $vgpr1
	s_delay_alu instid0(VALU_DEP_1) | instskip(NEXT) | instid1(SALU_CYCLE_1)
	s_and_saveexec_b32 s5, s4
	s_xor_b32 s4, exec_lo, s5
	s_cbranch_execz .LBB25_305
; %bb.304:                              ;   in Loop: Header=BB25_10 Depth=1
	v_add_f32_e64 v1, |v110|, |v110|
	s_delay_alu instid0(VALU_DEP_1) | instskip(SKIP_1) | instid1(VALU_DEP_2)
	v_mul_f32_e32 v2, 0x3fb8aa3b, v1
	v_cmp_ngt_f32_e32 vcc_lo, 0xc2ce8ed0, v1
	v_rndne_f32_e32 v41, v2
	v_fma_f32 v42, 0x3fb8aa3b, v1, -v2
	s_delay_alu instid0(VALU_DEP_2) | instskip(NEXT) | instid1(VALU_DEP_2)
	v_sub_f32_e32 v2, v2, v41
	v_fmac_f32_e32 v42, 0x32a5705f, v1
	v_cvt_i32_f32_e32 v41, v41
	s_delay_alu instid0(VALU_DEP_2) | instskip(NEXT) | instid1(VALU_DEP_1)
	v_add_f32_e32 v2, v2, v42
	v_exp_f32_e32 v2, v2
	s_waitcnt_depctr 0xfff
	v_ldexp_f32 v2, v2, v41
	s_delay_alu instid0(VALU_DEP_1) | instskip(SKIP_1) | instid1(VALU_DEP_2)
	v_cndmask_b32_e32 v2, 0, v2, vcc_lo
	v_cmp_nlt_f32_e32 vcc_lo, 0x42b17218, v1
	v_cndmask_b32_e32 v1, 0x7f800000, v2, vcc_lo
	s_delay_alu instid0(VALU_DEP_1) | instskip(NEXT) | instid1(VALU_DEP_1)
	v_add_f32_e32 v1, 1.0, v1
	v_rcp_f32_e32 v1, v1
	s_waitcnt_depctr 0xfff
	v_fma_f32 v1, v1, -2.0, 1.0
.LBB25_305:                             ;   in Loop: Header=BB25_10 Depth=1
	s_and_not1_saveexec_b32 s4, s4
; %bb.306:                              ;   in Loop: Header=BB25_10 Depth=1
	v_mul_f32_e32 v1, v110, v110
	s_delay_alu instid0(VALU_DEP_1) | instskip(NEXT) | instid1(VALU_DEP_1)
	v_fmaak_f32 v2, s41, v1, 0x3ca908c9
	v_fmaak_f32 v2, v1, v2, 0xbd5c1c4e
	s_delay_alu instid0(VALU_DEP_1) | instskip(NEXT) | instid1(VALU_DEP_1)
	v_fmaak_f32 v2, v1, v2, 0x3e088382
	v_fmaak_f32 v2, v1, v2, 0xbeaaaa99
	s_delay_alu instid0(VALU_DEP_1) | instskip(NEXT) | instid1(VALU_DEP_1)
	v_mul_f32_e64 v2, |v110|, v2
	v_fma_f32 v1, v1, v2, |v110|
; %bb.307:                              ;   in Loop: Header=BB25_10 Depth=1
	s_or_b32 exec_lo, exec_lo, s4
	v_cmp_ngt_f32_e64 s4, 0x3f200000, |v111|
                                        ; implicit-def: $vgpr2
	s_delay_alu instid0(VALU_DEP_1) | instskip(NEXT) | instid1(SALU_CYCLE_1)
	s_and_saveexec_b32 s5, s4
	s_xor_b32 s4, exec_lo, s5
	s_cbranch_execz .LBB25_309
; %bb.308:                              ;   in Loop: Header=BB25_10 Depth=1
	v_add_f32_e64 v2, |v111|, |v111|
	s_delay_alu instid0(VALU_DEP_1) | instskip(SKIP_1) | instid1(VALU_DEP_2)
	v_mul_f32_e32 v41, 0x3fb8aa3b, v2
	v_cmp_ngt_f32_e32 vcc_lo, 0xc2ce8ed0, v2
	v_rndne_f32_e32 v42, v41
	v_fma_f32 v43, 0x3fb8aa3b, v2, -v41
	s_delay_alu instid0(VALU_DEP_2) | instskip(NEXT) | instid1(VALU_DEP_2)
	v_sub_f32_e32 v41, v41, v42
	v_fmac_f32_e32 v43, 0x32a5705f, v2
	v_cvt_i32_f32_e32 v42, v42
	s_delay_alu instid0(VALU_DEP_2) | instskip(NEXT) | instid1(VALU_DEP_1)
	v_add_f32_e32 v41, v41, v43
	v_exp_f32_e32 v41, v41
	s_waitcnt_depctr 0xfff
	v_ldexp_f32 v41, v41, v42
	s_delay_alu instid0(VALU_DEP_1) | instskip(SKIP_1) | instid1(VALU_DEP_2)
	v_cndmask_b32_e32 v41, 0, v41, vcc_lo
	v_cmp_nlt_f32_e32 vcc_lo, 0x42b17218, v2
	v_cndmask_b32_e32 v2, 0x7f800000, v41, vcc_lo
	s_delay_alu instid0(VALU_DEP_1) | instskip(NEXT) | instid1(VALU_DEP_1)
	v_add_f32_e32 v2, 1.0, v2
	v_rcp_f32_e32 v2, v2
	s_waitcnt_depctr 0xfff
	v_fma_f32 v2, v2, -2.0, 1.0
.LBB25_309:                             ;   in Loop: Header=BB25_10 Depth=1
	s_and_not1_saveexec_b32 s4, s4
; %bb.310:                              ;   in Loop: Header=BB25_10 Depth=1
	v_mul_f32_e32 v2, v111, v111
	s_delay_alu instid0(VALU_DEP_1) | instskip(NEXT) | instid1(VALU_DEP_1)
	v_fmaak_f32 v41, s41, v2, 0x3ca908c9
	v_fmaak_f32 v41, v2, v41, 0xbd5c1c4e
	s_delay_alu instid0(VALU_DEP_1) | instskip(NEXT) | instid1(VALU_DEP_1)
	v_fmaak_f32 v41, v2, v41, 0x3e088382
	v_fmaak_f32 v41, v2, v41, 0xbeaaaa99
	s_delay_alu instid0(VALU_DEP_1) | instskip(NEXT) | instid1(VALU_DEP_1)
	v_mul_f32_e64 v41, |v111|, v41
	v_fma_f32 v2, v2, v41, |v111|
; %bb.311:                              ;   in Loop: Header=BB25_10 Depth=1
	s_or_b32 exec_lo, exec_lo, s4
	ds_load_u16 v41, v185 offset:8704
	ds_load_u16 v42, v185 offset:8708
	;; [unrolled: 1-line block ×8, first 2 shown]
	v_bfi_b32 v3, 0x7fffffff, v3, v104
	v_bfi_b32 v4, 0x7fffffff, v4, v105
	;; [unrolled: 1-line block ×8, first 2 shown]
	v_cmp_gt_i32_e32 vcc_lo, 32, v131
	s_mul_i32 s5, s56, s11
	s_mul_hi_u32 s6, s56, s10
	s_mul_i32 s4, s56, s10
	s_waitcnt lgkmcnt(7)
	v_fma_mix_f32 v51, v3, s33, v41 op_sel_hi:[0,0,1]
	s_waitcnt lgkmcnt(6)
	v_fma_mix_f32 v52, v4, s33, v42 op_sel_hi:[0,0,1]
	;; [unrolled: 2-line block ×5, first 2 shown]
	v_dual_add_f32 v3, 0x40051340, v51 :: v_dual_add_f32 v4, 0x40051340, v52
	s_waitcnt lgkmcnt(2)
	v_fma_mix_f32 v54, v40, s33, v46 op_sel_hi:[0,0,1]
	s_waitcnt lgkmcnt(1)
	v_fma_mix_f32 v46, v1, s33, v47 op_sel_hi:[0,0,1]
	;; [unrolled: 2-line block ×3, first 2 shown]
	s_add_i32 s5, s6, s5
	v_max3_f32 v3, v218, v3, v4
	v_dual_add_f32 v4, 0x40051340, v53 :: v_dual_add_f32 v5, 0x40051340, v44
	s_delay_alu instid0(VALU_DEP_3) | instskip(SKIP_2) | instid1(VALU_DEP_3)
	v_dual_add_f32 v1, 0x40051340, v46 :: v_dual_add_f32 v2, 0x40051340, v47
	s_lshl_b64 s[4:5], s[4:5], 2
	v_cmp_eq_u32_e64 s6, 1, v178
	v_max3_f32 v3, v3, v4, v5
	v_dual_add_f32 v4, 0x40051340, v45 :: v_dual_add_f32 v5, 0x40051340, v54
	s_add_u32 s4, s89, s4
	s_addc_u32 s5, s90, s5
	v_add_nc_u32_e32 v87, 0x400, v243
	v_add_nc_u32_e32 v105, 0x800, v243
	v_max3_f32 v3, v3, v4, v5
	v_add_nc_u32_e32 v107, 0xc00, v243
	s_cmp_lg_u64 s[64:65], 0
	s_delay_alu instid0(VALU_DEP_2) | instskip(SKIP_1) | instid1(VALU_DEP_1)
	v_max3_f32 v1, v3, v1, v2
	v_mbcnt_lo_u32_b32 v2, -1, 0
	v_cndmask_b32_e32 v2, v2, v131, vcc_lo
	s_delay_alu instid0(VALU_DEP_1) | instskip(SKIP_3) | instid1(VALU_DEP_1)
	v_lshlrev_b32_e32 v48, 2, v2
	ds_bpermute_b32 v2, v48, v1
	s_waitcnt lgkmcnt(0)
	v_max_f32_e32 v2, v2, v2
	v_max_f32_e32 v49, v1, v2
	s_delay_alu instid0(VALU_DEP_1) | instskip(NEXT) | instid1(VALU_DEP_1)
	v_sub_f32_e32 v1, v218, v49
	v_mul_f32_e32 v2, 0x3fb8aa3b, v1
	v_cmp_ngt_f32_e32 vcc_lo, 0xc2ce8ed0, v1
	s_delay_alu instid0(VALU_DEP_2) | instskip(SKIP_1) | instid1(VALU_DEP_1)
	v_fma_f32 v3, 0x3fb8aa3b, v1, -v2
	v_rndne_f32_e32 v4, v2
	v_dual_fmac_f32 v3, 0x32a5705f, v1 :: v_dual_sub_f32 v2, v2, v4
	s_delay_alu instid0(VALU_DEP_1) | instskip(SKIP_1) | instid1(VALU_DEP_2)
	v_add_f32_e32 v2, v2, v3
	v_cvt_i32_f32_e32 v3, v4
	v_exp_f32_e32 v2, v2
	s_waitcnt_depctr 0xfff
	v_ldexp_f32 v2, v2, v3
	s_delay_alu instid0(VALU_DEP_1) | instskip(SKIP_1) | instid1(VALU_DEP_2)
	v_cndmask_b32_e32 v2, 0, v2, vcc_lo
	v_cmp_nlt_f32_e32 vcc_lo, 0x42b17218, v1
	v_cndmask_b32_e32 v2, 0x7f800000, v2, vcc_lo
	v_cmp_le_f32_e32 vcc_lo, 0xc1a00000, v1
	s_delay_alu instid0(VALU_DEP_2) | instskip(NEXT) | instid1(VALU_DEP_1)
	v_cndmask_b32_e32 v50, 0, v2, vcc_lo
	v_cvt_f16_f32_e32 v40, v50
	s_delay_alu instid0(VALU_DEP_1)
	v_pk_mul_f16 v2, v40, v9 op_sel_hi:[0,1]
	v_pk_mul_f16 v3, v40, v10 op_sel_hi:[0,1]
	scratch_load_b64 v[9:10], off, off offset:4 ; 8-byte Folded Reload
	v_pk_mul_f16 v4, v40, v11 op_sel_hi:[0,1]
	v_pk_mul_f16 v5, v40, v12 op_sel_hi:[0,1]
	scratch_load_b64 v[11:12], off, off offset:12 ; 8-byte Folded Reload
	v_pk_mul_f16 v6, v40, v13 op_sel_hi:[0,1]
	v_pk_mul_f16 v7, v40, v14 op_sel_hi:[0,1]
	;; [unrolled: 1-line block ×28, first 2 shown]
	s_waitcnt vmcnt(1)
	v_add_co_u32 v9, vcc_lo, s4, v9
	v_add_co_ci_u32_e32 v10, vcc_lo, s5, v10, vcc_lo
	s_delay_alu instid0(VALU_DEP_2) | instskip(NEXT) | instid1(VALU_DEP_2)
	v_add_co_u32 v9, vcc_lo, v9, v112
	v_add_co_ci_u32_e32 v10, vcc_lo, 0, v10, vcc_lo
	s_waitcnt vmcnt(0)
	v_add_co_u32 v11, vcc_lo, s4, v11
	v_add_co_ci_u32_e32 v12, vcc_lo, s5, v12, vcc_lo
	s_delay_alu instid0(VALU_DEP_2) | instskip(NEXT) | instid1(VALU_DEP_2)
	v_add_co_u32 v13, vcc_lo, v11, v112
	v_add_co_ci_u32_e32 v14, vcc_lo, 0, v12, vcc_lo
	s_clause 0x1
	global_load_b128 v[9:12], v[9:10], off
	global_load_b128 v[40:43], v[13:14], off
	s_waitcnt vmcnt(1)
	ds_store_b128 v184, v[9:12]
	s_waitcnt vmcnt(0)
	ds_store_b128 v245, v[40:43]
	s_clause 0x1
	scratch_load_b64 v[9:10], off, off offset:20
	scratch_load_b64 v[11:12], off, off offset:28
	s_waitcnt vmcnt(1)
	v_add_co_u32 v9, vcc_lo, s4, v9
	v_add_co_ci_u32_e32 v10, vcc_lo, s5, v10, vcc_lo
	s_delay_alu instid0(VALU_DEP_2) | instskip(NEXT) | instid1(VALU_DEP_2)
	v_add_co_u32 v9, vcc_lo, v9, v112
	v_add_co_ci_u32_e32 v10, vcc_lo, 0, v10, vcc_lo
	s_waitcnt vmcnt(0)
	v_add_co_u32 v11, vcc_lo, s4, v11
	v_add_co_ci_u32_e32 v12, vcc_lo, s5, v12, vcc_lo
	s_delay_alu instid0(VALU_DEP_2) | instskip(NEXT) | instid1(VALU_DEP_2)
	v_add_co_u32 v13, vcc_lo, v11, v112
	v_add_co_ci_u32_e32 v14, vcc_lo, 0, v12, vcc_lo
	s_clause 0x1
	global_load_b128 v[9:12], v[9:10], off
	global_load_b128 v[40:43], v[13:14], off
	s_waitcnt vmcnt(1)
	ds_store_b128 v246, v[9:12]
	s_waitcnt vmcnt(0)
	ds_store_b128 v247, v[40:43]
	s_clause 0x1
	scratch_load_b64 v[9:10], off, off offset:36
	scratch_load_b64 v[11:12], off, off offset:44
	;; [unrolled: 22-line block ×3, first 2 shown]
	s_waitcnt vmcnt(1)
	v_add_co_u32 v9, vcc_lo, s4, v9
	v_add_co_ci_u32_e32 v10, vcc_lo, s5, v10, vcc_lo
	s_delay_alu instid0(VALU_DEP_2) | instskip(NEXT) | instid1(VALU_DEP_2)
	v_add_co_u32 v9, vcc_lo, v9, v112
	v_add_co_ci_u32_e32 v10, vcc_lo, 0, v10, vcc_lo
	s_waitcnt vmcnt(0)
	v_add_co_u32 v11, vcc_lo, s4, v11
	v_add_co_ci_u32_e32 v12, vcc_lo, s5, v12, vcc_lo
	v_cmp_eq_u32_e64 s5, 0, v178
	s_delay_alu instid0(VALU_DEP_3) | instskip(NEXT) | instid1(VALU_DEP_3)
	v_add_co_u32 v13, vcc_lo, v11, v112
	v_add_co_ci_u32_e32 v14, vcc_lo, 0, v12, vcc_lo
	s_clause 0x1
	global_load_b128 v[9:12], v[9:10], off
	global_load_b128 v[40:43], v[13:14], off
	s_waitcnt vmcnt(1)
	ds_store_b128 v250, v[9:12]
	s_waitcnt vmcnt(0)
	ds_store_b128 v251, v[40:43]
	v_sub_f32_e32 v9, v52, v49
	s_waitcnt lgkmcnt(0)
	s_barrier
	buffer_gl0_inv
	v_mul_f32_e32 v10, 0x3fb8aa3b, v9
	v_cmp_ngt_f32_e32 vcc_lo, 0xc2ce8ed0, v9
	s_delay_alu instid0(VALU_DEP_2) | instskip(SKIP_1) | instid1(VALU_DEP_1)
	v_fma_f32 v11, 0x3fb8aa3b, v9, -v10
	v_rndne_f32_e32 v12, v10
	v_dual_fmac_f32 v11, 0x32a5705f, v9 :: v_dual_sub_f32 v10, v10, v12
	v_cvt_i32_f32_e32 v12, v12
	s_delay_alu instid0(VALU_DEP_2) | instskip(NEXT) | instid1(VALU_DEP_1)
	v_dual_add_f32 v10, v10, v11 :: v_dual_sub_f32 v11, v51, v49
	v_exp_f32_e32 v10, v10
	s_delay_alu instid0(VALU_DEP_1) | instskip(SKIP_1) | instid1(VALU_DEP_2)
	v_mul_f32_e32 v13, 0x3fb8aa3b, v11
	v_cmp_ngt_f32_e64 s4, 0xc2ce8ed0, v11
	v_fma_f32 v14, 0x3fb8aa3b, v11, -v13
	v_rndne_f32_e32 v15, v13
	s_waitcnt_depctr 0xfff
	v_ldexp_f32 v10, v10, v12
	v_fmac_f32_e32 v14, 0x32a5705f, v11
	s_delay_alu instid0(VALU_DEP_2) | instskip(SKIP_1) | instid1(VALU_DEP_2)
	v_dual_sub_f32 v13, v13, v15 :: v_dual_cndmask_b32 v10, 0, v10
	v_cmp_nlt_f32_e32 vcc_lo, 0x42b17218, v9
	v_add_f32_e32 v13, v13, v14
	s_delay_alu instid0(VALU_DEP_3) | instskip(NEXT) | instid1(VALU_DEP_2)
	v_cndmask_b32_e32 v10, 0x7f800000, v10, vcc_lo
	v_exp_f32_e32 v12, v13
	v_cvt_i32_f32_e32 v13, v15
	v_cmp_eq_u32_e32 vcc_lo, 0, v252
	s_waitcnt_depctr 0xfff
	v_ldexp_f32 v12, v12, v13
	ds_bpermute_b32 v13, v48, v10
	v_cndmask_b32_e64 v9, 0, v12, s4
	v_cmp_nlt_f32_e64 s4, 0x42b17218, v11
	s_delay_alu instid0(VALU_DEP_1)
	v_cndmask_b32_e64 v9, 0x7f800000, v9, s4
	v_cmp_eq_u32_e64 s4, 1, v252
	ds_bpermute_b32 v11, v48, v9
	s_waitcnt lgkmcnt(0)
	v_cndmask_b32_e64 v12, v9, v11, s4
	v_cndmask_b32_e32 v11, v9, v11, vcc_lo
	s_delay_alu instid0(VALU_DEP_2) | instskip(NEXT) | instid1(VALU_DEP_2)
	v_cndmask_b32_e64 v15, v12, v10, s6
	v_cndmask_b32_e64 v14, v11, v10, s5
	v_cvt_f16_f32_e32 v11, v11
	v_cvt_f16_f32_e32 v12, v12
	s_delay_alu instid0(VALU_DEP_3) | instskip(SKIP_1) | instid1(VALU_DEP_3)
	v_cndmask_b32_e32 v14, v14, v13, vcc_lo
	v_cndmask_b32_e64 v13, v15, v13, s4
	v_pack_b32_f16 v40, v11, v12
	v_sub_f32_e32 v11, v53, v49
	s_delay_alu instid0(VALU_DEP_4) | instskip(NEXT) | instid1(VALU_DEP_4)
	v_cvt_f16_f32_e32 v15, v14
	v_cvt_f16_f32_e32 v41, v13
	s_delay_alu instid0(VALU_DEP_3) | instskip(SKIP_1) | instid1(VALU_DEP_3)
	v_mul_f32_e32 v12, 0x3fb8aa3b, v11
	v_cmp_ngt_f32_e64 s7, 0xc2ce8ed0, v11
	v_pack_b32_f16 v41, v15, v41
	s_delay_alu instid0(VALU_DEP_3) | instskip(SKIP_1) | instid1(VALU_DEP_1)
	v_fma_f32 v15, 0x3fb8aa3b, v11, -v12
	v_rndne_f32_e32 v42, v12
	v_dual_fmac_f32 v15, 0x32a5705f, v11 :: v_dual_sub_f32 v12, v12, v42
	s_delay_alu instid0(VALU_DEP_1) | instskip(SKIP_1) | instid1(VALU_DEP_2)
	v_add_f32_e32 v12, v12, v15
	v_cvt_i32_f32_e32 v15, v42
	v_exp_f32_e32 v12, v12
	s_waitcnt_depctr 0xfff
	v_ldexp_f32 v12, v12, v15
	s_delay_alu instid0(VALU_DEP_1) | instskip(SKIP_1) | instid1(VALU_DEP_1)
	v_cndmask_b32_e64 v12, 0, v12, s7
	v_cmp_nlt_f32_e64 s7, 0x42b17218, v11
	v_cndmask_b32_e64 v11, 0x7f800000, v12, s7
	s_delay_alu instid0(VALU_DEP_1)
	v_cndmask_b32_e64 v12, v13, v11, s6
	v_cndmask_b32_e64 v13, v14, v11, s5
	ds_bpermute_b32 v14, v48, v11
	s_waitcnt lgkmcnt(0)
	v_cndmask_b32_e32 v13, v13, v14, vcc_lo
	v_cndmask_b32_e64 v12, v12, v14, s4
	s_delay_alu instid0(VALU_DEP_2) | instskip(NEXT) | instid1(VALU_DEP_2)
	v_cvt_f16_f32_e32 v14, v13
	v_cvt_f16_f32_e32 v15, v12
	s_delay_alu instid0(VALU_DEP_1) | instskip(SKIP_1) | instid1(VALU_DEP_1)
	v_pack_b32_f16 v42, v14, v15
	v_sub_f32_e32 v14, v44, v49
	v_mul_f32_e32 v15, 0x3fb8aa3b, v14
	v_cmp_ngt_f32_e64 s7, 0xc2ce8ed0, v14
	s_delay_alu instid0(VALU_DEP_2) | instskip(SKIP_1) | instid1(VALU_DEP_2)
	v_fma_f32 v43, 0x3fb8aa3b, v14, -v15
	v_rndne_f32_e32 v44, v15
	v_fmac_f32_e32 v43, 0x32a5705f, v14
	s_delay_alu instid0(VALU_DEP_2) | instskip(NEXT) | instid1(VALU_DEP_1)
	v_sub_f32_e32 v15, v15, v44
	v_add_f32_e32 v15, v15, v43
	v_cvt_i32_f32_e32 v43, v44
	v_add_f32_e32 v9, v9, v10
	s_delay_alu instid0(VALU_DEP_3) | instskip(NEXT) | instid1(VALU_DEP_1)
	v_exp_f32_e32 v15, v15
	v_add_f32_e32 v9, v11, v9
	s_waitcnt_depctr 0xfff
	v_ldexp_f32 v15, v15, v43
	s_delay_alu instid0(VALU_DEP_1) | instskip(SKIP_1) | instid1(VALU_DEP_1)
	v_cndmask_b32_e64 v15, 0, v15, s7
	v_cmp_nlt_f32_e64 s7, 0x42b17218, v14
	v_cndmask_b32_e64 v109, 0x7f800000, v15, s7
	ds_bpermute_b32 v14, v48, v109
	v_cndmask_b32_e64 v12, v12, v109, s6
	v_cndmask_b32_e64 v13, v13, v109, s5
	v_add_f32_e32 v9, v109, v9
	s_waitcnt lgkmcnt(0)
	s_delay_alu instid0(VALU_DEP_2) | instskip(SKIP_1) | instid1(VALU_DEP_2)
	v_cndmask_b32_e32 v13, v13, v14, vcc_lo
	v_cndmask_b32_e64 v12, v12, v14, s4
	v_cvt_f16_f32_e32 v14, v13
	s_delay_alu instid0(VALU_DEP_2) | instskip(NEXT) | instid1(VALU_DEP_1)
	v_cvt_f16_f32_e32 v15, v12
	v_pack_b32_f16 v43, v14, v15
	v_sub_f32_e32 v14, v45, v49
	s_delay_alu instid0(VALU_DEP_1) | instskip(SKIP_1) | instid1(VALU_DEP_2)
	v_mul_f32_e32 v15, 0x3fb8aa3b, v14
	v_cmp_ngt_f32_e64 s7, 0xc2ce8ed0, v14
	v_fma_f32 v44, 0x3fb8aa3b, v14, -v15
	v_rndne_f32_e32 v45, v15
	s_delay_alu instid0(VALU_DEP_1) | instskip(NEXT) | instid1(VALU_DEP_1)
	v_dual_fmac_f32 v44, 0x32a5705f, v14 :: v_dual_sub_f32 v15, v15, v45
	v_add_f32_e32 v15, v15, v44
	v_cvt_i32_f32_e32 v44, v45
	s_delay_alu instid0(VALU_DEP_2) | instskip(SKIP_2) | instid1(VALU_DEP_1)
	v_exp_f32_e32 v15, v15
	s_waitcnt_depctr 0xfff
	v_ldexp_f32 v15, v15, v44
	v_cndmask_b32_e64 v15, 0, v15, s7
	v_cmp_nlt_f32_e64 s7, 0x42b17218, v14
	s_delay_alu instid0(VALU_DEP_1)
	v_cndmask_b32_e64 v110, 0x7f800000, v15, s7
	ds_bpermute_b32 v14, v48, v110
	v_cndmask_b32_e64 v12, v12, v110, s6
	v_cndmask_b32_e64 v13, v13, v110, s5
	v_add_f32_e32 v9, v110, v9
	s_waitcnt lgkmcnt(0)
	s_delay_alu instid0(VALU_DEP_2) | instskip(SKIP_1) | instid1(VALU_DEP_2)
	v_cndmask_b32_e32 v13, v13, v14, vcc_lo
	v_cndmask_b32_e64 v12, v12, v14, s4
	v_cvt_f16_f32_e32 v14, v13
	s_delay_alu instid0(VALU_DEP_2) | instskip(NEXT) | instid1(VALU_DEP_1)
	v_cvt_f16_f32_e32 v15, v12
	v_pack_b32_f16 v44, v14, v15
	v_sub_f32_e32 v14, v54, v49
	s_delay_alu instid0(VALU_DEP_1) | instskip(SKIP_1) | instid1(VALU_DEP_2)
	v_mul_f32_e32 v15, 0x3fb8aa3b, v14
	v_cmp_ngt_f32_e64 s7, 0xc2ce8ed0, v14
	v_fma_f32 v45, 0x3fb8aa3b, v14, -v15
	v_rndne_f32_e32 v51, v15
	s_delay_alu instid0(VALU_DEP_2) | instskip(NEXT) | instid1(VALU_DEP_2)
	v_fmac_f32_e32 v45, 0x32a5705f, v14
	v_sub_f32_e32 v15, v15, v51
	s_delay_alu instid0(VALU_DEP_1) | instskip(SKIP_1) | instid1(VALU_DEP_2)
	v_add_f32_e32 v15, v15, v45
	v_cvt_i32_f32_e32 v45, v51
	v_exp_f32_e32 v15, v15
	s_waitcnt_depctr 0xfff
	v_ldexp_f32 v15, v15, v45
	s_delay_alu instid0(VALU_DEP_1) | instskip(SKIP_1) | instid1(VALU_DEP_1)
	v_cndmask_b32_e64 v15, 0, v15, s7
	v_cmp_nlt_f32_e64 s7, 0x42b17218, v14
	v_cndmask_b32_e64 v111, 0x7f800000, v15, s7
	ds_bpermute_b32 v14, v48, v111
	v_cndmask_b32_e64 v12, v12, v111, s6
	v_cndmask_b32_e64 v13, v13, v111, s5
	v_add_f32_e32 v9, v111, v9
	s_waitcnt lgkmcnt(0)
	s_delay_alu instid0(VALU_DEP_2) | instskip(SKIP_1) | instid1(VALU_DEP_2)
	v_cndmask_b32_e32 v13, v13, v14, vcc_lo
	v_cndmask_b32_e64 v12, v12, v14, s4
	v_cvt_f16_f32_e32 v14, v13
	s_delay_alu instid0(VALU_DEP_2) | instskip(NEXT) | instid1(VALU_DEP_1)
	v_cvt_f16_f32_e32 v15, v12
	v_pack_b32_f16 v45, v14, v15
	v_sub_f32_e32 v14, v46, v49
	s_delay_alu instid0(VALU_DEP_1) | instskip(SKIP_1) | instid1(VALU_DEP_2)
	v_mul_f32_e32 v15, 0x3fb8aa3b, v14
	v_cmp_ngt_f32_e64 s7, 0xc2ce8ed0, v14
	v_fma_f32 v46, 0x3fb8aa3b, v14, -v15
	v_rndne_f32_e32 v51, v15
	s_delay_alu instid0(VALU_DEP_1) | instskip(NEXT) | instid1(VALU_DEP_1)
	v_dual_fmac_f32 v46, 0x32a5705f, v14 :: v_dual_sub_f32 v15, v15, v51
	v_add_f32_e32 v15, v15, v46
	v_cvt_i32_f32_e32 v46, v51
	s_delay_alu instid0(VALU_DEP_2) | instskip(SKIP_2) | instid1(VALU_DEP_1)
	v_exp_f32_e32 v15, v15
	s_waitcnt_depctr 0xfff
	v_ldexp_f32 v15, v15, v46
	v_cndmask_b32_e64 v15, 0, v15, s7
	v_cmp_nlt_f32_e64 s7, 0x42b17218, v14
	s_delay_alu instid0(VALU_DEP_1)
	v_cndmask_b32_e64 v112, 0x7f800000, v15, s7
	ds_bpermute_b32 v14, v48, v112
	v_cndmask_b32_e64 v12, v12, v112, s6
	v_cndmask_b32_e64 v13, v13, v112, s5
	v_add_f32_e32 v9, v112, v9
	s_waitcnt lgkmcnt(0)
	s_delay_alu instid0(VALU_DEP_2) | instskip(SKIP_1) | instid1(VALU_DEP_2)
	v_cndmask_b32_e32 v13, v13, v14, vcc_lo
	v_cndmask_b32_e64 v12, v12, v14, s4
	v_cvt_f16_f32_e32 v14, v13
	s_delay_alu instid0(VALU_DEP_2) | instskip(NEXT) | instid1(VALU_DEP_1)
	v_cvt_f16_f32_e32 v15, v12
	v_pack_b32_f16 v46, v14, v15
	v_sub_f32_e32 v14, v47, v49
	s_delay_alu instid0(VALU_DEP_1) | instskip(SKIP_1) | instid1(VALU_DEP_2)
	v_mul_f32_e32 v15, 0x3fb8aa3b, v14
	v_cmp_ngt_f32_e64 s7, 0xc2ce8ed0, v14
	v_fma_f32 v47, 0x3fb8aa3b, v14, -v15
	v_rndne_f32_e32 v51, v15
	s_delay_alu instid0(VALU_DEP_2) | instskip(NEXT) | instid1(VALU_DEP_2)
	v_fmac_f32_e32 v47, 0x32a5705f, v14
	v_sub_f32_e32 v15, v15, v51
	s_delay_alu instid0(VALU_DEP_1) | instskip(SKIP_1) | instid1(VALU_DEP_2)
	v_add_f32_e32 v15, v15, v47
	v_cvt_i32_f32_e32 v47, v51
	v_exp_f32_e32 v15, v15
	s_waitcnt_depctr 0xfff
	v_ldexp_f32 v15, v15, v47
	s_delay_alu instid0(VALU_DEP_1) | instskip(SKIP_1) | instid1(VALU_DEP_1)
	v_cndmask_b32_e64 v15, 0, v15, s7
	v_cmp_nlt_f32_e64 s7, 0x42b17218, v14
	v_cndmask_b32_e64 v113, 0x7f800000, v15, s7
	ds_bpermute_b32 v14, v48, v113
	v_cndmask_b32_e64 v12, v12, v113, s6
	v_cndmask_b32_e64 v13, v13, v113, s5
	v_add_f32_e32 v9, v113, v9
	s_delay_alu instid0(VALU_DEP_1)
	v_fmac_f32_e32 v9, v147, v50
	ds_bpermute_b32 v10, v48, v9
	s_waitcnt lgkmcnt(1)
	v_cndmask_b32_e32 v13, v13, v14, vcc_lo
	v_cndmask_b32_e64 v12, v12, v14, s4
	s_cselect_b32 s4, -1, 0
	s_delay_alu instid0(SALU_CYCLE_1) | instskip(NEXT) | instid1(VALU_DEP_2)
	s_and_b32 s5, s1, s4
	v_cvt_f16_f32_e32 v13, v13
	s_delay_alu instid0(VALU_DEP_2) | instskip(NEXT) | instid1(VALU_DEP_1)
	v_cvt_f16_f32_e32 v12, v12
	v_pack_b32_f16 v47, v13, v12
	ds_load_2addr_b32 v[12:13], v243 offset1:16
	ds_load_2addr_b32 v[14:15], v243 offset0:68 offset1:84
	ds_load_2addr_b32 v[59:60], v243 offset0:136 offset1:152
	;; [unrolled: 1-line block ×13, first 2 shown]
	ds_load_b32 v114, v186 offset:2176
	ds_load_b32 v115, v186 offset:3264
	ds_load_b32 v116, v187 offset:1088
	ds_load_b32 v117, v187 offset:2176
	ds_load_b32 v118, v187 offset:3264
	ds_load_b32 v119, v188 offset:1088
	ds_load_b32 v120, v186 offset:1088
	ds_load_b32 v121, v243 offset:4272
	ds_load_2addr_b32 v[83:84], v87 offset0:100 offset1:116
	ds_load_2addr_b32 v[85:86], v87 offset0:168 offset1:184
	;; [unrolled: 1-line block ×4, first 2 shown]
	s_waitcnt lgkmcnt(26)
	v_add_f32_e32 v9, v9, v10
	s_waitcnt lgkmcnt(24)
	v_perm_b32 v51, v14, v12, 0x5040100
	s_waitcnt lgkmcnt(22)
	v_perm_b32 v52, v61, v59, 0x5040100
	;; [unrolled: 2-line block ×8, first 2 shown]
	s_delay_alu instid0(VALU_DEP_1)
	v_wmma_f16_16x16x16_f16 v[32:39], v[51:58], v[40:47], v[32:39]
	v_add_nc_u32_e32 v58, 0x1000, v243
	ds_load_2addr_b32 v[91:92], v58 offset0:12 offset1:28
	ds_load_2addr_b32 v[93:94], v107 offset0:200 offset1:216
	;; [unrolled: 1-line block ×9, first 2 shown]
	ds_load_b32 v122, v188 offset:2176
	ds_load_b32 v123, v188 offset:3264
	v_perm_b32 v51, v15, v13, 0x5040100
	v_perm_b32 v52, v62, v60, 0x5040100
	s_waitcnt lgkmcnt(14)
	v_perm_b32 v53, v83, v120, 0x5040100
	s_waitcnt lgkmcnt(12)
	v_perm_b32 v54, v87, v85, 0x5040100
	v_perm_b32 v55, v72, v114, 0x5040100
	;; [unrolled: 1-line block ×3, first 2 shown]
	s_waitcnt lgkmcnt(11)
	v_perm_b32 v57, v89, v115, 0x5040100
	s_waitcnt lgkmcnt(0)
	s_barrier
	buffer_gl0_inv
	v_perm_b32 v58, v91, v93, 0x5040100
	s_delay_alu instid0(VALU_DEP_1)
	v_wmma_f16_16x16x16_f16 v[24:31], v[51:58], v[40:47], v[24:31]
	v_perm_b32 v51, v97, v95, 0x5040100
	v_perm_b32 v52, v101, v99, 0x5040100
	v_perm_b32 v53, v84, v116, 0x5040100
	v_perm_b32 v54, v88, v86, 0x5040100
	v_perm_b32 v55, v103, v117, 0x5040100
	v_perm_b32 v56, v107, v105, 0x5040100
	v_perm_b32 v57, v90, v118, 0x5040100
	v_perm_b32 v58, v92, v94, 0x5040100
	s_delay_alu instid0(VALU_DEP_1)
	v_wmma_f16_16x16x16_f16 v[16:23], v[51:58], v[40:47], v[16:23]
	v_perm_b32 v51, v98, v96, 0x5040100
	v_perm_b32 v52, v102, v100, 0x5040100
	v_perm_b32 v53, v65, v119, 0x5040100
	v_perm_b32 v54, v69, v67, 0x5040100
	v_perm_b32 v55, v104, v122, 0x5040100
	v_perm_b32 v56, v108, v106, 0x5040100
	v_perm_b32 v57, v79, v123, 0x5040100
	;; [unrolled: 10-line block ×3, first 2 shown]
	v_perm_b32 v58, v82, v80, 0x7060302
	s_delay_alu instid0(VALU_DEP_1)
	v_wmma_f16_16x16x16_f16 v[32:39], v[51:58], v[40:47], v[32:39] op_sel:[0,0,1]
	v_perm_b32 v51, v15, v13, 0x7060302
	v_perm_b32 v52, v62, v60, 0x7060302
	v_perm_b32 v56, v76, v74, 0x7060302
	v_perm_b32 v55, v72, v114, 0x7060302
	v_perm_b32 v53, v83, v120, 0x7060302
	v_perm_b32 v57, v89, v115, 0x7060302
	v_perm_b32 v54, v87, v85, 0x7060302
	v_perm_b32 v58, v91, v93, 0x7060302
	s_delay_alu instid0(VALU_DEP_1)
	v_wmma_f16_16x16x16_f16 v[24:31], v[51:58], v[40:47], v[24:31] op_sel:[0,0,1]
	v_perm_b32 v54, v88, v86, 0x7060302
	v_perm_b32 v58, v92, v94, 0x7060302
	v_perm_b32 v53, v84, v116, 0x7060302
	v_perm_b32 v57, v90, v118, 0x7060302
	v_perm_b32 v55, v103, v117, 0x7060302
	v_perm_b32 v51, v97, v95, 0x7060302
	v_perm_b32 v52, v101, v99, 0x7060302
	;; [unrolled: 10-line block ×3, first 2 shown]
	v_perm_b32 v58, v121, v81, 0x7060302
	s_delay_alu instid0(VALU_DEP_1)
	v_wmma_f16_16x16x16_f16 v[1:8], v[51:58], v[40:47], v[1:8] op_sel:[0,0,1]
	s_and_saveexec_b32 s4, s5
	s_cbranch_execz .LBB25_313
; %bb.312:                              ;   in Loop: Header=BB25_10 Depth=1
	scratch_load_b32 v10, off, off offset:204 ; 4-byte Folded Reload
	s_waitcnt vmcnt(0)
	v_dual_max_f32 v11, v49, v49 :: v_dual_lshlrev_b32 v10, 2, v10
	global_load_b32 v10, v10, s[64:65]
	s_waitcnt vmcnt(0)
	v_max_f32_e32 v12, v10, v10
	s_delay_alu instid0(VALU_DEP_1) | instskip(NEXT) | instid1(VALU_DEP_1)
	v_max_f32_e32 v11, v11, v12
	v_sub_f32_e32 v10, v10, v11
	s_delay_alu instid0(VALU_DEP_1) | instskip(NEXT) | instid1(VALU_DEP_1)
	v_mul_f32_e32 v40, 0x3fb8aa3b, v10
	v_fma_f32 v41, 0x3fb8aa3b, v10, -v40
	v_sub_f32_e32 v12, v49, v11
	v_rndne_f32_e32 v42, v40
	v_mov_b32_e32 v49, v11
	s_delay_alu instid0(VALU_DEP_4) | instskip(NEXT) | instid1(VALU_DEP_4)
	v_fmac_f32_e32 v41, 0x32a5705f, v10
	v_mul_f32_e32 v13, 0x3fb8aa3b, v12
	v_cmp_ngt_f32_e32 vcc_lo, 0xc2ce8ed0, v12
	s_delay_alu instid0(VALU_DEP_2) | instskip(SKIP_1) | instid1(VALU_DEP_1)
	v_fma_f32 v14, 0x3fb8aa3b, v12, -v13
	v_rndne_f32_e32 v15, v13
	v_dual_fmac_f32 v14, 0x32a5705f, v12 :: v_dual_sub_f32 v13, v13, v15
	v_cvt_i32_f32_e32 v15, v15
	s_delay_alu instid0(VALU_DEP_2) | instskip(SKIP_1) | instid1(VALU_DEP_2)
	v_add_f32_e32 v13, v13, v14
	v_sub_f32_e32 v14, v40, v42
	v_exp_f32_e32 v13, v13
	s_delay_alu instid0(VALU_DEP_1) | instskip(NEXT) | instid1(VALU_DEP_1)
	v_add_f32_e32 v14, v14, v41
	v_exp_f32_e32 v14, v14
	s_waitcnt_depctr 0xfff
	v_ldexp_f32 v13, v13, v15
	v_cvt_i32_f32_e32 v15, v42
	s_delay_alu instid0(VALU_DEP_2) | instskip(SKIP_1) | instid1(VALU_DEP_3)
	v_cndmask_b32_e32 v13, 0, v13, vcc_lo
	v_cmp_nlt_f32_e32 vcc_lo, 0x42b17218, v12
	v_ldexp_f32 v14, v14, v15
	s_delay_alu instid0(VALU_DEP_3) | instskip(SKIP_1) | instid1(VALU_DEP_3)
	v_cndmask_b32_e32 v13, 0x7f800000, v13, vcc_lo
	v_cmp_ngt_f32_e32 vcc_lo, 0xc2ce8ed0, v10
	v_cndmask_b32_e32 v14, 0, v14, vcc_lo
	v_cmp_le_f32_e32 vcc_lo, 0xc1a00000, v12
	s_delay_alu instid0(VALU_DEP_4) | instskip(SKIP_1) | instid1(VALU_DEP_2)
	v_cndmask_b32_e32 v12, 0, v13, vcc_lo
	v_cmp_nlt_f32_e32 vcc_lo, 0x42b17218, v10
	v_cvt_f16_f32_e32 v13, v12
	v_cndmask_b32_e32 v10, 0x7f800000, v14, vcc_lo
	s_delay_alu instid0(VALU_DEP_2) | instskip(NEXT) | instid1(VALU_DEP_2)
	v_pk_mul_f16 v32, v13, v32 op_sel_hi:[0,1]
	v_fmac_f32_e32 v10, v9, v12
	v_pk_mul_f16 v33, v13, v33 op_sel_hi:[0,1]
	v_pk_mul_f16 v34, v13, v34 op_sel_hi:[0,1]
	;; [unrolled: 1-line block ×4, first 2 shown]
	v_mov_b32_e32 v9, v10
	v_pk_mul_f16 v37, v13, v37 op_sel_hi:[0,1]
	v_pk_mul_f16 v38, v13, v38 op_sel_hi:[0,1]
	;; [unrolled: 1-line block ×27, first 2 shown]
.LBB25_313:                             ;   in Loop: Header=BB25_10 Depth=1
	s_or_b32 exec_lo, exec_lo, s4
	s_and_saveexec_b32 s4, s3
	s_cbranch_execz .LBB25_315
; %bb.314:                              ;   in Loop: Header=BB25_10 Depth=1
	scratch_load_b32 v10, off, off offset:112 ; 4-byte Folded Reload
	s_waitcnt vmcnt(0)
	v_add_nc_u32_e32 v10, 0, v10
	ds_store_2addr_b32 v10, v49, v9 offset0:64 offset1:65
.LBB25_315:                             ;   in Loop: Header=BB25_10 Depth=1
	s_or_b32 exec_lo, exec_lo, s4
	s_waitcnt lgkmcnt(0)
	s_barrier
	buffer_gl0_inv
	s_mov_b32 s4, exec_lo
	v_mbcnt_lo_u32_b32 v15, -1, 0
	s_and_b32 s5, s4, s2
	s_delay_alu instid0(SALU_CYCLE_1)
	s_xor_b32 s4, s5, s4
	s_mov_b32 exec_lo, s5
	s_cbranch_execz .LBB25_317
; %bb.316:                              ;   in Loop: Header=BB25_10 Depth=1
	s_barrier
	buffer_gl0_inv
                                        ; implicit-def: $vgpr48
.LBB25_317:                             ;   in Loop: Header=BB25_10 Depth=1
	s_and_not1_saveexec_b32 s4, s4
	s_cbranch_execz .LBB25_319
; %bb.318:                              ;   in Loop: Header=BB25_10 Depth=1
	scratch_load_b32 v9, off, off offset:112 ; 4-byte Folded Reload
	s_waitcnt vmcnt(0)
	v_add_nc_u32_e32 v13, 0, v9
	ds_load_b64 v[9:10], v13 offset:256
	s_waitcnt lgkmcnt(0)
	s_barrier
	buffer_gl0_inv
	ds_bpermute_b32 v11, v48, v9
	s_waitcnt lgkmcnt(0)
	v_dual_max_f32 v12, v9, v9 :: v_dual_max_f32 v11, v11, v11
	s_delay_alu instid0(VALU_DEP_1) | instskip(NEXT) | instid1(VALU_DEP_1)
	v_max_f32_e32 v11, v12, v11
	v_sub_f32_e32 v9, v9, v11
	s_delay_alu instid0(VALU_DEP_1) | instskip(SKIP_1) | instid1(VALU_DEP_2)
	v_mul_f32_e32 v11, 0x3fb8aa3b, v9
	v_cmp_ngt_f32_e32 vcc_lo, 0xc2ce8ed0, v9
	v_fma_f32 v12, 0x3fb8aa3b, v9, -v11
	v_rndne_f32_e32 v14, v11
	s_delay_alu instid0(VALU_DEP_1) | instskip(NEXT) | instid1(VALU_DEP_1)
	v_dual_fmac_f32 v12, 0x32a5705f, v9 :: v_dual_sub_f32 v11, v11, v14
	v_add_f32_e32 v11, v11, v12
	v_cvt_i32_f32_e32 v12, v14
	s_delay_alu instid0(VALU_DEP_2) | instskip(SKIP_2) | instid1(VALU_DEP_1)
	v_exp_f32_e32 v11, v11
	s_waitcnt_depctr 0xfff
	v_ldexp_f32 v11, v11, v12
	v_cndmask_b32_e32 v11, 0, v11, vcc_lo
	v_cmp_nlt_f32_e32 vcc_lo, 0x42b17218, v9
	s_delay_alu instid0(VALU_DEP_2) | instskip(NEXT) | instid1(VALU_DEP_1)
	v_cndmask_b32_e32 v11, 0x7f800000, v11, vcc_lo
	v_mul_f32_e32 v9, v10, v11
	ds_bpermute_b32 v12, v48, v9
	s_waitcnt lgkmcnt(0)
	v_fmac_f32_e32 v12, v10, v11
	ds_store_b64 v13, v[11:12] offset:256
.LBB25_319:                             ;   in Loop: Header=BB25_10 Depth=1
	s_or_b32 exec_lo, exec_lo, s4
	scratch_load_b32 v9, off, off offset:116 ; 4-byte Folded Reload
	s_waitcnt vmcnt(0)
	ds_store_2addr_b32 v9, v32, v33 offset1:2
	ds_store_2addr_b32 v9, v34, v35 offset0:4 offset1:6
	ds_store_2addr_b32 v9, v36, v37 offset0:8 offset1:10
	;; [unrolled: 1-line block ×15, first 2 shown]
	s_waitcnt lgkmcnt(0)
	s_barrier
	buffer_gl0_inv
	s_and_saveexec_b32 s56, s1
	s_cbranch_execz .LBB25_397
; %bb.320:                              ;   in Loop: Header=BB25_10 Depth=1
	s_clause 0x1
	scratch_load_b32 v1, off, off offset:232
	scratch_load_b64 v[2:3], off, off offset:196
	s_waitcnt vmcnt(1)
	v_add_nc_u32_e32 v1, s66, v1
	s_waitcnt vmcnt(0)
	v_or_b32_e32 v2, s88, v2
	s_delay_alu instid0(VALU_DEP_1) | instskip(SKIP_2) | instid1(VALU_DEP_3)
	v_cmp_gt_i32_e64 s4, s68, v2
	v_mov_b32_e32 v2, 0x47
	v_cmp_gt_i32_e32 vcc_lo, s8, v1
	s_and_b32 s5, vcc_lo, s4
	s_delay_alu instid0(SALU_CYCLE_1)
	s_and_saveexec_b32 s52, s5
	s_cbranch_execz .LBB25_322
; %bb.321:                              ;   in Loop: Header=BB25_10 Depth=1
	s_clause 0x1
	scratch_load_b32 v2, off, off offset:244
	scratch_load_b32 v7, off, off offset:248
	s_waitcnt vmcnt(1)
	v_add_nc_u32_e32 v6, 0, v2
	s_waitcnt vmcnt(0)
	ds_load_2addr_b32 v[2:3], v7 offset1:32
	ds_load_2addr_b32 v[4:5], v6 offset0:64 offset1:65
	ds_load_b32 v7, v7 offset:4352
	ds_load_b32 v6, v6 offset:4608
	s_clause 0x1
	scratch_load_b32 v8, off, off offset:252
	scratch_load_b64 v[13:14], off, off offset:196
	s_waitcnt lgkmcnt(2)
	v_fma_mix_f32 v9, v4, v2, 0 op_sel_hi:[0,1,0]
	v_fma_mix_f32 v2, v4, v2, 0 op_sel:[0,1,0] op_sel_hi:[0,1,0]
	v_fma_mix_f32 v10, v4, v3, 0 op_sel_hi:[0,1,0]
	v_fma_mix_f32 v3, v4, v3, 0 op_sel:[0,1,0] op_sel_hi:[0,1,0]
	s_waitcnt lgkmcnt(0)
	v_fma_mix_f32 v4, v6, v7, v9 op_sel_hi:[0,1,0]
	v_fma_mix_f32 v7, v6, v7, v2 op_sel:[0,1,0] op_sel_hi:[0,1,0]
	s_delay_alu instid0(VALU_DEP_2) | instskip(NEXT) | instid1(VALU_DEP_2)
	v_div_scale_f32 v16, vcc_lo, v4, v5, v4
	v_div_scale_f32 v17, s5, v7, v5, v7
	s_waitcnt vmcnt(1)
	ds_load_b32 v8, v8 offset:4352
	s_waitcnt lgkmcnt(0)
	v_fma_mix_f32 v9, v6, v8, v10 op_sel_hi:[0,1,0]
	v_fma_mix_f32 v10, v6, v8, v3 op_sel:[0,1,0] op_sel_hi:[0,1,0]
	v_div_scale_f32 v6, null, v5, v5, v4
	s_waitcnt vmcnt(0)
	v_mad_u64_u32 v[2:3], null, v1, s9, v[13:14]
	v_div_scale_f32 v8, null, v5, v5, v7
	s_delay_alu instid0(VALU_DEP_3) | instskip(SKIP_1) | instid1(VALU_DEP_2)
	v_rcp_f32_e32 v3, v6
	v_div_scale_f32 v11, null, v5, v5, v9
	v_rcp_f32_e32 v13, v8
	v_div_scale_f32 v12, null, v5, v5, v10
	s_delay_alu instid0(VALU_DEP_2) | instskip(SKIP_1) | instid1(VALU_DEP_2)
	v_rcp_f32_e32 v14, v11
	v_div_scale_f32 v18, s6, v9, v5, v9
	v_rcp_f32_e32 v15, v12
	v_fma_f32 v1, -v6, v3, 1.0
	v_div_scale_f32 v22, s7, v10, v5, v10
	s_delay_alu instid0(TRANS32_DEP_3) | instskip(NEXT) | instid1(VALU_DEP_3)
	v_fma_f32 v19, -v8, v13, 1.0
	v_fmac_f32_e32 v3, v1, v3
	scratch_load_b32 v1, off, off offset:84 ; 4-byte Folded Reload
	v_fma_f32 v20, -v11, v14, 1.0
	v_fmac_f32_e32 v13, v19, v13
	v_fma_f32 v21, -v12, v15, 1.0
	v_mul_f32_e32 v19, v16, v3
	s_delay_alu instid0(VALU_DEP_4) | instskip(NEXT) | instid1(VALU_DEP_4)
	v_fmac_f32_e32 v14, v20, v14
	v_mul_f32_e32 v20, v17, v13
	s_delay_alu instid0(VALU_DEP_4) | instskip(NEXT) | instid1(VALU_DEP_4)
	v_fmac_f32_e32 v15, v21, v15
	v_fma_f32 v24, -v6, v19, v16
	s_delay_alu instid0(VALU_DEP_3) | instskip(SKIP_1) | instid1(VALU_DEP_4)
	v_fma_f32 v25, -v8, v20, v17
	v_mul_f32_e32 v21, v18, v14
	v_mul_f32_e32 v23, v22, v15
	s_delay_alu instid0(VALU_DEP_3) | instskip(NEXT) | instid1(VALU_DEP_3)
	v_dual_fmac_f32 v19, v24, v3 :: v_dual_fmac_f32 v20, v25, v13
	v_fma_f32 v26, -v11, v21, v18
	s_delay_alu instid0(VALU_DEP_3) | instskip(NEXT) | instid1(VALU_DEP_3)
	v_fma_f32 v27, -v12, v23, v22
	v_fma_f32 v6, -v6, v19, v16
	s_delay_alu instid0(VALU_DEP_4) | instskip(NEXT) | instid1(VALU_DEP_4)
	v_fma_f32 v8, -v8, v20, v17
	v_fmac_f32_e32 v21, v26, v14
	s_delay_alu instid0(VALU_DEP_4) | instskip(NEXT) | instid1(VALU_DEP_4)
	v_fmac_f32_e32 v23, v27, v15
	v_div_fmas_f32 v3, v6, v3, v19
	s_mov_b32 vcc_lo, s5
	s_delay_alu instid0(VALU_DEP_3) | instskip(NEXT) | instid1(VALU_DEP_3)
	v_fma_f32 v11, -v11, v21, v18
	v_fma_f32 v12, -v12, v23, v22
	v_div_fmas_f32 v6, v8, v13, v20
	s_mov_b32 vcc_lo, s6
	v_div_fixup_f32 v3, v3, v5, v4
	v_div_fmas_f32 v8, v11, v14, v21
	s_mov_b32 vcc_lo, s7
	v_div_fixup_f32 v4, v6, v5, v7
	v_div_fmas_f32 v11, v12, v15, v23
	v_mbcnt_lo_u32_b32 v15, -1, 0
	v_div_fixup_f32 v8, v8, v5, v9
	s_delay_alu instid0(VALU_DEP_3) | instskip(SKIP_2) | instid1(VALU_DEP_1)
	v_div_fixup_f32 v9, v11, v5, v10
	s_waitcnt vmcnt(0)
	v_lshl_add_u32 v1, v2, 6, v1
	v_ashrrev_i32_e32 v2, 31, v1
	s_delay_alu instid0(VALU_DEP_1) | instskip(NEXT) | instid1(VALU_DEP_1)
	v_lshlrev_b64 v[1:2], 3, v[1:2]
	v_add_co_u32 v6, vcc_lo, s59, v1
	s_delay_alu instid0(VALU_DEP_2)
	v_add_co_ci_u32_e32 v7, vcc_lo, s87, v2, vcc_lo
	v_mov_b32_e32 v2, 0
	s_clause 0x1
	global_store_b64 v[6:7], v[3:4], off
	global_store_b64 v[6:7], v[8:9], off offset:256
.LBB25_322:                             ;   in Loop: Header=BB25_10 Depth=1
	s_or_b32 exec_lo, exec_lo, s52
	s_mov_b32 s5, -1
	s_mov_b32 s6, exec_lo
	v_cmpx_gt_i32_e32 0x47, v2
; %bb.323:                              ;   in Loop: Header=BB25_10 Depth=1
	v_cmp_eq_u32_e32 vcc_lo, 0, v2
	s_or_not1_b32 s5, vcc_lo, exec_lo
; %bb.324:                              ;   in Loop: Header=BB25_10 Depth=1
	s_or_b32 exec_lo, exec_lo, s6
	s_delay_alu instid0(SALU_CYCLE_1)
	s_and_b32 exec_lo, exec_lo, s5
	s_cbranch_execz .LBB25_397
; %bb.325:                              ;   in Loop: Header=BB25_10 Depth=1
	s_clause 0x1
	scratch_load_b32 v1, off, off offset:256
	scratch_load_b64 v[2:3], off, off offset:236
	s_waitcnt vmcnt(1)
	v_add_nc_u32_e32 v1, s66, v1
	s_waitcnt vmcnt(0)
	v_or_b32_e32 v2, s88, v2
	s_delay_alu instid0(VALU_DEP_1) | instskip(SKIP_2) | instid1(VALU_DEP_3)
	v_cmp_gt_i32_e64 s5, s68, v2
	v_mov_b32_e32 v2, 0x47
	v_cmp_gt_i32_e32 vcc_lo, s8, v1
	s_and_b32 s5, vcc_lo, s5
	s_delay_alu instid0(SALU_CYCLE_1)
	s_and_saveexec_b32 s52, s5
	s_cbranch_execz .LBB25_327
; %bb.326:                              ;   in Loop: Header=BB25_10 Depth=1
	s_clause 0x1
	scratch_load_b32 v2, off, off offset:412
	scratch_load_b32 v7, off, off offset:416
	s_waitcnt vmcnt(1)
	v_add_nc_u32_e32 v6, 0, v2
	s_waitcnt vmcnt(0)
	ds_load_2addr_b32 v[2:3], v7 offset1:32
	ds_load_2addr_b32 v[4:5], v6 offset0:64 offset1:65
	ds_load_b32 v7, v7 offset:4352
	ds_load_b32 v6, v6 offset:4608
	s_clause 0x1
	scratch_load_b32 v8, off, off offset:420
	scratch_load_b64 v[13:14], off, off offset:236
	s_waitcnt lgkmcnt(2)
	v_fma_mix_f32 v9, v4, v2, 0 op_sel_hi:[0,1,0]
	v_fma_mix_f32 v2, v4, v2, 0 op_sel:[0,1,0] op_sel_hi:[0,1,0]
	v_fma_mix_f32 v10, v4, v3, 0 op_sel_hi:[0,1,0]
	v_fma_mix_f32 v3, v4, v3, 0 op_sel:[0,1,0] op_sel_hi:[0,1,0]
	s_waitcnt lgkmcnt(0)
	v_fma_mix_f32 v4, v6, v7, v9 op_sel_hi:[0,1,0]
	v_fma_mix_f32 v7, v6, v7, v2 op_sel:[0,1,0] op_sel_hi:[0,1,0]
	s_delay_alu instid0(VALU_DEP_2) | instskip(NEXT) | instid1(VALU_DEP_2)
	v_div_scale_f32 v16, vcc_lo, v4, v5, v4
	v_div_scale_f32 v17, s5, v7, v5, v7
	s_waitcnt vmcnt(1)
	ds_load_b32 v8, v8 offset:4352
	s_waitcnt lgkmcnt(0)
	v_fma_mix_f32 v9, v6, v8, v10 op_sel_hi:[0,1,0]
	v_fma_mix_f32 v10, v6, v8, v3 op_sel:[0,1,0] op_sel_hi:[0,1,0]
	v_div_scale_f32 v6, null, v5, v5, v4
	s_waitcnt vmcnt(0)
	v_mad_u64_u32 v[2:3], null, v1, s9, v[13:14]
	v_div_scale_f32 v8, null, v5, v5, v7
	s_delay_alu instid0(VALU_DEP_3) | instskip(SKIP_1) | instid1(VALU_DEP_2)
	v_rcp_f32_e32 v3, v6
	v_div_scale_f32 v11, null, v5, v5, v9
	v_rcp_f32_e32 v13, v8
	v_div_scale_f32 v12, null, v5, v5, v10
	s_delay_alu instid0(VALU_DEP_2) | instskip(SKIP_1) | instid1(VALU_DEP_2)
	v_rcp_f32_e32 v14, v11
	v_div_scale_f32 v18, s6, v9, v5, v9
	v_rcp_f32_e32 v15, v12
	v_fma_f32 v1, -v6, v3, 1.0
	v_div_scale_f32 v22, s7, v10, v5, v10
	s_delay_alu instid0(TRANS32_DEP_3) | instskip(NEXT) | instid1(VALU_DEP_3)
	v_fma_f32 v19, -v8, v13, 1.0
	v_fmac_f32_e32 v3, v1, v3
	scratch_load_b32 v1, off, off offset:84 ; 4-byte Folded Reload
	v_fma_f32 v20, -v11, v14, 1.0
	v_fmac_f32_e32 v13, v19, v13
	v_fma_f32 v21, -v12, v15, 1.0
	v_mul_f32_e32 v19, v16, v3
	s_delay_alu instid0(VALU_DEP_4) | instskip(NEXT) | instid1(VALU_DEP_4)
	v_fmac_f32_e32 v14, v20, v14
	v_mul_f32_e32 v20, v17, v13
	s_delay_alu instid0(VALU_DEP_4) | instskip(NEXT) | instid1(VALU_DEP_4)
	v_fmac_f32_e32 v15, v21, v15
	v_fma_f32 v24, -v6, v19, v16
	s_delay_alu instid0(VALU_DEP_3) | instskip(SKIP_1) | instid1(VALU_DEP_4)
	v_fma_f32 v25, -v8, v20, v17
	v_mul_f32_e32 v21, v18, v14
	v_mul_f32_e32 v23, v22, v15
	s_delay_alu instid0(VALU_DEP_3) | instskip(NEXT) | instid1(VALU_DEP_3)
	v_dual_fmac_f32 v19, v24, v3 :: v_dual_fmac_f32 v20, v25, v13
	v_fma_f32 v26, -v11, v21, v18
	s_delay_alu instid0(VALU_DEP_3) | instskip(NEXT) | instid1(VALU_DEP_3)
	v_fma_f32 v27, -v12, v23, v22
	v_fma_f32 v6, -v6, v19, v16
	s_delay_alu instid0(VALU_DEP_4) | instskip(NEXT) | instid1(VALU_DEP_4)
	v_fma_f32 v8, -v8, v20, v17
	v_fmac_f32_e32 v21, v26, v14
	s_delay_alu instid0(VALU_DEP_4) | instskip(NEXT) | instid1(VALU_DEP_4)
	v_fmac_f32_e32 v23, v27, v15
	v_div_fmas_f32 v3, v6, v3, v19
	s_mov_b32 vcc_lo, s5
	s_delay_alu instid0(VALU_DEP_3) | instskip(NEXT) | instid1(VALU_DEP_3)
	v_fma_f32 v11, -v11, v21, v18
	v_fma_f32 v12, -v12, v23, v22
	v_div_fmas_f32 v6, v8, v13, v20
	s_mov_b32 vcc_lo, s6
	v_div_fixup_f32 v3, v3, v5, v4
	v_div_fmas_f32 v8, v11, v14, v21
	s_mov_b32 vcc_lo, s7
	v_div_fixup_f32 v4, v6, v5, v7
	v_div_fmas_f32 v11, v12, v15, v23
	v_mbcnt_lo_u32_b32 v15, -1, 0
	v_div_fixup_f32 v8, v8, v5, v9
	s_delay_alu instid0(VALU_DEP_3) | instskip(SKIP_2) | instid1(VALU_DEP_1)
	v_div_fixup_f32 v9, v11, v5, v10
	s_waitcnt vmcnt(0)
	v_lshl_add_u32 v1, v2, 6, v1
	v_ashrrev_i32_e32 v2, 31, v1
	s_delay_alu instid0(VALU_DEP_1) | instskip(NEXT) | instid1(VALU_DEP_1)
	v_lshlrev_b64 v[1:2], 3, v[1:2]
	v_add_co_u32 v6, vcc_lo, s59, v1
	s_delay_alu instid0(VALU_DEP_2)
	v_add_co_ci_u32_e32 v7, vcc_lo, s87, v2, vcc_lo
	v_mov_b32_e32 v2, 0
	s_clause 0x1
	global_store_b64 v[6:7], v[3:4], off
	global_store_b64 v[6:7], v[8:9], off offset:256
.LBB25_327:                             ;   in Loop: Header=BB25_10 Depth=1
	s_or_b32 exec_lo, exec_lo, s52
	s_mov_b32 s5, -1
	s_mov_b32 s6, exec_lo
	v_cmpx_gt_i32_e32 0x47, v2
; %bb.328:                              ;   in Loop: Header=BB25_10 Depth=1
	v_cmp_eq_u32_e32 vcc_lo, 0, v2
	s_or_not1_b32 s5, vcc_lo, exec_lo
; %bb.329:                              ;   in Loop: Header=BB25_10 Depth=1
	s_or_b32 exec_lo, exec_lo, s6
	s_delay_alu instid0(SALU_CYCLE_1)
	s_and_b32 exec_lo, exec_lo, s5
	s_cbranch_execz .LBB25_397
; %bb.330:                              ;   in Loop: Header=BB25_10 Depth=1
	s_clause 0x1
	scratch_load_b32 v1, off, off offset:424
	scratch_load_b64 v[2:3], off, off offset:396
	s_waitcnt vmcnt(1)
	v_add_nc_u32_e32 v1, s66, v1
	s_waitcnt vmcnt(0)
	v_or_b32_e32 v2, s88, v2
	s_delay_alu instid0(VALU_DEP_1) | instskip(SKIP_2) | instid1(VALU_DEP_3)
	v_cmp_gt_i32_e64 s5, s68, v2
	v_mov_b32_e32 v2, 0x47
	v_cmp_gt_i32_e32 vcc_lo, s8, v1
	s_and_b32 s5, vcc_lo, s5
	s_delay_alu instid0(SALU_CYCLE_1)
	s_and_saveexec_b32 s52, s5
	s_cbranch_execz .LBB25_332
; %bb.331:                              ;   in Loop: Header=BB25_10 Depth=1
	s_clause 0x1
	scratch_load_b32 v2, off, off offset:436
	scratch_load_b32 v7, off, off offset:440
	s_waitcnt vmcnt(1)
	v_add_nc_u32_e32 v6, 0, v2
	s_waitcnt vmcnt(0)
	ds_load_2addr_b32 v[2:3], v7 offset1:32
	ds_load_2addr_b32 v[4:5], v6 offset0:64 offset1:65
	ds_load_b32 v7, v7 offset:4352
	ds_load_b32 v6, v6 offset:4608
	s_clause 0x1
	scratch_load_b32 v8, off, off offset:444
	scratch_load_b64 v[13:14], off, off offset:396
	s_waitcnt lgkmcnt(2)
	v_fma_mix_f32 v9, v4, v2, 0 op_sel_hi:[0,1,0]
	v_fma_mix_f32 v2, v4, v2, 0 op_sel:[0,1,0] op_sel_hi:[0,1,0]
	v_fma_mix_f32 v10, v4, v3, 0 op_sel_hi:[0,1,0]
	v_fma_mix_f32 v3, v4, v3, 0 op_sel:[0,1,0] op_sel_hi:[0,1,0]
	s_waitcnt lgkmcnt(0)
	v_fma_mix_f32 v4, v6, v7, v9 op_sel_hi:[0,1,0]
	v_fma_mix_f32 v7, v6, v7, v2 op_sel:[0,1,0] op_sel_hi:[0,1,0]
	s_delay_alu instid0(VALU_DEP_2) | instskip(NEXT) | instid1(VALU_DEP_2)
	v_div_scale_f32 v16, vcc_lo, v4, v5, v4
	v_div_scale_f32 v17, s5, v7, v5, v7
	s_waitcnt vmcnt(1)
	ds_load_b32 v8, v8 offset:4352
	s_waitcnt lgkmcnt(0)
	v_fma_mix_f32 v9, v6, v8, v10 op_sel_hi:[0,1,0]
	v_fma_mix_f32 v10, v6, v8, v3 op_sel:[0,1,0] op_sel_hi:[0,1,0]
	v_div_scale_f32 v6, null, v5, v5, v4
	s_waitcnt vmcnt(0)
	v_mad_u64_u32 v[2:3], null, v1, s9, v[13:14]
	v_div_scale_f32 v8, null, v5, v5, v7
	s_delay_alu instid0(VALU_DEP_3) | instskip(SKIP_1) | instid1(VALU_DEP_2)
	v_rcp_f32_e32 v3, v6
	v_div_scale_f32 v11, null, v5, v5, v9
	v_rcp_f32_e32 v13, v8
	v_div_scale_f32 v12, null, v5, v5, v10
	s_delay_alu instid0(VALU_DEP_2) | instskip(SKIP_1) | instid1(VALU_DEP_2)
	v_rcp_f32_e32 v14, v11
	v_div_scale_f32 v18, s6, v9, v5, v9
	v_rcp_f32_e32 v15, v12
	v_fma_f32 v1, -v6, v3, 1.0
	v_div_scale_f32 v22, s7, v10, v5, v10
	s_delay_alu instid0(TRANS32_DEP_3) | instskip(NEXT) | instid1(VALU_DEP_3)
	v_fma_f32 v19, -v8, v13, 1.0
	v_fmac_f32_e32 v3, v1, v3
	scratch_load_b32 v1, off, off offset:84 ; 4-byte Folded Reload
	v_fma_f32 v20, -v11, v14, 1.0
	v_fmac_f32_e32 v13, v19, v13
	v_fma_f32 v21, -v12, v15, 1.0
	v_mul_f32_e32 v19, v16, v3
	s_delay_alu instid0(VALU_DEP_4) | instskip(NEXT) | instid1(VALU_DEP_4)
	v_fmac_f32_e32 v14, v20, v14
	v_mul_f32_e32 v20, v17, v13
	s_delay_alu instid0(VALU_DEP_4) | instskip(NEXT) | instid1(VALU_DEP_4)
	v_fmac_f32_e32 v15, v21, v15
	v_fma_f32 v24, -v6, v19, v16
	s_delay_alu instid0(VALU_DEP_3) | instskip(SKIP_1) | instid1(VALU_DEP_4)
	v_fma_f32 v25, -v8, v20, v17
	v_mul_f32_e32 v21, v18, v14
	v_mul_f32_e32 v23, v22, v15
	s_delay_alu instid0(VALU_DEP_3) | instskip(NEXT) | instid1(VALU_DEP_3)
	v_dual_fmac_f32 v19, v24, v3 :: v_dual_fmac_f32 v20, v25, v13
	v_fma_f32 v26, -v11, v21, v18
	s_delay_alu instid0(VALU_DEP_3) | instskip(NEXT) | instid1(VALU_DEP_3)
	v_fma_f32 v27, -v12, v23, v22
	v_fma_f32 v6, -v6, v19, v16
	s_delay_alu instid0(VALU_DEP_4) | instskip(NEXT) | instid1(VALU_DEP_4)
	v_fma_f32 v8, -v8, v20, v17
	v_fmac_f32_e32 v21, v26, v14
	s_delay_alu instid0(VALU_DEP_4) | instskip(NEXT) | instid1(VALU_DEP_4)
	v_fmac_f32_e32 v23, v27, v15
	v_div_fmas_f32 v3, v6, v3, v19
	s_mov_b32 vcc_lo, s5
	s_delay_alu instid0(VALU_DEP_3) | instskip(NEXT) | instid1(VALU_DEP_3)
	v_fma_f32 v11, -v11, v21, v18
	v_fma_f32 v12, -v12, v23, v22
	v_div_fmas_f32 v6, v8, v13, v20
	s_mov_b32 vcc_lo, s6
	v_div_fixup_f32 v3, v3, v5, v4
	v_div_fmas_f32 v8, v11, v14, v21
	s_mov_b32 vcc_lo, s7
	v_div_fixup_f32 v4, v6, v5, v7
	v_div_fmas_f32 v11, v12, v15, v23
	v_mbcnt_lo_u32_b32 v15, -1, 0
	v_div_fixup_f32 v8, v8, v5, v9
	s_delay_alu instid0(VALU_DEP_3) | instskip(SKIP_2) | instid1(VALU_DEP_1)
	v_div_fixup_f32 v9, v11, v5, v10
	s_waitcnt vmcnt(0)
	v_lshl_add_u32 v1, v2, 6, v1
	v_ashrrev_i32_e32 v2, 31, v1
	s_delay_alu instid0(VALU_DEP_1) | instskip(NEXT) | instid1(VALU_DEP_1)
	v_lshlrev_b64 v[1:2], 3, v[1:2]
	v_add_co_u32 v6, vcc_lo, s59, v1
	s_delay_alu instid0(VALU_DEP_2)
	v_add_co_ci_u32_e32 v7, vcc_lo, s87, v2, vcc_lo
	v_mov_b32_e32 v2, 0
	s_clause 0x1
	global_store_b64 v[6:7], v[3:4], off
	global_store_b64 v[6:7], v[8:9], off offset:256
.LBB25_332:                             ;   in Loop: Header=BB25_10 Depth=1
	s_or_b32 exec_lo, exec_lo, s52
	s_mov_b32 s5, -1
	s_mov_b32 s6, exec_lo
	v_cmpx_gt_i32_e32 0x47, v2
; %bb.333:                              ;   in Loop: Header=BB25_10 Depth=1
	v_cmp_eq_u32_e32 vcc_lo, 0, v2
	s_or_not1_b32 s5, vcc_lo, exec_lo
; %bb.334:                              ;   in Loop: Header=BB25_10 Depth=1
	s_or_b32 exec_lo, exec_lo, s6
	s_delay_alu instid0(SALU_CYCLE_1)
	s_and_b32 exec_lo, exec_lo, s5
	s_cbranch_execz .LBB25_397
; %bb.335:                              ;   in Loop: Header=BB25_10 Depth=1
	s_clause 0x1
	scratch_load_b32 v1, off, off offset:448
	scratch_load_b64 v[2:3], off, off offset:428
	s_waitcnt vmcnt(1)
	v_add_nc_u32_e32 v1, s66, v1
	s_waitcnt vmcnt(0)
	v_or_b32_e32 v2, s88, v2
	s_delay_alu instid0(VALU_DEP_1) | instskip(SKIP_2) | instid1(VALU_DEP_3)
	v_cmp_gt_i32_e64 s5, s68, v2
	v_mov_b32_e32 v2, 0x47
	v_cmp_gt_i32_e32 vcc_lo, s8, v1
	s_and_b32 s5, vcc_lo, s5
	s_delay_alu instid0(SALU_CYCLE_1)
	s_and_saveexec_b32 s52, s5
	s_cbranch_execz .LBB25_337
; %bb.336:                              ;   in Loop: Header=BB25_10 Depth=1
	s_clause 0x1
	scratch_load_b32 v2, off, off offset:460
	scratch_load_b32 v7, off, off offset:464
	s_waitcnt vmcnt(1)
	v_add_nc_u32_e32 v6, 0, v2
	s_waitcnt vmcnt(0)
	ds_load_2addr_b32 v[2:3], v7 offset1:32
	ds_load_2addr_b32 v[4:5], v6 offset0:64 offset1:65
	ds_load_b32 v7, v7 offset:4352
	ds_load_b32 v6, v6 offset:4608
	s_clause 0x1
	scratch_load_b32 v8, off, off offset:468
	scratch_load_b64 v[13:14], off, off offset:428
	s_waitcnt lgkmcnt(2)
	v_fma_mix_f32 v9, v4, v2, 0 op_sel_hi:[0,1,0]
	v_fma_mix_f32 v2, v4, v2, 0 op_sel:[0,1,0] op_sel_hi:[0,1,0]
	v_fma_mix_f32 v10, v4, v3, 0 op_sel_hi:[0,1,0]
	v_fma_mix_f32 v3, v4, v3, 0 op_sel:[0,1,0] op_sel_hi:[0,1,0]
	s_waitcnt lgkmcnt(0)
	v_fma_mix_f32 v4, v6, v7, v9 op_sel_hi:[0,1,0]
	v_fma_mix_f32 v7, v6, v7, v2 op_sel:[0,1,0] op_sel_hi:[0,1,0]
	s_delay_alu instid0(VALU_DEP_2) | instskip(NEXT) | instid1(VALU_DEP_2)
	v_div_scale_f32 v16, vcc_lo, v4, v5, v4
	v_div_scale_f32 v17, s5, v7, v5, v7
	s_waitcnt vmcnt(1)
	ds_load_b32 v8, v8 offset:4352
	s_waitcnt lgkmcnt(0)
	v_fma_mix_f32 v9, v6, v8, v10 op_sel_hi:[0,1,0]
	v_fma_mix_f32 v10, v6, v8, v3 op_sel:[0,1,0] op_sel_hi:[0,1,0]
	v_div_scale_f32 v6, null, v5, v5, v4
	s_waitcnt vmcnt(0)
	v_mad_u64_u32 v[2:3], null, v1, s9, v[13:14]
	v_div_scale_f32 v8, null, v5, v5, v7
	s_delay_alu instid0(VALU_DEP_3) | instskip(SKIP_1) | instid1(VALU_DEP_2)
	v_rcp_f32_e32 v3, v6
	v_div_scale_f32 v11, null, v5, v5, v9
	v_rcp_f32_e32 v13, v8
	v_div_scale_f32 v12, null, v5, v5, v10
	s_delay_alu instid0(VALU_DEP_2) | instskip(SKIP_1) | instid1(VALU_DEP_2)
	v_rcp_f32_e32 v14, v11
	v_div_scale_f32 v18, s6, v9, v5, v9
	v_rcp_f32_e32 v15, v12
	v_fma_f32 v1, -v6, v3, 1.0
	v_div_scale_f32 v22, s7, v10, v5, v10
	s_delay_alu instid0(TRANS32_DEP_3) | instskip(NEXT) | instid1(VALU_DEP_3)
	v_fma_f32 v19, -v8, v13, 1.0
	v_fmac_f32_e32 v3, v1, v3
	scratch_load_b32 v1, off, off offset:84 ; 4-byte Folded Reload
	v_fma_f32 v20, -v11, v14, 1.0
	v_fmac_f32_e32 v13, v19, v13
	v_fma_f32 v21, -v12, v15, 1.0
	v_mul_f32_e32 v19, v16, v3
	s_delay_alu instid0(VALU_DEP_4) | instskip(NEXT) | instid1(VALU_DEP_4)
	v_fmac_f32_e32 v14, v20, v14
	v_mul_f32_e32 v20, v17, v13
	s_delay_alu instid0(VALU_DEP_4) | instskip(NEXT) | instid1(VALU_DEP_4)
	v_fmac_f32_e32 v15, v21, v15
	v_fma_f32 v24, -v6, v19, v16
	s_delay_alu instid0(VALU_DEP_3) | instskip(SKIP_1) | instid1(VALU_DEP_4)
	v_fma_f32 v25, -v8, v20, v17
	v_mul_f32_e32 v21, v18, v14
	v_mul_f32_e32 v23, v22, v15
	s_delay_alu instid0(VALU_DEP_3) | instskip(NEXT) | instid1(VALU_DEP_3)
	v_dual_fmac_f32 v19, v24, v3 :: v_dual_fmac_f32 v20, v25, v13
	v_fma_f32 v26, -v11, v21, v18
	s_delay_alu instid0(VALU_DEP_3) | instskip(NEXT) | instid1(VALU_DEP_3)
	v_fma_f32 v27, -v12, v23, v22
	v_fma_f32 v6, -v6, v19, v16
	s_delay_alu instid0(VALU_DEP_4) | instskip(NEXT) | instid1(VALU_DEP_4)
	v_fma_f32 v8, -v8, v20, v17
	v_fmac_f32_e32 v21, v26, v14
	s_delay_alu instid0(VALU_DEP_4) | instskip(NEXT) | instid1(VALU_DEP_4)
	v_fmac_f32_e32 v23, v27, v15
	v_div_fmas_f32 v3, v6, v3, v19
	s_mov_b32 vcc_lo, s5
	s_delay_alu instid0(VALU_DEP_3) | instskip(NEXT) | instid1(VALU_DEP_3)
	v_fma_f32 v11, -v11, v21, v18
	v_fma_f32 v12, -v12, v23, v22
	v_div_fmas_f32 v6, v8, v13, v20
	s_mov_b32 vcc_lo, s6
	v_div_fixup_f32 v3, v3, v5, v4
	v_div_fmas_f32 v8, v11, v14, v21
	s_mov_b32 vcc_lo, s7
	v_div_fixup_f32 v4, v6, v5, v7
	v_div_fmas_f32 v11, v12, v15, v23
	v_mbcnt_lo_u32_b32 v15, -1, 0
	v_div_fixup_f32 v8, v8, v5, v9
	s_delay_alu instid0(VALU_DEP_3) | instskip(SKIP_2) | instid1(VALU_DEP_1)
	v_div_fixup_f32 v9, v11, v5, v10
	s_waitcnt vmcnt(0)
	v_lshl_add_u32 v1, v2, 6, v1
	v_ashrrev_i32_e32 v2, 31, v1
	s_delay_alu instid0(VALU_DEP_1) | instskip(NEXT) | instid1(VALU_DEP_1)
	v_lshlrev_b64 v[1:2], 3, v[1:2]
	v_add_co_u32 v6, vcc_lo, s59, v1
	s_delay_alu instid0(VALU_DEP_2)
	v_add_co_ci_u32_e32 v7, vcc_lo, s87, v2, vcc_lo
	v_mov_b32_e32 v2, 0
	s_clause 0x1
	global_store_b64 v[6:7], v[3:4], off
	global_store_b64 v[6:7], v[8:9], off offset:256
.LBB25_337:                             ;   in Loop: Header=BB25_10 Depth=1
	s_or_b32 exec_lo, exec_lo, s52
	s_mov_b32 s5, -1
	s_mov_b32 s6, exec_lo
	v_cmpx_gt_i32_e32 0x47, v2
; %bb.338:                              ;   in Loop: Header=BB25_10 Depth=1
	v_cmp_eq_u32_e32 vcc_lo, 0, v2
	s_or_not1_b32 s5, vcc_lo, exec_lo
; %bb.339:                              ;   in Loop: Header=BB25_10 Depth=1
	s_or_b32 exec_lo, exec_lo, s6
	s_delay_alu instid0(SALU_CYCLE_1)
	s_and_b32 exec_lo, exec_lo, s5
	s_cbranch_execz .LBB25_397
; %bb.340:                              ;   in Loop: Header=BB25_10 Depth=1
	s_clause 0x1
	scratch_load_b32 v1, off, off offset:472
	scratch_load_b64 v[2:3], off, off offset:452
	s_waitcnt vmcnt(1)
	v_add_nc_u32_e32 v1, s66, v1
	s_waitcnt vmcnt(0)
	v_or_b32_e32 v2, s88, v2
	s_delay_alu instid0(VALU_DEP_1) | instskip(SKIP_2) | instid1(VALU_DEP_3)
	v_cmp_gt_i32_e64 s5, s68, v2
	v_mov_b32_e32 v2, 0x47
	v_cmp_gt_i32_e32 vcc_lo, s8, v1
	s_and_b32 s5, vcc_lo, s5
	s_delay_alu instid0(SALU_CYCLE_1)
	s_and_saveexec_b32 s52, s5
	s_cbranch_execz .LBB25_342
; %bb.341:                              ;   in Loop: Header=BB25_10 Depth=1
	s_clause 0x1
	scratch_load_b32 v2, off, off offset:524
	scratch_load_b32 v7, off, off offset:528
	s_waitcnt vmcnt(1)
	v_add_nc_u32_e32 v6, 0, v2
	s_waitcnt vmcnt(0)
	ds_load_2addr_b32 v[2:3], v7 offset1:32
	ds_load_2addr_b32 v[4:5], v6 offset0:64 offset1:65
	ds_load_b32 v7, v7 offset:4352
	ds_load_b32 v6, v6 offset:4608
	s_clause 0x1
	scratch_load_b32 v8, off, off offset:532
	scratch_load_b64 v[13:14], off, off offset:452
	s_waitcnt lgkmcnt(2)
	v_fma_mix_f32 v9, v4, v2, 0 op_sel_hi:[0,1,0]
	v_fma_mix_f32 v2, v4, v2, 0 op_sel:[0,1,0] op_sel_hi:[0,1,0]
	v_fma_mix_f32 v10, v4, v3, 0 op_sel_hi:[0,1,0]
	v_fma_mix_f32 v3, v4, v3, 0 op_sel:[0,1,0] op_sel_hi:[0,1,0]
	s_waitcnt lgkmcnt(0)
	v_fma_mix_f32 v4, v6, v7, v9 op_sel_hi:[0,1,0]
	v_fma_mix_f32 v7, v6, v7, v2 op_sel:[0,1,0] op_sel_hi:[0,1,0]
	s_delay_alu instid0(VALU_DEP_2) | instskip(NEXT) | instid1(VALU_DEP_2)
	v_div_scale_f32 v16, vcc_lo, v4, v5, v4
	v_div_scale_f32 v17, s5, v7, v5, v7
	s_waitcnt vmcnt(1)
	ds_load_b32 v8, v8 offset:4352
	s_waitcnt lgkmcnt(0)
	v_fma_mix_f32 v9, v6, v8, v10 op_sel_hi:[0,1,0]
	v_fma_mix_f32 v10, v6, v8, v3 op_sel:[0,1,0] op_sel_hi:[0,1,0]
	v_div_scale_f32 v6, null, v5, v5, v4
	s_waitcnt vmcnt(0)
	v_mad_u64_u32 v[2:3], null, v1, s9, v[13:14]
	v_div_scale_f32 v8, null, v5, v5, v7
	s_delay_alu instid0(VALU_DEP_3) | instskip(SKIP_1) | instid1(VALU_DEP_2)
	v_rcp_f32_e32 v3, v6
	v_div_scale_f32 v11, null, v5, v5, v9
	v_rcp_f32_e32 v13, v8
	v_div_scale_f32 v12, null, v5, v5, v10
	s_delay_alu instid0(VALU_DEP_2) | instskip(SKIP_1) | instid1(VALU_DEP_2)
	v_rcp_f32_e32 v14, v11
	v_div_scale_f32 v18, s6, v9, v5, v9
	v_rcp_f32_e32 v15, v12
	v_fma_f32 v1, -v6, v3, 1.0
	v_div_scale_f32 v22, s7, v10, v5, v10
	s_delay_alu instid0(TRANS32_DEP_3) | instskip(NEXT) | instid1(VALU_DEP_3)
	v_fma_f32 v19, -v8, v13, 1.0
	v_fmac_f32_e32 v3, v1, v3
	scratch_load_b32 v1, off, off offset:84 ; 4-byte Folded Reload
	v_fma_f32 v20, -v11, v14, 1.0
	v_fmac_f32_e32 v13, v19, v13
	v_fma_f32 v21, -v12, v15, 1.0
	v_mul_f32_e32 v19, v16, v3
	s_delay_alu instid0(VALU_DEP_4) | instskip(NEXT) | instid1(VALU_DEP_4)
	v_fmac_f32_e32 v14, v20, v14
	v_mul_f32_e32 v20, v17, v13
	s_delay_alu instid0(VALU_DEP_4) | instskip(NEXT) | instid1(VALU_DEP_4)
	v_fmac_f32_e32 v15, v21, v15
	v_fma_f32 v24, -v6, v19, v16
	s_delay_alu instid0(VALU_DEP_3) | instskip(SKIP_1) | instid1(VALU_DEP_4)
	v_fma_f32 v25, -v8, v20, v17
	v_mul_f32_e32 v21, v18, v14
	v_mul_f32_e32 v23, v22, v15
	s_delay_alu instid0(VALU_DEP_3) | instskip(NEXT) | instid1(VALU_DEP_3)
	v_dual_fmac_f32 v19, v24, v3 :: v_dual_fmac_f32 v20, v25, v13
	v_fma_f32 v26, -v11, v21, v18
	s_delay_alu instid0(VALU_DEP_3) | instskip(NEXT) | instid1(VALU_DEP_3)
	v_fma_f32 v27, -v12, v23, v22
	v_fma_f32 v6, -v6, v19, v16
	s_delay_alu instid0(VALU_DEP_4) | instskip(NEXT) | instid1(VALU_DEP_4)
	v_fma_f32 v8, -v8, v20, v17
	v_fmac_f32_e32 v21, v26, v14
	s_delay_alu instid0(VALU_DEP_4) | instskip(NEXT) | instid1(VALU_DEP_4)
	v_fmac_f32_e32 v23, v27, v15
	v_div_fmas_f32 v3, v6, v3, v19
	s_mov_b32 vcc_lo, s5
	s_delay_alu instid0(VALU_DEP_3) | instskip(NEXT) | instid1(VALU_DEP_3)
	v_fma_f32 v11, -v11, v21, v18
	v_fma_f32 v12, -v12, v23, v22
	v_div_fmas_f32 v6, v8, v13, v20
	s_mov_b32 vcc_lo, s6
	v_div_fixup_f32 v3, v3, v5, v4
	v_div_fmas_f32 v8, v11, v14, v21
	s_mov_b32 vcc_lo, s7
	v_div_fixup_f32 v4, v6, v5, v7
	v_div_fmas_f32 v11, v12, v15, v23
	v_mbcnt_lo_u32_b32 v15, -1, 0
	v_div_fixup_f32 v8, v8, v5, v9
	s_delay_alu instid0(VALU_DEP_3) | instskip(SKIP_2) | instid1(VALU_DEP_1)
	v_div_fixup_f32 v9, v11, v5, v10
	s_waitcnt vmcnt(0)
	v_lshl_add_u32 v1, v2, 6, v1
	v_ashrrev_i32_e32 v2, 31, v1
	s_delay_alu instid0(VALU_DEP_1) | instskip(NEXT) | instid1(VALU_DEP_1)
	v_lshlrev_b64 v[1:2], 3, v[1:2]
	v_add_co_u32 v6, vcc_lo, s59, v1
	s_delay_alu instid0(VALU_DEP_2)
	v_add_co_ci_u32_e32 v7, vcc_lo, s87, v2, vcc_lo
	v_mov_b32_e32 v2, 0
	s_clause 0x1
	global_store_b64 v[6:7], v[3:4], off
	global_store_b64 v[6:7], v[8:9], off offset:256
.LBB25_342:                             ;   in Loop: Header=BB25_10 Depth=1
	s_or_b32 exec_lo, exec_lo, s52
	s_mov_b32 s5, -1
	s_mov_b32 s6, exec_lo
	v_cmpx_gt_i32_e32 0x47, v2
; %bb.343:                              ;   in Loop: Header=BB25_10 Depth=1
	v_cmp_eq_u32_e32 vcc_lo, 0, v2
	s_or_not1_b32 s5, vcc_lo, exec_lo
; %bb.344:                              ;   in Loop: Header=BB25_10 Depth=1
	s_or_b32 exec_lo, exec_lo, s6
	s_delay_alu instid0(SALU_CYCLE_1)
	s_and_b32 exec_lo, exec_lo, s5
	s_cbranch_execz .LBB25_397
; %bb.345:                              ;   in Loop: Header=BB25_10 Depth=1
	s_clause 0x1
	scratch_load_b32 v1, off, off offset:536
	scratch_load_b64 v[2:3], off, off offset:516
	s_waitcnt vmcnt(1)
	v_add_nc_u32_e32 v1, s66, v1
	s_waitcnt vmcnt(0)
	v_or_b32_e32 v2, s88, v2
	s_delay_alu instid0(VALU_DEP_1) | instskip(SKIP_2) | instid1(VALU_DEP_3)
	v_cmp_gt_i32_e64 s5, s68, v2
	v_mov_b32_e32 v2, 0x47
	v_cmp_gt_i32_e32 vcc_lo, s8, v1
	s_and_b32 s5, vcc_lo, s5
	s_delay_alu instid0(SALU_CYCLE_1)
	s_and_saveexec_b32 s52, s5
	s_cbranch_execz .LBB25_347
; %bb.346:                              ;   in Loop: Header=BB25_10 Depth=1
	s_clause 0x1
	scratch_load_b32 v2, off, off offset:548
	scratch_load_b32 v7, off, off offset:552
	s_waitcnt vmcnt(1)
	v_add_nc_u32_e32 v6, 0, v2
	s_waitcnt vmcnt(0)
	ds_load_2addr_b32 v[2:3], v7 offset1:32
	ds_load_2addr_b32 v[4:5], v6 offset0:64 offset1:65
	ds_load_b32 v7, v7 offset:4352
	ds_load_b32 v6, v6 offset:4608
	s_clause 0x1
	scratch_load_b32 v8, off, off offset:556
	scratch_load_b64 v[13:14], off, off offset:516
	s_waitcnt lgkmcnt(2)
	v_fma_mix_f32 v9, v4, v2, 0 op_sel_hi:[0,1,0]
	v_fma_mix_f32 v2, v4, v2, 0 op_sel:[0,1,0] op_sel_hi:[0,1,0]
	v_fma_mix_f32 v10, v4, v3, 0 op_sel_hi:[0,1,0]
	v_fma_mix_f32 v3, v4, v3, 0 op_sel:[0,1,0] op_sel_hi:[0,1,0]
	s_waitcnt lgkmcnt(0)
	v_fma_mix_f32 v4, v6, v7, v9 op_sel_hi:[0,1,0]
	v_fma_mix_f32 v7, v6, v7, v2 op_sel:[0,1,0] op_sel_hi:[0,1,0]
	s_delay_alu instid0(VALU_DEP_2) | instskip(NEXT) | instid1(VALU_DEP_2)
	v_div_scale_f32 v16, vcc_lo, v4, v5, v4
	v_div_scale_f32 v17, s5, v7, v5, v7
	s_waitcnt vmcnt(1)
	ds_load_b32 v8, v8 offset:4352
	s_waitcnt lgkmcnt(0)
	v_fma_mix_f32 v9, v6, v8, v10 op_sel_hi:[0,1,0]
	v_fma_mix_f32 v10, v6, v8, v3 op_sel:[0,1,0] op_sel_hi:[0,1,0]
	v_div_scale_f32 v6, null, v5, v5, v4
	s_waitcnt vmcnt(0)
	v_mad_u64_u32 v[2:3], null, v1, s9, v[13:14]
	v_div_scale_f32 v8, null, v5, v5, v7
	s_delay_alu instid0(VALU_DEP_3) | instskip(SKIP_1) | instid1(VALU_DEP_2)
	v_rcp_f32_e32 v3, v6
	v_div_scale_f32 v11, null, v5, v5, v9
	v_rcp_f32_e32 v13, v8
	v_div_scale_f32 v12, null, v5, v5, v10
	s_delay_alu instid0(VALU_DEP_2) | instskip(SKIP_1) | instid1(VALU_DEP_2)
	v_rcp_f32_e32 v14, v11
	v_div_scale_f32 v18, s6, v9, v5, v9
	v_rcp_f32_e32 v15, v12
	v_fma_f32 v1, -v6, v3, 1.0
	v_div_scale_f32 v22, s7, v10, v5, v10
	s_delay_alu instid0(TRANS32_DEP_3) | instskip(NEXT) | instid1(VALU_DEP_3)
	v_fma_f32 v19, -v8, v13, 1.0
	v_fmac_f32_e32 v3, v1, v3
	scratch_load_b32 v1, off, off offset:84 ; 4-byte Folded Reload
	v_fma_f32 v20, -v11, v14, 1.0
	v_fmac_f32_e32 v13, v19, v13
	v_fma_f32 v21, -v12, v15, 1.0
	v_mul_f32_e32 v19, v16, v3
	s_delay_alu instid0(VALU_DEP_4) | instskip(NEXT) | instid1(VALU_DEP_4)
	v_fmac_f32_e32 v14, v20, v14
	v_mul_f32_e32 v20, v17, v13
	s_delay_alu instid0(VALU_DEP_4) | instskip(NEXT) | instid1(VALU_DEP_4)
	v_fmac_f32_e32 v15, v21, v15
	v_fma_f32 v24, -v6, v19, v16
	s_delay_alu instid0(VALU_DEP_3) | instskip(SKIP_1) | instid1(VALU_DEP_4)
	v_fma_f32 v25, -v8, v20, v17
	v_mul_f32_e32 v21, v18, v14
	v_mul_f32_e32 v23, v22, v15
	s_delay_alu instid0(VALU_DEP_3) | instskip(NEXT) | instid1(VALU_DEP_3)
	v_dual_fmac_f32 v19, v24, v3 :: v_dual_fmac_f32 v20, v25, v13
	v_fma_f32 v26, -v11, v21, v18
	s_delay_alu instid0(VALU_DEP_3) | instskip(NEXT) | instid1(VALU_DEP_3)
	v_fma_f32 v27, -v12, v23, v22
	v_fma_f32 v6, -v6, v19, v16
	s_delay_alu instid0(VALU_DEP_4) | instskip(NEXT) | instid1(VALU_DEP_4)
	v_fma_f32 v8, -v8, v20, v17
	v_fmac_f32_e32 v21, v26, v14
	s_delay_alu instid0(VALU_DEP_4) | instskip(NEXT) | instid1(VALU_DEP_4)
	v_fmac_f32_e32 v23, v27, v15
	v_div_fmas_f32 v3, v6, v3, v19
	s_mov_b32 vcc_lo, s5
	s_delay_alu instid0(VALU_DEP_3) | instskip(NEXT) | instid1(VALU_DEP_3)
	v_fma_f32 v11, -v11, v21, v18
	v_fma_f32 v12, -v12, v23, v22
	v_div_fmas_f32 v6, v8, v13, v20
	s_mov_b32 vcc_lo, s6
	v_div_fixup_f32 v3, v3, v5, v4
	v_div_fmas_f32 v8, v11, v14, v21
	s_mov_b32 vcc_lo, s7
	v_div_fixup_f32 v4, v6, v5, v7
	v_div_fmas_f32 v11, v12, v15, v23
	v_mbcnt_lo_u32_b32 v15, -1, 0
	v_div_fixup_f32 v8, v8, v5, v9
	s_delay_alu instid0(VALU_DEP_3) | instskip(SKIP_2) | instid1(VALU_DEP_1)
	v_div_fixup_f32 v9, v11, v5, v10
	s_waitcnt vmcnt(0)
	v_lshl_add_u32 v1, v2, 6, v1
	v_ashrrev_i32_e32 v2, 31, v1
	s_delay_alu instid0(VALU_DEP_1) | instskip(NEXT) | instid1(VALU_DEP_1)
	v_lshlrev_b64 v[1:2], 3, v[1:2]
	v_add_co_u32 v6, vcc_lo, s59, v1
	s_delay_alu instid0(VALU_DEP_2)
	v_add_co_ci_u32_e32 v7, vcc_lo, s87, v2, vcc_lo
	v_mov_b32_e32 v2, 0
	s_clause 0x1
	global_store_b64 v[6:7], v[3:4], off
	global_store_b64 v[6:7], v[8:9], off offset:256
.LBB25_347:                             ;   in Loop: Header=BB25_10 Depth=1
	s_or_b32 exec_lo, exec_lo, s52
	s_mov_b32 s5, -1
	s_mov_b32 s6, exec_lo
	v_cmpx_gt_i32_e32 0x47, v2
; %bb.348:                              ;   in Loop: Header=BB25_10 Depth=1
	v_cmp_eq_u32_e32 vcc_lo, 0, v2
	s_or_not1_b32 s5, vcc_lo, exec_lo
; %bb.349:                              ;   in Loop: Header=BB25_10 Depth=1
	s_or_b32 exec_lo, exec_lo, s6
	s_delay_alu instid0(SALU_CYCLE_1)
	s_and_b32 exec_lo, exec_lo, s5
	s_cbranch_execz .LBB25_397
; %bb.350:                              ;   in Loop: Header=BB25_10 Depth=1
	s_clause 0x1
	scratch_load_b32 v1, off, off offset:560
	scratch_load_b64 v[2:3], off, off offset:540
	s_waitcnt vmcnt(1)
	v_add_nc_u32_e32 v1, s66, v1
	s_waitcnt vmcnt(0)
	v_or_b32_e32 v2, s88, v2
	s_delay_alu instid0(VALU_DEP_1) | instskip(SKIP_2) | instid1(VALU_DEP_3)
	v_cmp_gt_i32_e64 s5, s68, v2
	v_mov_b32_e32 v2, 0x47
	v_cmp_gt_i32_e32 vcc_lo, s8, v1
	s_and_b32 s5, vcc_lo, s5
	s_delay_alu instid0(SALU_CYCLE_1)
	s_and_saveexec_b32 s52, s5
	s_cbranch_execz .LBB25_352
; %bb.351:                              ;   in Loop: Header=BB25_10 Depth=1
	s_clause 0x1
	scratch_load_b32 v2, off, off offset:572
	scratch_load_b32 v7, off, off offset:576
	s_waitcnt vmcnt(1)
	v_add_nc_u32_e32 v6, 0, v2
	s_waitcnt vmcnt(0)
	ds_load_2addr_b32 v[2:3], v7 offset1:32
	ds_load_2addr_b32 v[4:5], v6 offset0:64 offset1:65
	ds_load_b32 v7, v7 offset:4352
	ds_load_b32 v6, v6 offset:4608
	s_clause 0x1
	scratch_load_b32 v8, off, off offset:580
	scratch_load_b64 v[13:14], off, off offset:540
	s_waitcnt lgkmcnt(2)
	v_fma_mix_f32 v9, v4, v2, 0 op_sel_hi:[0,1,0]
	v_fma_mix_f32 v2, v4, v2, 0 op_sel:[0,1,0] op_sel_hi:[0,1,0]
	v_fma_mix_f32 v10, v4, v3, 0 op_sel_hi:[0,1,0]
	v_fma_mix_f32 v3, v4, v3, 0 op_sel:[0,1,0] op_sel_hi:[0,1,0]
	s_waitcnt lgkmcnt(0)
	v_fma_mix_f32 v4, v6, v7, v9 op_sel_hi:[0,1,0]
	v_fma_mix_f32 v7, v6, v7, v2 op_sel:[0,1,0] op_sel_hi:[0,1,0]
	s_delay_alu instid0(VALU_DEP_2) | instskip(NEXT) | instid1(VALU_DEP_2)
	v_div_scale_f32 v16, vcc_lo, v4, v5, v4
	v_div_scale_f32 v17, s5, v7, v5, v7
	s_waitcnt vmcnt(1)
	ds_load_b32 v8, v8 offset:4352
	s_waitcnt lgkmcnt(0)
	v_fma_mix_f32 v9, v6, v8, v10 op_sel_hi:[0,1,0]
	v_fma_mix_f32 v10, v6, v8, v3 op_sel:[0,1,0] op_sel_hi:[0,1,0]
	v_div_scale_f32 v6, null, v5, v5, v4
	s_waitcnt vmcnt(0)
	v_mad_u64_u32 v[2:3], null, v1, s9, v[13:14]
	v_div_scale_f32 v8, null, v5, v5, v7
	s_delay_alu instid0(VALU_DEP_3) | instskip(SKIP_1) | instid1(VALU_DEP_2)
	v_rcp_f32_e32 v3, v6
	v_div_scale_f32 v11, null, v5, v5, v9
	v_rcp_f32_e32 v13, v8
	v_div_scale_f32 v12, null, v5, v5, v10
	s_delay_alu instid0(VALU_DEP_2) | instskip(SKIP_1) | instid1(VALU_DEP_2)
	v_rcp_f32_e32 v14, v11
	v_div_scale_f32 v18, s6, v9, v5, v9
	v_rcp_f32_e32 v15, v12
	v_fma_f32 v1, -v6, v3, 1.0
	v_div_scale_f32 v22, s7, v10, v5, v10
	s_delay_alu instid0(TRANS32_DEP_3) | instskip(NEXT) | instid1(VALU_DEP_3)
	v_fma_f32 v19, -v8, v13, 1.0
	v_fmac_f32_e32 v3, v1, v3
	scratch_load_b32 v1, off, off offset:84 ; 4-byte Folded Reload
	v_fma_f32 v20, -v11, v14, 1.0
	v_fmac_f32_e32 v13, v19, v13
	v_fma_f32 v21, -v12, v15, 1.0
	v_mul_f32_e32 v19, v16, v3
	s_delay_alu instid0(VALU_DEP_4) | instskip(NEXT) | instid1(VALU_DEP_4)
	v_fmac_f32_e32 v14, v20, v14
	v_mul_f32_e32 v20, v17, v13
	s_delay_alu instid0(VALU_DEP_4) | instskip(NEXT) | instid1(VALU_DEP_4)
	v_fmac_f32_e32 v15, v21, v15
	v_fma_f32 v24, -v6, v19, v16
	s_delay_alu instid0(VALU_DEP_3) | instskip(SKIP_1) | instid1(VALU_DEP_4)
	v_fma_f32 v25, -v8, v20, v17
	v_mul_f32_e32 v21, v18, v14
	v_mul_f32_e32 v23, v22, v15
	s_delay_alu instid0(VALU_DEP_3) | instskip(NEXT) | instid1(VALU_DEP_3)
	v_dual_fmac_f32 v19, v24, v3 :: v_dual_fmac_f32 v20, v25, v13
	v_fma_f32 v26, -v11, v21, v18
	s_delay_alu instid0(VALU_DEP_3) | instskip(NEXT) | instid1(VALU_DEP_3)
	v_fma_f32 v27, -v12, v23, v22
	v_fma_f32 v6, -v6, v19, v16
	s_delay_alu instid0(VALU_DEP_4) | instskip(NEXT) | instid1(VALU_DEP_4)
	v_fma_f32 v8, -v8, v20, v17
	v_fmac_f32_e32 v21, v26, v14
	s_delay_alu instid0(VALU_DEP_4) | instskip(NEXT) | instid1(VALU_DEP_4)
	v_fmac_f32_e32 v23, v27, v15
	v_div_fmas_f32 v3, v6, v3, v19
	s_mov_b32 vcc_lo, s5
	s_delay_alu instid0(VALU_DEP_3) | instskip(NEXT) | instid1(VALU_DEP_3)
	v_fma_f32 v11, -v11, v21, v18
	v_fma_f32 v12, -v12, v23, v22
	v_div_fmas_f32 v6, v8, v13, v20
	s_mov_b32 vcc_lo, s6
	v_div_fixup_f32 v3, v3, v5, v4
	v_div_fmas_f32 v8, v11, v14, v21
	s_mov_b32 vcc_lo, s7
	v_div_fixup_f32 v4, v6, v5, v7
	v_div_fmas_f32 v11, v12, v15, v23
	v_mbcnt_lo_u32_b32 v15, -1, 0
	v_div_fixup_f32 v8, v8, v5, v9
	s_delay_alu instid0(VALU_DEP_3) | instskip(SKIP_2) | instid1(VALU_DEP_1)
	v_div_fixup_f32 v9, v11, v5, v10
	s_waitcnt vmcnt(0)
	v_lshl_add_u32 v1, v2, 6, v1
	v_ashrrev_i32_e32 v2, 31, v1
	s_delay_alu instid0(VALU_DEP_1) | instskip(NEXT) | instid1(VALU_DEP_1)
	v_lshlrev_b64 v[1:2], 3, v[1:2]
	v_add_co_u32 v6, vcc_lo, s59, v1
	s_delay_alu instid0(VALU_DEP_2)
	v_add_co_ci_u32_e32 v7, vcc_lo, s87, v2, vcc_lo
	v_mov_b32_e32 v2, 0
	s_clause 0x1
	global_store_b64 v[6:7], v[3:4], off
	global_store_b64 v[6:7], v[8:9], off offset:256
.LBB25_352:                             ;   in Loop: Header=BB25_10 Depth=1
	s_or_b32 exec_lo, exec_lo, s52
	s_mov_b32 s5, -1
	s_mov_b32 s6, exec_lo
	v_cmpx_gt_i32_e32 0x47, v2
; %bb.353:                              ;   in Loop: Header=BB25_10 Depth=1
	v_cmp_eq_u32_e32 vcc_lo, 0, v2
	s_or_not1_b32 s5, vcc_lo, exec_lo
; %bb.354:                              ;   in Loop: Header=BB25_10 Depth=1
	s_or_b32 exec_lo, exec_lo, s6
	s_delay_alu instid0(SALU_CYCLE_1)
	s_and_b32 exec_lo, exec_lo, s5
	s_cbranch_execz .LBB25_397
; %bb.355:                              ;   in Loop: Header=BB25_10 Depth=1
	s_clause 0x1
	scratch_load_b32 v1, off, off offset:584
	scratch_load_b64 v[2:3], off, off offset:564
	s_waitcnt vmcnt(1)
	v_add_nc_u32_e32 v1, s66, v1
	s_waitcnt vmcnt(0)
	v_or_b32_e32 v2, s88, v2
	s_delay_alu instid0(VALU_DEP_1) | instskip(SKIP_2) | instid1(VALU_DEP_3)
	v_cmp_gt_i32_e64 s5, s68, v2
	v_mov_b32_e32 v2, 0x47
	v_cmp_gt_i32_e32 vcc_lo, s8, v1
	s_and_b32 s5, vcc_lo, s5
	s_delay_alu instid0(SALU_CYCLE_1)
	s_and_saveexec_b32 s52, s5
	s_cbranch_execz .LBB25_357
; %bb.356:                              ;   in Loop: Header=BB25_10 Depth=1
	s_clause 0x1
	scratch_load_b32 v2, off, off offset:588
	scratch_load_b32 v7, off, off offset:592
	s_waitcnt vmcnt(1)
	v_add_nc_u32_e32 v6, 0, v2
	s_waitcnt vmcnt(0)
	ds_load_2addr_b32 v[2:3], v7 offset1:32
	ds_load_2addr_b32 v[4:5], v6 offset0:64 offset1:65
	ds_load_b32 v7, v7 offset:4352
	ds_load_b32 v6, v6 offset:4608
	s_clause 0x1
	scratch_load_b32 v8, off, off offset:596
	scratch_load_b64 v[13:14], off, off offset:564
	s_waitcnt lgkmcnt(2)
	v_fma_mix_f32 v9, v4, v2, 0 op_sel_hi:[0,1,0]
	v_fma_mix_f32 v2, v4, v2, 0 op_sel:[0,1,0] op_sel_hi:[0,1,0]
	v_fma_mix_f32 v10, v4, v3, 0 op_sel_hi:[0,1,0]
	v_fma_mix_f32 v3, v4, v3, 0 op_sel:[0,1,0] op_sel_hi:[0,1,0]
	s_waitcnt lgkmcnt(0)
	v_fma_mix_f32 v4, v6, v7, v9 op_sel_hi:[0,1,0]
	v_fma_mix_f32 v7, v6, v7, v2 op_sel:[0,1,0] op_sel_hi:[0,1,0]
	s_delay_alu instid0(VALU_DEP_2) | instskip(NEXT) | instid1(VALU_DEP_2)
	v_div_scale_f32 v16, vcc_lo, v4, v5, v4
	v_div_scale_f32 v17, s5, v7, v5, v7
	s_waitcnt vmcnt(1)
	ds_load_b32 v8, v8 offset:4352
	s_waitcnt lgkmcnt(0)
	v_fma_mix_f32 v9, v6, v8, v10 op_sel_hi:[0,1,0]
	v_fma_mix_f32 v10, v6, v8, v3 op_sel:[0,1,0] op_sel_hi:[0,1,0]
	v_div_scale_f32 v6, null, v5, v5, v4
	s_waitcnt vmcnt(0)
	v_mad_u64_u32 v[2:3], null, v1, s9, v[13:14]
	v_div_scale_f32 v8, null, v5, v5, v7
	s_delay_alu instid0(VALU_DEP_3) | instskip(SKIP_1) | instid1(VALU_DEP_2)
	v_rcp_f32_e32 v3, v6
	v_div_scale_f32 v11, null, v5, v5, v9
	v_rcp_f32_e32 v13, v8
	v_div_scale_f32 v12, null, v5, v5, v10
	s_delay_alu instid0(VALU_DEP_2) | instskip(SKIP_1) | instid1(VALU_DEP_2)
	v_rcp_f32_e32 v14, v11
	v_div_scale_f32 v18, s6, v9, v5, v9
	v_rcp_f32_e32 v15, v12
	v_fma_f32 v1, -v6, v3, 1.0
	v_div_scale_f32 v22, s7, v10, v5, v10
	s_delay_alu instid0(TRANS32_DEP_3) | instskip(NEXT) | instid1(VALU_DEP_3)
	v_fma_f32 v19, -v8, v13, 1.0
	v_fmac_f32_e32 v3, v1, v3
	scratch_load_b32 v1, off, off offset:84 ; 4-byte Folded Reload
	v_fma_f32 v20, -v11, v14, 1.0
	v_fmac_f32_e32 v13, v19, v13
	v_fma_f32 v21, -v12, v15, 1.0
	v_mul_f32_e32 v19, v16, v3
	s_delay_alu instid0(VALU_DEP_4) | instskip(NEXT) | instid1(VALU_DEP_4)
	v_fmac_f32_e32 v14, v20, v14
	v_mul_f32_e32 v20, v17, v13
	s_delay_alu instid0(VALU_DEP_4) | instskip(NEXT) | instid1(VALU_DEP_4)
	v_fmac_f32_e32 v15, v21, v15
	v_fma_f32 v24, -v6, v19, v16
	s_delay_alu instid0(VALU_DEP_3) | instskip(SKIP_1) | instid1(VALU_DEP_4)
	v_fma_f32 v25, -v8, v20, v17
	v_mul_f32_e32 v21, v18, v14
	v_mul_f32_e32 v23, v22, v15
	s_delay_alu instid0(VALU_DEP_3) | instskip(NEXT) | instid1(VALU_DEP_3)
	v_dual_fmac_f32 v19, v24, v3 :: v_dual_fmac_f32 v20, v25, v13
	v_fma_f32 v26, -v11, v21, v18
	s_delay_alu instid0(VALU_DEP_3) | instskip(NEXT) | instid1(VALU_DEP_3)
	v_fma_f32 v27, -v12, v23, v22
	v_fma_f32 v6, -v6, v19, v16
	s_delay_alu instid0(VALU_DEP_4) | instskip(NEXT) | instid1(VALU_DEP_4)
	v_fma_f32 v8, -v8, v20, v17
	v_fmac_f32_e32 v21, v26, v14
	s_delay_alu instid0(VALU_DEP_4) | instskip(NEXT) | instid1(VALU_DEP_4)
	v_fmac_f32_e32 v23, v27, v15
	v_div_fmas_f32 v3, v6, v3, v19
	s_mov_b32 vcc_lo, s5
	s_delay_alu instid0(VALU_DEP_3) | instskip(NEXT) | instid1(VALU_DEP_3)
	v_fma_f32 v11, -v11, v21, v18
	v_fma_f32 v12, -v12, v23, v22
	v_div_fmas_f32 v6, v8, v13, v20
	s_mov_b32 vcc_lo, s6
	v_div_fixup_f32 v3, v3, v5, v4
	v_div_fmas_f32 v8, v11, v14, v21
	s_mov_b32 vcc_lo, s7
	v_div_fixup_f32 v4, v6, v5, v7
	v_div_fmas_f32 v11, v12, v15, v23
	v_mbcnt_lo_u32_b32 v15, -1, 0
	v_div_fixup_f32 v8, v8, v5, v9
	s_delay_alu instid0(VALU_DEP_3) | instskip(SKIP_2) | instid1(VALU_DEP_1)
	v_div_fixup_f32 v9, v11, v5, v10
	s_waitcnt vmcnt(0)
	v_lshl_add_u32 v1, v2, 6, v1
	v_ashrrev_i32_e32 v2, 31, v1
	s_delay_alu instid0(VALU_DEP_1) | instskip(NEXT) | instid1(VALU_DEP_1)
	v_lshlrev_b64 v[1:2], 3, v[1:2]
	v_add_co_u32 v6, vcc_lo, s59, v1
	s_delay_alu instid0(VALU_DEP_2)
	v_add_co_ci_u32_e32 v7, vcc_lo, s87, v2, vcc_lo
	v_mov_b32_e32 v2, 0
	s_clause 0x1
	global_store_b64 v[6:7], v[3:4], off
	global_store_b64 v[6:7], v[8:9], off offset:256
.LBB25_357:                             ;   in Loop: Header=BB25_10 Depth=1
	s_or_b32 exec_lo, exec_lo, s52
	s_mov_b32 s5, -1
	s_mov_b32 s6, exec_lo
	v_cmpx_gt_i32_e32 0x47, v2
; %bb.358:                              ;   in Loop: Header=BB25_10 Depth=1
	v_cmp_eq_u32_e32 vcc_lo, 0, v2
	s_or_not1_b32 s5, vcc_lo, exec_lo
; %bb.359:                              ;   in Loop: Header=BB25_10 Depth=1
	s_or_b32 exec_lo, exec_lo, s6
	s_delay_alu instid0(SALU_CYCLE_1)
	s_and_b32 exec_lo, exec_lo, s5
	s_cbranch_execz .LBB25_397
; %bb.360:                              ;   in Loop: Header=BB25_10 Depth=1
	scratch_load_b32 v1, off, off offset:600 ; 4-byte Folded Reload
	s_waitcnt vmcnt(0)
	v_dual_mov_b32 v2, 0x47 :: v_dual_add_nc_u32 v1, s66, v1
	s_delay_alu instid0(VALU_DEP_1) | instskip(SKIP_1) | instid1(SALU_CYCLE_1)
	v_cmp_gt_i32_e32 vcc_lo, s8, v1
	s_and_b32 s4, vcc_lo, s4
	s_and_saveexec_b32 s7, s4
	s_cbranch_execz .LBB25_362
; %bb.361:                              ;   in Loop: Header=BB25_10 Depth=1
	s_clause 0x1
	scratch_load_b32 v2, off, off offset:612
	scratch_load_b32 v7, off, off offset:616
	s_waitcnt vmcnt(1)
	v_add_nc_u32_e32 v6, 0, v2
	s_waitcnt vmcnt(0)
	ds_load_2addr_b32 v[2:3], v7 offset1:32
	ds_load_2addr_b32 v[4:5], v6 offset0:64 offset1:65
	ds_load_b32 v7, v7 offset:4352
	ds_load_b32 v6, v6 offset:4608
	s_clause 0x1
	scratch_load_b32 v8, off, off offset:620
	scratch_load_b64 v[13:14], off, off offset:196
	s_waitcnt lgkmcnt(2)
	v_fma_mix_f32 v9, v4, v2, 0 op_sel_hi:[0,1,0]
	v_fma_mix_f32 v2, v4, v2, 0 op_sel:[0,1,0] op_sel_hi:[0,1,0]
	v_fma_mix_f32 v10, v4, v3, 0 op_sel_hi:[0,1,0]
	v_fma_mix_f32 v3, v4, v3, 0 op_sel:[0,1,0] op_sel_hi:[0,1,0]
	s_waitcnt lgkmcnt(0)
	v_fma_mix_f32 v4, v6, v7, v9 op_sel_hi:[0,1,0]
	v_fma_mix_f32 v7, v6, v7, v2 op_sel:[0,1,0] op_sel_hi:[0,1,0]
	s_delay_alu instid0(VALU_DEP_2) | instskip(NEXT) | instid1(VALU_DEP_2)
	v_div_scale_f32 v16, vcc_lo, v4, v5, v4
	v_div_scale_f32 v17, s4, v7, v5, v7
	s_waitcnt vmcnt(1)
	ds_load_b32 v8, v8 offset:4352
	s_waitcnt lgkmcnt(0)
	v_fma_mix_f32 v9, v6, v8, v10 op_sel_hi:[0,1,0]
	v_fma_mix_f32 v10, v6, v8, v3 op_sel:[0,1,0] op_sel_hi:[0,1,0]
	v_div_scale_f32 v6, null, v5, v5, v4
	s_waitcnt vmcnt(0)
	v_mad_u64_u32 v[2:3], null, v1, s9, v[13:14]
	v_div_scale_f32 v8, null, v5, v5, v7
	s_delay_alu instid0(VALU_DEP_3) | instskip(SKIP_1) | instid1(VALU_DEP_2)
	v_rcp_f32_e32 v3, v6
	v_div_scale_f32 v11, null, v5, v5, v9
	v_rcp_f32_e32 v13, v8
	v_div_scale_f32 v12, null, v5, v5, v10
	s_delay_alu instid0(VALU_DEP_2) | instskip(SKIP_1) | instid1(VALU_DEP_2)
	v_rcp_f32_e32 v14, v11
	v_div_scale_f32 v18, s5, v9, v5, v9
	v_rcp_f32_e32 v15, v12
	v_fma_f32 v1, -v6, v3, 1.0
	v_div_scale_f32 v22, s6, v10, v5, v10
	s_delay_alu instid0(TRANS32_DEP_3) | instskip(NEXT) | instid1(VALU_DEP_3)
	v_fma_f32 v19, -v8, v13, 1.0
	v_fmac_f32_e32 v3, v1, v3
	scratch_load_b32 v1, off, off offset:84 ; 4-byte Folded Reload
	v_fma_f32 v20, -v11, v14, 1.0
	v_fmac_f32_e32 v13, v19, v13
	v_fma_f32 v21, -v12, v15, 1.0
	v_mul_f32_e32 v19, v16, v3
	s_delay_alu instid0(VALU_DEP_4) | instskip(NEXT) | instid1(VALU_DEP_4)
	v_fmac_f32_e32 v14, v20, v14
	v_mul_f32_e32 v20, v17, v13
	s_delay_alu instid0(VALU_DEP_4) | instskip(NEXT) | instid1(VALU_DEP_4)
	v_fmac_f32_e32 v15, v21, v15
	v_fma_f32 v24, -v6, v19, v16
	s_delay_alu instid0(VALU_DEP_3) | instskip(SKIP_1) | instid1(VALU_DEP_4)
	v_fma_f32 v25, -v8, v20, v17
	v_mul_f32_e32 v21, v18, v14
	v_mul_f32_e32 v23, v22, v15
	s_delay_alu instid0(VALU_DEP_3) | instskip(NEXT) | instid1(VALU_DEP_3)
	v_dual_fmac_f32 v19, v24, v3 :: v_dual_fmac_f32 v20, v25, v13
	v_fma_f32 v26, -v11, v21, v18
	s_delay_alu instid0(VALU_DEP_3) | instskip(NEXT) | instid1(VALU_DEP_3)
	v_fma_f32 v27, -v12, v23, v22
	v_fma_f32 v6, -v6, v19, v16
	s_delay_alu instid0(VALU_DEP_4) | instskip(NEXT) | instid1(VALU_DEP_4)
	v_fma_f32 v8, -v8, v20, v17
	v_fmac_f32_e32 v21, v26, v14
	s_delay_alu instid0(VALU_DEP_4) | instskip(NEXT) | instid1(VALU_DEP_4)
	v_fmac_f32_e32 v23, v27, v15
	v_div_fmas_f32 v3, v6, v3, v19
	s_mov_b32 vcc_lo, s4
	s_delay_alu instid0(VALU_DEP_3) | instskip(NEXT) | instid1(VALU_DEP_3)
	v_fma_f32 v11, -v11, v21, v18
	v_fma_f32 v12, -v12, v23, v22
	v_div_fmas_f32 v6, v8, v13, v20
	s_mov_b32 vcc_lo, s5
	v_div_fixup_f32 v3, v3, v5, v4
	v_div_fmas_f32 v8, v11, v14, v21
	s_mov_b32 vcc_lo, s6
	v_div_fixup_f32 v4, v6, v5, v7
	v_div_fmas_f32 v11, v12, v15, v23
	v_mbcnt_lo_u32_b32 v15, -1, 0
	v_div_fixup_f32 v8, v8, v5, v9
	s_delay_alu instid0(VALU_DEP_3) | instskip(SKIP_2) | instid1(VALU_DEP_1)
	v_div_fixup_f32 v9, v11, v5, v10
	s_waitcnt vmcnt(0)
	v_lshl_add_u32 v1, v2, 6, v1
	v_ashrrev_i32_e32 v2, 31, v1
	s_delay_alu instid0(VALU_DEP_1) | instskip(NEXT) | instid1(VALU_DEP_1)
	v_lshlrev_b64 v[1:2], 3, v[1:2]
	v_add_co_u32 v6, vcc_lo, s59, v1
	s_delay_alu instid0(VALU_DEP_2)
	v_add_co_ci_u32_e32 v7, vcc_lo, s87, v2, vcc_lo
	v_mov_b32_e32 v2, 0
	s_clause 0x1
	global_store_b64 v[6:7], v[3:4], off
	global_store_b64 v[6:7], v[8:9], off offset:256
.LBB25_362:                             ;   in Loop: Header=BB25_10 Depth=1
	s_or_b32 exec_lo, exec_lo, s7
	s_mov_b32 s4, -1
	s_mov_b32 s5, exec_lo
	v_cmpx_gt_i32_e32 0x47, v2
; %bb.363:                              ;   in Loop: Header=BB25_10 Depth=1
	v_cmp_eq_u32_e32 vcc_lo, 0, v2
	s_or_not1_b32 s4, vcc_lo, exec_lo
; %bb.364:                              ;   in Loop: Header=BB25_10 Depth=1
	s_or_b32 exec_lo, exec_lo, s5
	s_delay_alu instid0(SALU_CYCLE_1)
	s_and_b32 exec_lo, exec_lo, s4
	s_cbranch_execz .LBB25_397
; %bb.365:                              ;   in Loop: Header=BB25_10 Depth=1
	s_clause 0x1
	scratch_load_b32 v1, off, off offset:624
	scratch_load_b64 v[2:3], off, off offset:604
	s_waitcnt vmcnt(1)
	v_add_nc_u32_e32 v1, s66, v1
	s_waitcnt vmcnt(0)
	v_or_b32_e32 v2, s88, v2
	s_delay_alu instid0(VALU_DEP_1) | instskip(SKIP_2) | instid1(VALU_DEP_3)
	v_cmp_gt_i32_e64 s4, s68, v2
	v_mov_b32_e32 v2, 0x47
	v_cmp_gt_i32_e32 vcc_lo, s8, v1
	s_and_b32 s4, vcc_lo, s4
	s_delay_alu instid0(SALU_CYCLE_1)
	s_and_saveexec_b32 s7, s4
	s_cbranch_execz .LBB25_367
; %bb.366:                              ;   in Loop: Header=BB25_10 Depth=1
	s_clause 0x1
	scratch_load_b32 v2, off, off offset:636
	scratch_load_b32 v7, off, off offset:640
	s_waitcnt vmcnt(1)
	v_add_nc_u32_e32 v6, 0, v2
	s_waitcnt vmcnt(0)
	ds_load_2addr_b32 v[2:3], v7 offset1:32
	ds_load_2addr_b32 v[4:5], v6 offset0:64 offset1:65
	ds_load_b32 v7, v7 offset:4352
	ds_load_b32 v6, v6 offset:4608
	s_clause 0x1
	scratch_load_b32 v8, off, off offset:644
	scratch_load_b64 v[13:14], off, off offset:604
	s_waitcnt lgkmcnt(2)
	v_fma_mix_f32 v9, v4, v2, 0 op_sel_hi:[0,1,0]
	v_fma_mix_f32 v2, v4, v2, 0 op_sel:[0,1,0] op_sel_hi:[0,1,0]
	v_fma_mix_f32 v10, v4, v3, 0 op_sel_hi:[0,1,0]
	v_fma_mix_f32 v3, v4, v3, 0 op_sel:[0,1,0] op_sel_hi:[0,1,0]
	s_waitcnt lgkmcnt(0)
	v_fma_mix_f32 v4, v6, v7, v9 op_sel_hi:[0,1,0]
	v_fma_mix_f32 v7, v6, v7, v2 op_sel:[0,1,0] op_sel_hi:[0,1,0]
	s_delay_alu instid0(VALU_DEP_2) | instskip(NEXT) | instid1(VALU_DEP_2)
	v_div_scale_f32 v16, vcc_lo, v4, v5, v4
	v_div_scale_f32 v17, s4, v7, v5, v7
	s_waitcnt vmcnt(1)
	ds_load_b32 v8, v8 offset:4352
	s_waitcnt lgkmcnt(0)
	v_fma_mix_f32 v9, v6, v8, v10 op_sel_hi:[0,1,0]
	v_fma_mix_f32 v10, v6, v8, v3 op_sel:[0,1,0] op_sel_hi:[0,1,0]
	v_div_scale_f32 v6, null, v5, v5, v4
	s_waitcnt vmcnt(0)
	v_mad_u64_u32 v[2:3], null, v1, s9, v[13:14]
	v_div_scale_f32 v8, null, v5, v5, v7
	s_delay_alu instid0(VALU_DEP_3) | instskip(SKIP_1) | instid1(VALU_DEP_2)
	v_rcp_f32_e32 v3, v6
	v_div_scale_f32 v11, null, v5, v5, v9
	v_rcp_f32_e32 v13, v8
	v_div_scale_f32 v12, null, v5, v5, v10
	s_delay_alu instid0(VALU_DEP_2) | instskip(SKIP_1) | instid1(VALU_DEP_2)
	v_rcp_f32_e32 v14, v11
	v_div_scale_f32 v18, s5, v9, v5, v9
	v_rcp_f32_e32 v15, v12
	v_fma_f32 v1, -v6, v3, 1.0
	v_div_scale_f32 v22, s6, v10, v5, v10
	s_delay_alu instid0(TRANS32_DEP_3) | instskip(NEXT) | instid1(VALU_DEP_3)
	v_fma_f32 v19, -v8, v13, 1.0
	v_fmac_f32_e32 v3, v1, v3
	scratch_load_b32 v1, off, off offset:84 ; 4-byte Folded Reload
	v_fma_f32 v20, -v11, v14, 1.0
	v_fmac_f32_e32 v13, v19, v13
	v_fma_f32 v21, -v12, v15, 1.0
	v_mul_f32_e32 v19, v16, v3
	s_delay_alu instid0(VALU_DEP_4) | instskip(NEXT) | instid1(VALU_DEP_4)
	v_fmac_f32_e32 v14, v20, v14
	v_mul_f32_e32 v20, v17, v13
	s_delay_alu instid0(VALU_DEP_4) | instskip(NEXT) | instid1(VALU_DEP_4)
	v_fmac_f32_e32 v15, v21, v15
	v_fma_f32 v24, -v6, v19, v16
	s_delay_alu instid0(VALU_DEP_3) | instskip(SKIP_1) | instid1(VALU_DEP_4)
	v_fma_f32 v25, -v8, v20, v17
	v_mul_f32_e32 v21, v18, v14
	v_mul_f32_e32 v23, v22, v15
	s_delay_alu instid0(VALU_DEP_3) | instskip(NEXT) | instid1(VALU_DEP_3)
	v_dual_fmac_f32 v19, v24, v3 :: v_dual_fmac_f32 v20, v25, v13
	v_fma_f32 v26, -v11, v21, v18
	s_delay_alu instid0(VALU_DEP_3) | instskip(NEXT) | instid1(VALU_DEP_3)
	v_fma_f32 v27, -v12, v23, v22
	v_fma_f32 v6, -v6, v19, v16
	s_delay_alu instid0(VALU_DEP_4) | instskip(NEXT) | instid1(VALU_DEP_4)
	v_fma_f32 v8, -v8, v20, v17
	v_fmac_f32_e32 v21, v26, v14
	s_delay_alu instid0(VALU_DEP_4) | instskip(NEXT) | instid1(VALU_DEP_4)
	v_fmac_f32_e32 v23, v27, v15
	v_div_fmas_f32 v3, v6, v3, v19
	s_mov_b32 vcc_lo, s4
	s_delay_alu instid0(VALU_DEP_3) | instskip(NEXT) | instid1(VALU_DEP_3)
	v_fma_f32 v11, -v11, v21, v18
	v_fma_f32 v12, -v12, v23, v22
	v_div_fmas_f32 v6, v8, v13, v20
	s_mov_b32 vcc_lo, s5
	v_div_fixup_f32 v3, v3, v5, v4
	v_div_fmas_f32 v8, v11, v14, v21
	s_mov_b32 vcc_lo, s6
	v_div_fixup_f32 v4, v6, v5, v7
	v_div_fmas_f32 v11, v12, v15, v23
	v_mbcnt_lo_u32_b32 v15, -1, 0
	v_div_fixup_f32 v8, v8, v5, v9
	s_delay_alu instid0(VALU_DEP_3) | instskip(SKIP_2) | instid1(VALU_DEP_1)
	v_div_fixup_f32 v9, v11, v5, v10
	s_waitcnt vmcnt(0)
	v_lshl_add_u32 v1, v2, 6, v1
	v_ashrrev_i32_e32 v2, 31, v1
	s_delay_alu instid0(VALU_DEP_1) | instskip(NEXT) | instid1(VALU_DEP_1)
	v_lshlrev_b64 v[1:2], 3, v[1:2]
	v_add_co_u32 v6, vcc_lo, s59, v1
	s_delay_alu instid0(VALU_DEP_2)
	v_add_co_ci_u32_e32 v7, vcc_lo, s87, v2, vcc_lo
	v_mov_b32_e32 v2, 0
	s_clause 0x1
	global_store_b64 v[6:7], v[3:4], off
	global_store_b64 v[6:7], v[8:9], off offset:256
.LBB25_367:                             ;   in Loop: Header=BB25_10 Depth=1
	s_or_b32 exec_lo, exec_lo, s7
	s_mov_b32 s4, -1
	s_mov_b32 s5, exec_lo
	v_cmpx_gt_i32_e32 0x47, v2
; %bb.368:                              ;   in Loop: Header=BB25_10 Depth=1
	v_cmp_eq_u32_e32 vcc_lo, 0, v2
	s_or_not1_b32 s4, vcc_lo, exec_lo
; %bb.369:                              ;   in Loop: Header=BB25_10 Depth=1
	s_or_b32 exec_lo, exec_lo, s5
	s_delay_alu instid0(SALU_CYCLE_1)
	s_and_b32 exec_lo, exec_lo, s4
	s_cbranch_execz .LBB25_397
; %bb.370:                              ;   in Loop: Header=BB25_10 Depth=1
	s_clause 0x1
	scratch_load_b32 v1, off, off offset:648
	scratch_load_b64 v[2:3], off, off offset:628
	s_waitcnt vmcnt(1)
	v_add_nc_u32_e32 v1, s66, v1
	s_waitcnt vmcnt(0)
	v_or_b32_e32 v2, s88, v2
	s_delay_alu instid0(VALU_DEP_1) | instskip(SKIP_2) | instid1(VALU_DEP_3)
	v_cmp_gt_i32_e64 s4, s68, v2
	v_mov_b32_e32 v2, 0x47
	v_cmp_gt_i32_e32 vcc_lo, s8, v1
	s_and_b32 s4, vcc_lo, s4
	s_delay_alu instid0(SALU_CYCLE_1)
	s_and_saveexec_b32 s7, s4
	s_cbranch_execz .LBB25_372
; %bb.371:                              ;   in Loop: Header=BB25_10 Depth=1
	s_clause 0x1
	scratch_load_b32 v2, off, off offset:660
	scratch_load_b32 v7, off, off offset:664
	s_waitcnt vmcnt(1)
	v_add_nc_u32_e32 v6, 0, v2
	s_waitcnt vmcnt(0)
	ds_load_2addr_b32 v[2:3], v7 offset1:32
	ds_load_2addr_b32 v[4:5], v6 offset0:64 offset1:65
	ds_load_b32 v7, v7 offset:4352
	ds_load_b32 v6, v6 offset:4608
	s_clause 0x1
	scratch_load_b32 v8, off, off offset:668
	scratch_load_b64 v[13:14], off, off offset:628
	s_waitcnt lgkmcnt(2)
	v_fma_mix_f32 v9, v4, v2, 0 op_sel_hi:[0,1,0]
	v_fma_mix_f32 v2, v4, v2, 0 op_sel:[0,1,0] op_sel_hi:[0,1,0]
	v_fma_mix_f32 v10, v4, v3, 0 op_sel_hi:[0,1,0]
	v_fma_mix_f32 v3, v4, v3, 0 op_sel:[0,1,0] op_sel_hi:[0,1,0]
	s_waitcnt lgkmcnt(0)
	v_fma_mix_f32 v4, v6, v7, v9 op_sel_hi:[0,1,0]
	v_fma_mix_f32 v7, v6, v7, v2 op_sel:[0,1,0] op_sel_hi:[0,1,0]
	s_delay_alu instid0(VALU_DEP_2) | instskip(NEXT) | instid1(VALU_DEP_2)
	v_div_scale_f32 v16, vcc_lo, v4, v5, v4
	v_div_scale_f32 v17, s4, v7, v5, v7
	s_waitcnt vmcnt(1)
	ds_load_b32 v8, v8 offset:4352
	s_waitcnt lgkmcnt(0)
	v_fma_mix_f32 v9, v6, v8, v10 op_sel_hi:[0,1,0]
	v_fma_mix_f32 v10, v6, v8, v3 op_sel:[0,1,0] op_sel_hi:[0,1,0]
	v_div_scale_f32 v6, null, v5, v5, v4
	s_waitcnt vmcnt(0)
	v_mad_u64_u32 v[2:3], null, v1, s9, v[13:14]
	v_div_scale_f32 v8, null, v5, v5, v7
	s_delay_alu instid0(VALU_DEP_3) | instskip(SKIP_1) | instid1(VALU_DEP_2)
	v_rcp_f32_e32 v3, v6
	v_div_scale_f32 v11, null, v5, v5, v9
	v_rcp_f32_e32 v13, v8
	v_div_scale_f32 v12, null, v5, v5, v10
	s_delay_alu instid0(VALU_DEP_2) | instskip(SKIP_1) | instid1(VALU_DEP_2)
	v_rcp_f32_e32 v14, v11
	v_div_scale_f32 v18, s5, v9, v5, v9
	v_rcp_f32_e32 v15, v12
	v_fma_f32 v1, -v6, v3, 1.0
	v_div_scale_f32 v22, s6, v10, v5, v10
	s_delay_alu instid0(TRANS32_DEP_3) | instskip(NEXT) | instid1(VALU_DEP_3)
	v_fma_f32 v19, -v8, v13, 1.0
	v_fmac_f32_e32 v3, v1, v3
	scratch_load_b32 v1, off, off offset:84 ; 4-byte Folded Reload
	v_fma_f32 v20, -v11, v14, 1.0
	v_fmac_f32_e32 v13, v19, v13
	v_fma_f32 v21, -v12, v15, 1.0
	v_mul_f32_e32 v19, v16, v3
	s_delay_alu instid0(VALU_DEP_4) | instskip(NEXT) | instid1(VALU_DEP_4)
	v_fmac_f32_e32 v14, v20, v14
	v_mul_f32_e32 v20, v17, v13
	s_delay_alu instid0(VALU_DEP_4) | instskip(NEXT) | instid1(VALU_DEP_4)
	v_fmac_f32_e32 v15, v21, v15
	v_fma_f32 v24, -v6, v19, v16
	s_delay_alu instid0(VALU_DEP_3) | instskip(SKIP_1) | instid1(VALU_DEP_4)
	v_fma_f32 v25, -v8, v20, v17
	v_mul_f32_e32 v21, v18, v14
	v_mul_f32_e32 v23, v22, v15
	s_delay_alu instid0(VALU_DEP_3) | instskip(NEXT) | instid1(VALU_DEP_3)
	v_dual_fmac_f32 v19, v24, v3 :: v_dual_fmac_f32 v20, v25, v13
	v_fma_f32 v26, -v11, v21, v18
	s_delay_alu instid0(VALU_DEP_3) | instskip(NEXT) | instid1(VALU_DEP_3)
	v_fma_f32 v27, -v12, v23, v22
	v_fma_f32 v6, -v6, v19, v16
	s_delay_alu instid0(VALU_DEP_4) | instskip(NEXT) | instid1(VALU_DEP_4)
	v_fma_f32 v8, -v8, v20, v17
	v_fmac_f32_e32 v21, v26, v14
	s_delay_alu instid0(VALU_DEP_4) | instskip(NEXT) | instid1(VALU_DEP_4)
	v_fmac_f32_e32 v23, v27, v15
	v_div_fmas_f32 v3, v6, v3, v19
	s_mov_b32 vcc_lo, s4
	s_delay_alu instid0(VALU_DEP_3) | instskip(NEXT) | instid1(VALU_DEP_3)
	v_fma_f32 v11, -v11, v21, v18
	v_fma_f32 v12, -v12, v23, v22
	v_div_fmas_f32 v6, v8, v13, v20
	s_mov_b32 vcc_lo, s5
	v_div_fixup_f32 v3, v3, v5, v4
	v_div_fmas_f32 v8, v11, v14, v21
	s_mov_b32 vcc_lo, s6
	v_div_fixup_f32 v4, v6, v5, v7
	v_div_fmas_f32 v11, v12, v15, v23
	v_mbcnt_lo_u32_b32 v15, -1, 0
	v_div_fixup_f32 v8, v8, v5, v9
	s_delay_alu instid0(VALU_DEP_3) | instskip(SKIP_2) | instid1(VALU_DEP_1)
	v_div_fixup_f32 v9, v11, v5, v10
	s_waitcnt vmcnt(0)
	v_lshl_add_u32 v1, v2, 6, v1
	v_ashrrev_i32_e32 v2, 31, v1
	s_delay_alu instid0(VALU_DEP_1) | instskip(NEXT) | instid1(VALU_DEP_1)
	v_lshlrev_b64 v[1:2], 3, v[1:2]
	v_add_co_u32 v6, vcc_lo, s59, v1
	s_delay_alu instid0(VALU_DEP_2)
	v_add_co_ci_u32_e32 v7, vcc_lo, s87, v2, vcc_lo
	v_mov_b32_e32 v2, 0
	s_clause 0x1
	global_store_b64 v[6:7], v[3:4], off
	global_store_b64 v[6:7], v[8:9], off offset:256
.LBB25_372:                             ;   in Loop: Header=BB25_10 Depth=1
	s_or_b32 exec_lo, exec_lo, s7
	s_mov_b32 s4, -1
	s_mov_b32 s5, exec_lo
	v_cmpx_gt_i32_e32 0x47, v2
; %bb.373:                              ;   in Loop: Header=BB25_10 Depth=1
	v_cmp_eq_u32_e32 vcc_lo, 0, v2
	s_or_not1_b32 s4, vcc_lo, exec_lo
; %bb.374:                              ;   in Loop: Header=BB25_10 Depth=1
	s_or_b32 exec_lo, exec_lo, s5
	s_delay_alu instid0(SALU_CYCLE_1)
	s_and_b32 exec_lo, exec_lo, s4
	s_cbranch_execz .LBB25_397
; %bb.375:                              ;   in Loop: Header=BB25_10 Depth=1
	s_clause 0x1
	scratch_load_b32 v1, off, off offset:672
	scratch_load_b64 v[2:3], off, off offset:652
	s_waitcnt vmcnt(1)
	v_add_nc_u32_e32 v1, s66, v1
	s_waitcnt vmcnt(0)
	v_or_b32_e32 v2, s88, v2
	s_delay_alu instid0(VALU_DEP_1) | instskip(SKIP_2) | instid1(VALU_DEP_3)
	v_cmp_gt_i32_e64 s4, s68, v2
	v_mov_b32_e32 v2, 0x47
	v_cmp_gt_i32_e32 vcc_lo, s8, v1
	s_and_b32 s4, vcc_lo, s4
	s_delay_alu instid0(SALU_CYCLE_1)
	s_and_saveexec_b32 s7, s4
	s_cbranch_execz .LBB25_377
; %bb.376:                              ;   in Loop: Header=BB25_10 Depth=1
	s_clause 0x1
	scratch_load_b32 v2, off, off offset:684
	scratch_load_b32 v7, off, off offset:688
	s_waitcnt vmcnt(1)
	v_add_nc_u32_e32 v6, 0, v2
	s_waitcnt vmcnt(0)
	ds_load_2addr_b32 v[2:3], v7 offset1:32
	ds_load_2addr_b32 v[4:5], v6 offset0:64 offset1:65
	ds_load_b32 v7, v7 offset:4352
	ds_load_b32 v6, v6 offset:4608
	s_clause 0x1
	scratch_load_b32 v8, off, off offset:692
	scratch_load_b64 v[13:14], off, off offset:652
	s_waitcnt lgkmcnt(2)
	v_fma_mix_f32 v9, v4, v2, 0 op_sel_hi:[0,1,0]
	v_fma_mix_f32 v2, v4, v2, 0 op_sel:[0,1,0] op_sel_hi:[0,1,0]
	v_fma_mix_f32 v10, v4, v3, 0 op_sel_hi:[0,1,0]
	v_fma_mix_f32 v3, v4, v3, 0 op_sel:[0,1,0] op_sel_hi:[0,1,0]
	s_waitcnt lgkmcnt(0)
	v_fma_mix_f32 v4, v6, v7, v9 op_sel_hi:[0,1,0]
	v_fma_mix_f32 v7, v6, v7, v2 op_sel:[0,1,0] op_sel_hi:[0,1,0]
	s_delay_alu instid0(VALU_DEP_2) | instskip(NEXT) | instid1(VALU_DEP_2)
	v_div_scale_f32 v16, vcc_lo, v4, v5, v4
	v_div_scale_f32 v17, s4, v7, v5, v7
	s_waitcnt vmcnt(1)
	ds_load_b32 v8, v8 offset:4352
	s_waitcnt lgkmcnt(0)
	v_fma_mix_f32 v9, v6, v8, v10 op_sel_hi:[0,1,0]
	v_fma_mix_f32 v10, v6, v8, v3 op_sel:[0,1,0] op_sel_hi:[0,1,0]
	v_div_scale_f32 v6, null, v5, v5, v4
	s_waitcnt vmcnt(0)
	v_mad_u64_u32 v[2:3], null, v1, s9, v[13:14]
	v_div_scale_f32 v8, null, v5, v5, v7
	s_delay_alu instid0(VALU_DEP_3) | instskip(SKIP_1) | instid1(VALU_DEP_2)
	v_rcp_f32_e32 v3, v6
	v_div_scale_f32 v11, null, v5, v5, v9
	v_rcp_f32_e32 v13, v8
	v_div_scale_f32 v12, null, v5, v5, v10
	s_delay_alu instid0(VALU_DEP_2) | instskip(SKIP_1) | instid1(VALU_DEP_2)
	v_rcp_f32_e32 v14, v11
	v_div_scale_f32 v18, s5, v9, v5, v9
	v_rcp_f32_e32 v15, v12
	v_fma_f32 v1, -v6, v3, 1.0
	v_div_scale_f32 v22, s6, v10, v5, v10
	s_delay_alu instid0(TRANS32_DEP_3) | instskip(NEXT) | instid1(VALU_DEP_3)
	v_fma_f32 v19, -v8, v13, 1.0
	v_fmac_f32_e32 v3, v1, v3
	scratch_load_b32 v1, off, off offset:84 ; 4-byte Folded Reload
	v_fma_f32 v20, -v11, v14, 1.0
	v_fmac_f32_e32 v13, v19, v13
	v_fma_f32 v21, -v12, v15, 1.0
	v_mul_f32_e32 v19, v16, v3
	s_delay_alu instid0(VALU_DEP_4) | instskip(NEXT) | instid1(VALU_DEP_4)
	v_fmac_f32_e32 v14, v20, v14
	v_mul_f32_e32 v20, v17, v13
	s_delay_alu instid0(VALU_DEP_4) | instskip(NEXT) | instid1(VALU_DEP_4)
	v_fmac_f32_e32 v15, v21, v15
	v_fma_f32 v24, -v6, v19, v16
	s_delay_alu instid0(VALU_DEP_3) | instskip(SKIP_1) | instid1(VALU_DEP_4)
	v_fma_f32 v25, -v8, v20, v17
	v_mul_f32_e32 v21, v18, v14
	v_mul_f32_e32 v23, v22, v15
	s_delay_alu instid0(VALU_DEP_3) | instskip(NEXT) | instid1(VALU_DEP_3)
	v_dual_fmac_f32 v19, v24, v3 :: v_dual_fmac_f32 v20, v25, v13
	v_fma_f32 v26, -v11, v21, v18
	s_delay_alu instid0(VALU_DEP_3) | instskip(NEXT) | instid1(VALU_DEP_3)
	v_fma_f32 v27, -v12, v23, v22
	v_fma_f32 v6, -v6, v19, v16
	s_delay_alu instid0(VALU_DEP_4) | instskip(NEXT) | instid1(VALU_DEP_4)
	v_fma_f32 v8, -v8, v20, v17
	v_fmac_f32_e32 v21, v26, v14
	s_delay_alu instid0(VALU_DEP_4) | instskip(NEXT) | instid1(VALU_DEP_4)
	v_fmac_f32_e32 v23, v27, v15
	v_div_fmas_f32 v3, v6, v3, v19
	s_mov_b32 vcc_lo, s4
	s_delay_alu instid0(VALU_DEP_3) | instskip(NEXT) | instid1(VALU_DEP_3)
	v_fma_f32 v11, -v11, v21, v18
	v_fma_f32 v12, -v12, v23, v22
	v_div_fmas_f32 v6, v8, v13, v20
	s_mov_b32 vcc_lo, s5
	v_div_fixup_f32 v3, v3, v5, v4
	v_div_fmas_f32 v8, v11, v14, v21
	s_mov_b32 vcc_lo, s6
	v_div_fixup_f32 v4, v6, v5, v7
	v_div_fmas_f32 v11, v12, v15, v23
	v_mbcnt_lo_u32_b32 v15, -1, 0
	v_div_fixup_f32 v8, v8, v5, v9
	s_delay_alu instid0(VALU_DEP_3) | instskip(SKIP_2) | instid1(VALU_DEP_1)
	v_div_fixup_f32 v9, v11, v5, v10
	s_waitcnt vmcnt(0)
	v_lshl_add_u32 v1, v2, 6, v1
	v_ashrrev_i32_e32 v2, 31, v1
	s_delay_alu instid0(VALU_DEP_1) | instskip(NEXT) | instid1(VALU_DEP_1)
	v_lshlrev_b64 v[1:2], 3, v[1:2]
	v_add_co_u32 v6, vcc_lo, s59, v1
	s_delay_alu instid0(VALU_DEP_2)
	v_add_co_ci_u32_e32 v7, vcc_lo, s87, v2, vcc_lo
	v_mov_b32_e32 v2, 0
	s_clause 0x1
	global_store_b64 v[6:7], v[3:4], off
	global_store_b64 v[6:7], v[8:9], off offset:256
.LBB25_377:                             ;   in Loop: Header=BB25_10 Depth=1
	s_or_b32 exec_lo, exec_lo, s7
	s_mov_b32 s4, -1
	s_mov_b32 s5, exec_lo
	v_cmpx_gt_i32_e32 0x47, v2
; %bb.378:                              ;   in Loop: Header=BB25_10 Depth=1
	v_cmp_eq_u32_e32 vcc_lo, 0, v2
	s_or_not1_b32 s4, vcc_lo, exec_lo
; %bb.379:                              ;   in Loop: Header=BB25_10 Depth=1
	s_or_b32 exec_lo, exec_lo, s5
	s_delay_alu instid0(SALU_CYCLE_1)
	s_and_b32 exec_lo, exec_lo, s4
	s_cbranch_execz .LBB25_397
; %bb.380:                              ;   in Loop: Header=BB25_10 Depth=1
	s_clause 0x1
	scratch_load_b32 v1, off, off offset:696
	scratch_load_b64 v[2:3], off, off offset:676
	s_waitcnt vmcnt(1)
	v_add_nc_u32_e32 v1, s66, v1
	s_waitcnt vmcnt(0)
	v_or_b32_e32 v2, s88, v2
	s_delay_alu instid0(VALU_DEP_1) | instskip(SKIP_2) | instid1(VALU_DEP_3)
	v_cmp_gt_i32_e64 s4, s68, v2
	v_mov_b32_e32 v2, 0x47
	v_cmp_gt_i32_e32 vcc_lo, s8, v1
	s_and_b32 s4, vcc_lo, s4
	s_delay_alu instid0(SALU_CYCLE_1)
	s_and_saveexec_b32 s7, s4
	s_cbranch_execz .LBB25_382
; %bb.381:                              ;   in Loop: Header=BB25_10 Depth=1
	s_clause 0x1
	scratch_load_b32 v2, off, off offset:708
	scratch_load_b32 v7, off, off offset:712
	s_waitcnt vmcnt(1)
	v_add_nc_u32_e32 v6, 0, v2
	s_waitcnt vmcnt(0)
	ds_load_2addr_b32 v[2:3], v7 offset1:32
	ds_load_2addr_b32 v[4:5], v6 offset0:64 offset1:65
	ds_load_b32 v7, v7 offset:4352
	ds_load_b32 v6, v6 offset:4608
	s_clause 0x1
	scratch_load_b32 v8, off, off offset:716
	scratch_load_b64 v[13:14], off, off offset:676
	s_waitcnt lgkmcnt(2)
	v_fma_mix_f32 v9, v4, v2, 0 op_sel_hi:[0,1,0]
	v_fma_mix_f32 v2, v4, v2, 0 op_sel:[0,1,0] op_sel_hi:[0,1,0]
	v_fma_mix_f32 v10, v4, v3, 0 op_sel_hi:[0,1,0]
	v_fma_mix_f32 v3, v4, v3, 0 op_sel:[0,1,0] op_sel_hi:[0,1,0]
	s_waitcnt lgkmcnt(0)
	v_fma_mix_f32 v4, v6, v7, v9 op_sel_hi:[0,1,0]
	v_fma_mix_f32 v7, v6, v7, v2 op_sel:[0,1,0] op_sel_hi:[0,1,0]
	s_delay_alu instid0(VALU_DEP_2) | instskip(NEXT) | instid1(VALU_DEP_2)
	v_div_scale_f32 v16, vcc_lo, v4, v5, v4
	v_div_scale_f32 v17, s4, v7, v5, v7
	s_waitcnt vmcnt(1)
	ds_load_b32 v8, v8 offset:4352
	s_waitcnt lgkmcnt(0)
	v_fma_mix_f32 v9, v6, v8, v10 op_sel_hi:[0,1,0]
	v_fma_mix_f32 v10, v6, v8, v3 op_sel:[0,1,0] op_sel_hi:[0,1,0]
	v_div_scale_f32 v6, null, v5, v5, v4
	s_waitcnt vmcnt(0)
	v_mad_u64_u32 v[2:3], null, v1, s9, v[13:14]
	v_div_scale_f32 v8, null, v5, v5, v7
	s_delay_alu instid0(VALU_DEP_3) | instskip(SKIP_1) | instid1(VALU_DEP_2)
	v_rcp_f32_e32 v3, v6
	v_div_scale_f32 v11, null, v5, v5, v9
	v_rcp_f32_e32 v13, v8
	v_div_scale_f32 v12, null, v5, v5, v10
	s_delay_alu instid0(VALU_DEP_2) | instskip(SKIP_1) | instid1(VALU_DEP_2)
	v_rcp_f32_e32 v14, v11
	v_div_scale_f32 v18, s5, v9, v5, v9
	v_rcp_f32_e32 v15, v12
	v_fma_f32 v1, -v6, v3, 1.0
	v_div_scale_f32 v22, s6, v10, v5, v10
	s_delay_alu instid0(TRANS32_DEP_3) | instskip(NEXT) | instid1(VALU_DEP_3)
	v_fma_f32 v19, -v8, v13, 1.0
	v_fmac_f32_e32 v3, v1, v3
	scratch_load_b32 v1, off, off offset:84 ; 4-byte Folded Reload
	v_fma_f32 v20, -v11, v14, 1.0
	v_fmac_f32_e32 v13, v19, v13
	v_fma_f32 v21, -v12, v15, 1.0
	v_mul_f32_e32 v19, v16, v3
	s_delay_alu instid0(VALU_DEP_4) | instskip(NEXT) | instid1(VALU_DEP_4)
	v_fmac_f32_e32 v14, v20, v14
	v_mul_f32_e32 v20, v17, v13
	s_delay_alu instid0(VALU_DEP_4) | instskip(NEXT) | instid1(VALU_DEP_4)
	v_fmac_f32_e32 v15, v21, v15
	v_fma_f32 v24, -v6, v19, v16
	s_delay_alu instid0(VALU_DEP_3) | instskip(SKIP_1) | instid1(VALU_DEP_4)
	v_fma_f32 v25, -v8, v20, v17
	v_mul_f32_e32 v21, v18, v14
	v_mul_f32_e32 v23, v22, v15
	s_delay_alu instid0(VALU_DEP_3) | instskip(NEXT) | instid1(VALU_DEP_3)
	v_dual_fmac_f32 v19, v24, v3 :: v_dual_fmac_f32 v20, v25, v13
	v_fma_f32 v26, -v11, v21, v18
	s_delay_alu instid0(VALU_DEP_3) | instskip(NEXT) | instid1(VALU_DEP_3)
	v_fma_f32 v27, -v12, v23, v22
	v_fma_f32 v6, -v6, v19, v16
	s_delay_alu instid0(VALU_DEP_4) | instskip(NEXT) | instid1(VALU_DEP_4)
	v_fma_f32 v8, -v8, v20, v17
	v_fmac_f32_e32 v21, v26, v14
	s_delay_alu instid0(VALU_DEP_4) | instskip(NEXT) | instid1(VALU_DEP_4)
	v_fmac_f32_e32 v23, v27, v15
	v_div_fmas_f32 v3, v6, v3, v19
	s_mov_b32 vcc_lo, s4
	s_delay_alu instid0(VALU_DEP_3) | instskip(NEXT) | instid1(VALU_DEP_3)
	v_fma_f32 v11, -v11, v21, v18
	v_fma_f32 v12, -v12, v23, v22
	v_div_fmas_f32 v6, v8, v13, v20
	s_mov_b32 vcc_lo, s5
	v_div_fixup_f32 v3, v3, v5, v4
	v_div_fmas_f32 v8, v11, v14, v21
	s_mov_b32 vcc_lo, s6
	v_div_fixup_f32 v4, v6, v5, v7
	v_div_fmas_f32 v11, v12, v15, v23
	v_mbcnt_lo_u32_b32 v15, -1, 0
	v_div_fixup_f32 v8, v8, v5, v9
	s_delay_alu instid0(VALU_DEP_3) | instskip(SKIP_2) | instid1(VALU_DEP_1)
	v_div_fixup_f32 v9, v11, v5, v10
	s_waitcnt vmcnt(0)
	v_lshl_add_u32 v1, v2, 6, v1
	v_ashrrev_i32_e32 v2, 31, v1
	s_delay_alu instid0(VALU_DEP_1) | instskip(NEXT) | instid1(VALU_DEP_1)
	v_lshlrev_b64 v[1:2], 3, v[1:2]
	v_add_co_u32 v6, vcc_lo, s59, v1
	s_delay_alu instid0(VALU_DEP_2)
	v_add_co_ci_u32_e32 v7, vcc_lo, s87, v2, vcc_lo
	v_mov_b32_e32 v2, 0
	s_clause 0x1
	global_store_b64 v[6:7], v[3:4], off
	global_store_b64 v[6:7], v[8:9], off offset:256
.LBB25_382:                             ;   in Loop: Header=BB25_10 Depth=1
	s_or_b32 exec_lo, exec_lo, s7
	s_mov_b32 s4, -1
	s_mov_b32 s5, exec_lo
	v_cmpx_gt_i32_e32 0x47, v2
; %bb.383:                              ;   in Loop: Header=BB25_10 Depth=1
	v_cmp_eq_u32_e32 vcc_lo, 0, v2
	s_or_not1_b32 s4, vcc_lo, exec_lo
; %bb.384:                              ;   in Loop: Header=BB25_10 Depth=1
	s_or_b32 exec_lo, exec_lo, s5
	s_delay_alu instid0(SALU_CYCLE_1)
	s_and_b32 exec_lo, exec_lo, s4
	s_cbranch_execz .LBB25_397
; %bb.385:                              ;   in Loop: Header=BB25_10 Depth=1
	s_clause 0x1
	scratch_load_b32 v1, off, off offset:720
	scratch_load_b64 v[2:3], off, off offset:700
	s_waitcnt vmcnt(1)
	v_add_nc_u32_e32 v1, s66, v1
	s_waitcnt vmcnt(0)
	v_or_b32_e32 v2, s88, v2
	s_delay_alu instid0(VALU_DEP_1) | instskip(SKIP_2) | instid1(VALU_DEP_3)
	v_cmp_gt_i32_e64 s4, s68, v2
	v_mov_b32_e32 v2, 0x47
	v_cmp_gt_i32_e32 vcc_lo, s8, v1
	s_and_b32 s4, vcc_lo, s4
	s_delay_alu instid0(SALU_CYCLE_1)
	s_and_saveexec_b32 s7, s4
	s_cbranch_execz .LBB25_387
; %bb.386:                              ;   in Loop: Header=BB25_10 Depth=1
	s_clause 0x1
	scratch_load_b32 v2, off, off offset:732
	scratch_load_b32 v7, off, off offset:736
	s_waitcnt vmcnt(1)
	v_add_nc_u32_e32 v6, 0, v2
	s_waitcnt vmcnt(0)
	ds_load_2addr_b32 v[2:3], v7 offset1:32
	ds_load_2addr_b32 v[4:5], v6 offset0:64 offset1:65
	ds_load_b32 v7, v7 offset:4352
	ds_load_b32 v6, v6 offset:4608
	s_clause 0x1
	scratch_load_b32 v8, off, off offset:740
	scratch_load_b64 v[13:14], off, off offset:700
	s_waitcnt lgkmcnt(2)
	v_fma_mix_f32 v9, v4, v2, 0 op_sel_hi:[0,1,0]
	v_fma_mix_f32 v2, v4, v2, 0 op_sel:[0,1,0] op_sel_hi:[0,1,0]
	v_fma_mix_f32 v10, v4, v3, 0 op_sel_hi:[0,1,0]
	v_fma_mix_f32 v3, v4, v3, 0 op_sel:[0,1,0] op_sel_hi:[0,1,0]
	s_waitcnt lgkmcnt(0)
	v_fma_mix_f32 v4, v6, v7, v9 op_sel_hi:[0,1,0]
	v_fma_mix_f32 v7, v6, v7, v2 op_sel:[0,1,0] op_sel_hi:[0,1,0]
	s_delay_alu instid0(VALU_DEP_2) | instskip(NEXT) | instid1(VALU_DEP_2)
	v_div_scale_f32 v16, vcc_lo, v4, v5, v4
	v_div_scale_f32 v17, s4, v7, v5, v7
	s_waitcnt vmcnt(1)
	ds_load_b32 v8, v8 offset:4352
	s_waitcnt lgkmcnt(0)
	v_fma_mix_f32 v9, v6, v8, v10 op_sel_hi:[0,1,0]
	v_fma_mix_f32 v10, v6, v8, v3 op_sel:[0,1,0] op_sel_hi:[0,1,0]
	v_div_scale_f32 v6, null, v5, v5, v4
	s_waitcnt vmcnt(0)
	v_mad_u64_u32 v[2:3], null, v1, s9, v[13:14]
	v_div_scale_f32 v8, null, v5, v5, v7
	s_delay_alu instid0(VALU_DEP_3) | instskip(SKIP_1) | instid1(VALU_DEP_2)
	v_rcp_f32_e32 v3, v6
	v_div_scale_f32 v11, null, v5, v5, v9
	v_rcp_f32_e32 v13, v8
	v_div_scale_f32 v12, null, v5, v5, v10
	s_delay_alu instid0(VALU_DEP_2) | instskip(SKIP_1) | instid1(VALU_DEP_2)
	v_rcp_f32_e32 v14, v11
	v_div_scale_f32 v18, s5, v9, v5, v9
	v_rcp_f32_e32 v15, v12
	v_fma_f32 v1, -v6, v3, 1.0
	v_div_scale_f32 v22, s6, v10, v5, v10
	s_delay_alu instid0(TRANS32_DEP_3) | instskip(NEXT) | instid1(VALU_DEP_3)
	v_fma_f32 v19, -v8, v13, 1.0
	v_fmac_f32_e32 v3, v1, v3
	scratch_load_b32 v1, off, off offset:84 ; 4-byte Folded Reload
	v_fma_f32 v20, -v11, v14, 1.0
	v_fmac_f32_e32 v13, v19, v13
	v_fma_f32 v21, -v12, v15, 1.0
	v_mul_f32_e32 v19, v16, v3
	s_delay_alu instid0(VALU_DEP_4) | instskip(NEXT) | instid1(VALU_DEP_4)
	v_fmac_f32_e32 v14, v20, v14
	v_mul_f32_e32 v20, v17, v13
	s_delay_alu instid0(VALU_DEP_4) | instskip(NEXT) | instid1(VALU_DEP_4)
	v_fmac_f32_e32 v15, v21, v15
	v_fma_f32 v24, -v6, v19, v16
	s_delay_alu instid0(VALU_DEP_3) | instskip(SKIP_1) | instid1(VALU_DEP_4)
	v_fma_f32 v25, -v8, v20, v17
	v_mul_f32_e32 v21, v18, v14
	v_mul_f32_e32 v23, v22, v15
	s_delay_alu instid0(VALU_DEP_3) | instskip(NEXT) | instid1(VALU_DEP_3)
	v_dual_fmac_f32 v19, v24, v3 :: v_dual_fmac_f32 v20, v25, v13
	v_fma_f32 v26, -v11, v21, v18
	s_delay_alu instid0(VALU_DEP_3) | instskip(NEXT) | instid1(VALU_DEP_3)
	v_fma_f32 v27, -v12, v23, v22
	v_fma_f32 v6, -v6, v19, v16
	s_delay_alu instid0(VALU_DEP_4) | instskip(NEXT) | instid1(VALU_DEP_4)
	v_fma_f32 v8, -v8, v20, v17
	v_fmac_f32_e32 v21, v26, v14
	s_delay_alu instid0(VALU_DEP_4) | instskip(NEXT) | instid1(VALU_DEP_4)
	v_fmac_f32_e32 v23, v27, v15
	v_div_fmas_f32 v3, v6, v3, v19
	s_mov_b32 vcc_lo, s4
	s_delay_alu instid0(VALU_DEP_3) | instskip(NEXT) | instid1(VALU_DEP_3)
	v_fma_f32 v11, -v11, v21, v18
	v_fma_f32 v12, -v12, v23, v22
	v_div_fmas_f32 v6, v8, v13, v20
	s_mov_b32 vcc_lo, s5
	v_div_fixup_f32 v3, v3, v5, v4
	v_div_fmas_f32 v8, v11, v14, v21
	s_mov_b32 vcc_lo, s6
	v_div_fixup_f32 v4, v6, v5, v7
	v_div_fmas_f32 v11, v12, v15, v23
	v_mbcnt_lo_u32_b32 v15, -1, 0
	v_div_fixup_f32 v8, v8, v5, v9
	s_delay_alu instid0(VALU_DEP_3) | instskip(SKIP_2) | instid1(VALU_DEP_1)
	v_div_fixup_f32 v9, v11, v5, v10
	s_waitcnt vmcnt(0)
	v_lshl_add_u32 v1, v2, 6, v1
	v_ashrrev_i32_e32 v2, 31, v1
	s_delay_alu instid0(VALU_DEP_1) | instskip(NEXT) | instid1(VALU_DEP_1)
	v_lshlrev_b64 v[1:2], 3, v[1:2]
	v_add_co_u32 v6, vcc_lo, s59, v1
	s_delay_alu instid0(VALU_DEP_2)
	v_add_co_ci_u32_e32 v7, vcc_lo, s87, v2, vcc_lo
	v_mov_b32_e32 v2, 0
	s_clause 0x1
	global_store_b64 v[6:7], v[3:4], off
	global_store_b64 v[6:7], v[8:9], off offset:256
.LBB25_387:                             ;   in Loop: Header=BB25_10 Depth=1
	s_or_b32 exec_lo, exec_lo, s7
	s_mov_b32 s4, -1
	s_mov_b32 s5, exec_lo
	v_cmpx_gt_i32_e32 0x47, v2
; %bb.388:                              ;   in Loop: Header=BB25_10 Depth=1
	v_cmp_eq_u32_e32 vcc_lo, 0, v2
	s_or_not1_b32 s4, vcc_lo, exec_lo
; %bb.389:                              ;   in Loop: Header=BB25_10 Depth=1
	s_or_b32 exec_lo, exec_lo, s5
	s_delay_alu instid0(SALU_CYCLE_1)
	s_and_b32 exec_lo, exec_lo, s4
	s_cbranch_execz .LBB25_397
; %bb.390:                              ;   in Loop: Header=BB25_10 Depth=1
	s_clause 0x1
	scratch_load_b32 v1, off, off offset:744
	scratch_load_b64 v[2:3], off, off offset:724
	s_waitcnt vmcnt(1)
	v_add_nc_u32_e32 v1, s66, v1
	s_waitcnt vmcnt(0)
	v_or_b32_e32 v2, s88, v2
	s_delay_alu instid0(VALU_DEP_1) | instskip(SKIP_2) | instid1(VALU_DEP_3)
	v_cmp_gt_i32_e64 s4, s68, v2
	v_mov_b32_e32 v2, 0x47
	v_cmp_gt_i32_e32 vcc_lo, s8, v1
	s_and_b32 s4, vcc_lo, s4
	s_delay_alu instid0(SALU_CYCLE_1)
	s_and_saveexec_b32 s7, s4
	s_cbranch_execz .LBB25_392
; %bb.391:                              ;   in Loop: Header=BB25_10 Depth=1
	s_clause 0x1
	scratch_load_b32 v2, off, off offset:756
	scratch_load_b32 v7, off, off offset:760
	s_waitcnt vmcnt(1)
	v_add_nc_u32_e32 v6, 0, v2
	s_waitcnt vmcnt(0)
	ds_load_2addr_b32 v[2:3], v7 offset1:32
	ds_load_2addr_b32 v[4:5], v6 offset0:64 offset1:65
	ds_load_b32 v7, v7 offset:4352
	ds_load_b32 v6, v6 offset:4608
	s_clause 0x1
	scratch_load_b32 v8, off, off offset:764
	scratch_load_b64 v[13:14], off, off offset:724
	s_waitcnt lgkmcnt(2)
	v_fma_mix_f32 v9, v4, v2, 0 op_sel_hi:[0,1,0]
	v_fma_mix_f32 v2, v4, v2, 0 op_sel:[0,1,0] op_sel_hi:[0,1,0]
	v_fma_mix_f32 v10, v4, v3, 0 op_sel_hi:[0,1,0]
	v_fma_mix_f32 v3, v4, v3, 0 op_sel:[0,1,0] op_sel_hi:[0,1,0]
	s_waitcnt lgkmcnt(0)
	v_fma_mix_f32 v4, v6, v7, v9 op_sel_hi:[0,1,0]
	v_fma_mix_f32 v7, v6, v7, v2 op_sel:[0,1,0] op_sel_hi:[0,1,0]
	s_delay_alu instid0(VALU_DEP_2) | instskip(NEXT) | instid1(VALU_DEP_2)
	v_div_scale_f32 v16, vcc_lo, v4, v5, v4
	v_div_scale_f32 v17, s4, v7, v5, v7
	s_waitcnt vmcnt(1)
	ds_load_b32 v8, v8 offset:4352
	s_waitcnt lgkmcnt(0)
	v_fma_mix_f32 v9, v6, v8, v10 op_sel_hi:[0,1,0]
	v_fma_mix_f32 v10, v6, v8, v3 op_sel:[0,1,0] op_sel_hi:[0,1,0]
	v_div_scale_f32 v6, null, v5, v5, v4
	s_waitcnt vmcnt(0)
	v_mad_u64_u32 v[2:3], null, v1, s9, v[13:14]
	v_div_scale_f32 v8, null, v5, v5, v7
	s_delay_alu instid0(VALU_DEP_3) | instskip(SKIP_1) | instid1(VALU_DEP_2)
	v_rcp_f32_e32 v3, v6
	v_div_scale_f32 v11, null, v5, v5, v9
	v_rcp_f32_e32 v13, v8
	v_div_scale_f32 v12, null, v5, v5, v10
	s_delay_alu instid0(VALU_DEP_2) | instskip(SKIP_1) | instid1(VALU_DEP_2)
	v_rcp_f32_e32 v14, v11
	v_div_scale_f32 v18, s5, v9, v5, v9
	v_rcp_f32_e32 v15, v12
	v_fma_f32 v1, -v6, v3, 1.0
	v_div_scale_f32 v22, s6, v10, v5, v10
	s_delay_alu instid0(TRANS32_DEP_3) | instskip(NEXT) | instid1(VALU_DEP_3)
	v_fma_f32 v19, -v8, v13, 1.0
	v_fmac_f32_e32 v3, v1, v3
	scratch_load_b32 v1, off, off offset:84 ; 4-byte Folded Reload
	v_fma_f32 v20, -v11, v14, 1.0
	v_fmac_f32_e32 v13, v19, v13
	v_fma_f32 v21, -v12, v15, 1.0
	v_mul_f32_e32 v19, v16, v3
	s_delay_alu instid0(VALU_DEP_4) | instskip(NEXT) | instid1(VALU_DEP_4)
	v_fmac_f32_e32 v14, v20, v14
	v_mul_f32_e32 v20, v17, v13
	s_delay_alu instid0(VALU_DEP_4) | instskip(NEXT) | instid1(VALU_DEP_4)
	v_fmac_f32_e32 v15, v21, v15
	v_fma_f32 v24, -v6, v19, v16
	s_delay_alu instid0(VALU_DEP_3) | instskip(SKIP_1) | instid1(VALU_DEP_4)
	v_fma_f32 v25, -v8, v20, v17
	v_mul_f32_e32 v21, v18, v14
	v_mul_f32_e32 v23, v22, v15
	s_delay_alu instid0(VALU_DEP_3) | instskip(NEXT) | instid1(VALU_DEP_3)
	v_dual_fmac_f32 v19, v24, v3 :: v_dual_fmac_f32 v20, v25, v13
	v_fma_f32 v26, -v11, v21, v18
	s_delay_alu instid0(VALU_DEP_3) | instskip(NEXT) | instid1(VALU_DEP_3)
	v_fma_f32 v27, -v12, v23, v22
	v_fma_f32 v6, -v6, v19, v16
	s_delay_alu instid0(VALU_DEP_4) | instskip(NEXT) | instid1(VALU_DEP_4)
	v_fma_f32 v8, -v8, v20, v17
	v_fmac_f32_e32 v21, v26, v14
	s_delay_alu instid0(VALU_DEP_4) | instskip(NEXT) | instid1(VALU_DEP_4)
	v_fmac_f32_e32 v23, v27, v15
	v_div_fmas_f32 v3, v6, v3, v19
	s_mov_b32 vcc_lo, s4
	s_delay_alu instid0(VALU_DEP_3) | instskip(NEXT) | instid1(VALU_DEP_3)
	v_fma_f32 v11, -v11, v21, v18
	v_fma_f32 v12, -v12, v23, v22
	v_div_fmas_f32 v6, v8, v13, v20
	s_mov_b32 vcc_lo, s5
	v_div_fixup_f32 v3, v3, v5, v4
	v_div_fmas_f32 v8, v11, v14, v21
	s_mov_b32 vcc_lo, s6
	v_div_fixup_f32 v4, v6, v5, v7
	v_div_fmas_f32 v11, v12, v15, v23
	v_mbcnt_lo_u32_b32 v15, -1, 0
	v_div_fixup_f32 v8, v8, v5, v9
	s_delay_alu instid0(VALU_DEP_3) | instskip(SKIP_2) | instid1(VALU_DEP_1)
	v_div_fixup_f32 v9, v11, v5, v10
	s_waitcnt vmcnt(0)
	v_lshl_add_u32 v1, v2, 6, v1
	v_ashrrev_i32_e32 v2, 31, v1
	s_delay_alu instid0(VALU_DEP_1) | instskip(NEXT) | instid1(VALU_DEP_1)
	v_lshlrev_b64 v[1:2], 3, v[1:2]
	v_add_co_u32 v6, vcc_lo, s59, v1
	s_delay_alu instid0(VALU_DEP_2)
	v_add_co_ci_u32_e32 v7, vcc_lo, s87, v2, vcc_lo
	v_mov_b32_e32 v2, 0
	s_clause 0x1
	global_store_b64 v[6:7], v[3:4], off
	global_store_b64 v[6:7], v[8:9], off offset:256
.LBB25_392:                             ;   in Loop: Header=BB25_10 Depth=1
	s_or_b32 exec_lo, exec_lo, s7
	s_mov_b32 s4, -1
	s_mov_b32 s5, exec_lo
	v_cmpx_gt_i32_e32 0x47, v2
; %bb.393:                              ;   in Loop: Header=BB25_10 Depth=1
	v_cmp_eq_u32_e32 vcc_lo, 0, v2
	s_or_not1_b32 s4, vcc_lo, exec_lo
; %bb.394:                              ;   in Loop: Header=BB25_10 Depth=1
	s_or_b32 exec_lo, exec_lo, s5
	s_delay_alu instid0(SALU_CYCLE_1)
	s_and_b32 exec_lo, exec_lo, s4
	s_cbranch_execz .LBB25_397
; %bb.395:                              ;   in Loop: Header=BB25_10 Depth=1
	s_clause 0x1
	scratch_load_b32 v1, off, off offset:768
	scratch_load_b64 v[2:3], off, off offset:748
	s_waitcnt vmcnt(1)
	v_add_nc_u32_e32 v1, s66, v1
	s_waitcnt vmcnt(0)
	v_or_b32_e32 v2, s88, v2
	s_delay_alu instid0(VALU_DEP_2) | instskip(NEXT) | instid1(VALU_DEP_2)
	v_cmp_gt_i32_e32 vcc_lo, s8, v1
	v_cmp_gt_i32_e64 s4, s68, v2
	s_delay_alu instid0(VALU_DEP_1) | instskip(NEXT) | instid1(SALU_CYCLE_1)
	s_and_b32 s4, vcc_lo, s4
	s_and_b32 exec_lo, exec_lo, s4
	s_cbranch_execz .LBB25_397
; %bb.396:                              ;   in Loop: Header=BB25_10 Depth=1
	s_clause 0x1
	scratch_load_b32 v2, off, off offset:772
	scratch_load_b32 v7, off, off offset:776
	s_waitcnt vmcnt(1)
	v_add_nc_u32_e32 v6, 0, v2
	s_waitcnt vmcnt(0)
	ds_load_2addr_b32 v[2:3], v7 offset1:32
	ds_load_2addr_b32 v[4:5], v6 offset0:64 offset1:65
	ds_load_b32 v7, v7 offset:4352
	ds_load_b32 v6, v6 offset:4608
	s_clause 0x1
	scratch_load_b32 v8, off, off offset:780
	scratch_load_b64 v[13:14], off, off offset:748
	s_waitcnt lgkmcnt(2)
	v_fma_mix_f32 v9, v4, v2, 0 op_sel_hi:[0,1,0]
	v_fma_mix_f32 v2, v4, v2, 0 op_sel:[0,1,0] op_sel_hi:[0,1,0]
	v_fma_mix_f32 v10, v4, v3, 0 op_sel_hi:[0,1,0]
	v_fma_mix_f32 v3, v4, v3, 0 op_sel:[0,1,0] op_sel_hi:[0,1,0]
	s_waitcnt lgkmcnt(0)
	v_fma_mix_f32 v4, v6, v7, v9 op_sel_hi:[0,1,0]
	v_fma_mix_f32 v7, v6, v7, v2 op_sel:[0,1,0] op_sel_hi:[0,1,0]
	s_delay_alu instid0(VALU_DEP_2) | instskip(NEXT) | instid1(VALU_DEP_2)
	v_div_scale_f32 v16, vcc_lo, v4, v5, v4
	v_div_scale_f32 v17, s4, v7, v5, v7
	s_waitcnt vmcnt(1)
	ds_load_b32 v8, v8 offset:4352
	s_waitcnt lgkmcnt(0)
	v_fma_mix_f32 v9, v6, v8, v10 op_sel_hi:[0,1,0]
	v_fma_mix_f32 v8, v6, v8, v3 op_sel:[0,1,0] op_sel_hi:[0,1,0]
	v_div_scale_f32 v6, null, v5, v5, v4
	s_waitcnt vmcnt(0)
	v_mad_u64_u32 v[2:3], null, v1, s9, v[13:14]
	v_div_scale_f32 v10, null, v5, v5, v7
	s_delay_alu instid0(VALU_DEP_3) | instskip(SKIP_1) | instid1(VALU_DEP_2)
	v_rcp_f32_e32 v3, v6
	v_div_scale_f32 v11, null, v5, v5, v9
	v_rcp_f32_e32 v13, v10
	v_div_scale_f32 v12, null, v5, v5, v8
	s_delay_alu instid0(VALU_DEP_2) | instskip(SKIP_1) | instid1(VALU_DEP_2)
	v_rcp_f32_e32 v14, v11
	v_div_scale_f32 v18, s5, v9, v5, v9
	v_rcp_f32_e32 v15, v12
	v_fma_f32 v1, -v6, v3, 1.0
	v_div_scale_f32 v22, s6, v8, v5, v8
	s_delay_alu instid0(TRANS32_DEP_3) | instskip(NEXT) | instid1(VALU_DEP_3)
	v_fma_f32 v19, -v10, v13, 1.0
	v_fmac_f32_e32 v3, v1, v3
	scratch_load_b32 v1, off, off offset:84 ; 4-byte Folded Reload
	v_fma_f32 v20, -v11, v14, 1.0
	v_fmac_f32_e32 v13, v19, v13
	v_fma_f32 v21, -v12, v15, 1.0
	v_mul_f32_e32 v19, v16, v3
	s_delay_alu instid0(VALU_DEP_4) | instskip(NEXT) | instid1(VALU_DEP_4)
	v_fmac_f32_e32 v14, v20, v14
	v_mul_f32_e32 v20, v17, v13
	s_delay_alu instid0(VALU_DEP_4) | instskip(NEXT) | instid1(VALU_DEP_4)
	v_fmac_f32_e32 v15, v21, v15
	v_fma_f32 v24, -v6, v19, v16
	s_delay_alu instid0(VALU_DEP_3) | instskip(SKIP_1) | instid1(VALU_DEP_4)
	v_fma_f32 v25, -v10, v20, v17
	v_mul_f32_e32 v21, v18, v14
	v_mul_f32_e32 v23, v22, v15
	s_delay_alu instid0(VALU_DEP_3) | instskip(NEXT) | instid1(VALU_DEP_3)
	v_dual_fmac_f32 v19, v24, v3 :: v_dual_fmac_f32 v20, v25, v13
	v_fma_f32 v26, -v11, v21, v18
	s_delay_alu instid0(VALU_DEP_3) | instskip(NEXT) | instid1(VALU_DEP_3)
	v_fma_f32 v27, -v12, v23, v22
	v_fma_f32 v6, -v6, v19, v16
	s_delay_alu instid0(VALU_DEP_4) | instskip(NEXT) | instid1(VALU_DEP_4)
	v_fma_f32 v10, -v10, v20, v17
	v_fmac_f32_e32 v21, v26, v14
	s_delay_alu instid0(VALU_DEP_4) | instskip(NEXT) | instid1(VALU_DEP_4)
	v_fmac_f32_e32 v23, v27, v15
	v_div_fmas_f32 v3, v6, v3, v19
	s_mov_b32 vcc_lo, s4
	s_delay_alu instid0(VALU_DEP_3) | instskip(NEXT) | instid1(VALU_DEP_3)
	v_fma_f32 v11, -v11, v21, v18
	v_fma_f32 v12, -v12, v23, v22
	v_div_fmas_f32 v6, v10, v13, v20
	s_mov_b32 vcc_lo, s5
	v_div_fixup_f32 v3, v3, v5, v4
	v_div_fmas_f32 v10, v11, v14, v21
	s_mov_b32 vcc_lo, s6
	v_div_fixup_f32 v4, v6, v5, v7
	v_div_fmas_f32 v11, v12, v15, v23
	v_mbcnt_lo_u32_b32 v15, -1, 0
	v_div_fixup_f32 v6, v10, v5, v9
	s_delay_alu instid0(VALU_DEP_3) | instskip(SKIP_2) | instid1(VALU_DEP_1)
	v_div_fixup_f32 v7, v11, v5, v8
	s_waitcnt vmcnt(0)
	v_lshl_add_u32 v1, v2, 6, v1
	v_ashrrev_i32_e32 v2, 31, v1
	s_delay_alu instid0(VALU_DEP_1) | instskip(NEXT) | instid1(VALU_DEP_1)
	v_lshlrev_b64 v[1:2], 3, v[1:2]
	v_add_co_u32 v1, vcc_lo, s59, v1
	s_delay_alu instid0(VALU_DEP_2)
	v_add_co_ci_u32_e32 v2, vcc_lo, s87, v2, vcc_lo
	s_clause 0x1
	global_store_b64 v[1:2], v[3:4], off
	global_store_b64 v[1:2], v[6:7], off offset:256
.LBB25_397:                             ;   in Loop: Header=BB25_10 Depth=1
	s_or_b32 exec_lo, exec_lo, s56
	s_waitcnt_vscnt null, 0x0
	s_barrier
.LBB25_398:                             ;   in Loop: Header=BB25_10 Depth=1
	s_add_i32 s4, s50, s73
	s_mov_b32 s104, 0
	s_abs_i32 s5, s4
	s_waitcnt_vscnt null, 0x0
	buffer_gl0_inv
	s_mul_hi_u32 s6, s5, s76
	s_delay_alu instid0(SALU_CYCLE_1) | instskip(NEXT) | instid1(SALU_CYCLE_1)
	s_mul_i32 s6, s6, s74
	s_sub_i32 s5, s5, s6
	s_ashr_i32 s6, s4, 31
	s_sub_i32 s7, s5, s74
	s_cmp_ge_u32 s5, s74
	s_cselect_b32 s5, s7, s5
	s_delay_alu instid0(SALU_CYCLE_1) | instskip(SKIP_2) | instid1(SALU_CYCLE_1)
	s_sub_i32 s7, s5, s74
	s_cmp_ge_u32 s5, s74
	s_cselect_b32 s5, s7, s5
	s_xor_b32 s5, s5, s6
	s_delay_alu instid0(SALU_CYCLE_1) | instskip(NEXT) | instid1(SALU_CYCLE_1)
	s_sub_i32 s5, s6, s5
	s_add_i32 s50, s4, s5
	s_delay_alu instid0(SALU_CYCLE_1) | instskip(NEXT) | instid1(SALU_CYCLE_1)
	s_sub_i32 s5, s54, s50
	s_min_i32 s52, s73, s5
	s_cmp_gt_i32 s54, s50
	s_cselect_b32 s4, -1, 0
	s_cmp_le_i32 s73, s5
	s_cselect_b32 s5, -1, 0
	s_delay_alu instid0(SALU_CYCLE_1) | instskip(NEXT) | instid1(SALU_CYCLE_1)
	s_and_b32 s5, s5, s4
	s_and_b32 vcc_lo, exec_lo, s5
	s_cbranch_vccz .LBB25_400
; %bb.399:                              ;   in Loop: Header=BB25_10 Depth=1
	scratch_load_b32 v73, off, off offset:184 ; 4-byte Folded Reload
	s_branch .LBB25_10
.LBB25_400:
	s_clause 0xc
	scratch_load_b32 v236, off, off offset:84
	scratch_load_b32 v237, off, off offset:104
	;; [unrolled: 1-line block ×13, first 2 shown]
	v_readlane_b32 s58, v255, 0
	v_readlane_b32 s59, v255, 1
	s_and_not1_b32 vcc_lo, exec_lo, s4
	s_cbranch_vccnz .LBB25_8
.LBB25_401:
	s_abs_i32 s0, s72
	s_abs_i32 s3, s50
	v_cvt_f32_u32_e32 v0, s0
	s_sub_i32 s2, 0, s0
	s_delay_alu instid0(VALU_DEP_1) | instskip(SKIP_2) | instid1(VALU_DEP_1)
	v_rcp_iflag_f32_e32 v0, v0
	s_waitcnt_depctr 0xfff
	v_mul_f32_e32 v0, 0x4f7ffffe, v0
	v_cvt_u32_f32_e32 v0, v0
	s_delay_alu instid0(VALU_DEP_1) | instskip(NEXT) | instid1(VALU_DEP_1)
	v_readfirstlane_b32 s1, v0
	s_mul_i32 s2, s2, s1
	s_delay_alu instid0(SALU_CYCLE_1) | instskip(NEXT) | instid1(SALU_CYCLE_1)
	s_mul_hi_u32 s2, s1, s2
	s_add_i32 s1, s1, s2
	s_xor_b32 s2, s50, s72
	s_mul_hi_u32 s1, s3, s1
	s_ashr_i32 s2, s2, 31
	s_mul_i32 s4, s1, s0
	s_delay_alu instid0(SALU_CYCLE_1)
	s_sub_i32 s3, s3, s4
	s_add_i32 s4, s1, 1
	s_sub_i32 s5, s3, s0
	s_cmp_ge_u32 s3, s0
	s_cselect_b32 s1, s4, s1
	s_cselect_b32 s3, s5, s3
	s_add_i32 s4, s1, 1
	s_cmp_ge_u32 s3, s0
	s_cselect_b32 s0, s4, s1
	s_abs_i32 s3, s71
	s_xor_b32 s0, s0, s2
	v_cvt_f32_u32_e32 v0, s3
	s_sub_i32 s1, s0, s2
	s_sub_i32 s0, 0, s3
	s_mul_i32 s2, s1, s72
	s_delay_alu instid0(VALU_DEP_1) | instskip(SKIP_1) | instid1(SALU_CYCLE_1)
	v_rcp_iflag_f32_e32 v0, v0
	s_sub_i32 s5, s50, s2
	s_abs_i32 s2, s5
	s_waitcnt_depctr 0xfff
	v_mul_f32_e32 v0, 0x4f7ffffe, v0
	s_delay_alu instid0(VALU_DEP_1) | instskip(NEXT) | instid1(VALU_DEP_1)
	v_cvt_u32_f32_e32 v0, v0
	v_readfirstlane_b32 s4, v0
	s_delay_alu instid0(VALU_DEP_1) | instskip(NEXT) | instid1(SALU_CYCLE_1)
	s_mul_i32 s0, s0, s4
	s_mul_hi_u32 s0, s4, s0
	s_delay_alu instid0(SALU_CYCLE_1) | instskip(NEXT) | instid1(SALU_CYCLE_1)
	s_add_i32 s4, s4, s0
	s_mul_hi_u32 s0, s2, s4
	s_xor_b32 s4, s5, s71
	s_mul_i32 s6, s0, s3
	s_ashr_i32 s4, s4, 31
	s_sub_i32 s2, s2, s6
	s_add_i32 s6, s0, 1
	s_sub_i32 s7, s2, s3
	s_cmp_ge_u32 s2, s3
	s_cselect_b32 s0, s6, s0
	s_cselect_b32 s2, s7, s2
	s_add_i32 s6, s0, 1
	s_cmp_ge_u32 s2, s3
	s_cselect_b32 s0, s6, s0
	s_abs_i32 s3, s70
	s_xor_b32 s0, s0, s4
	v_cvt_f32_u32_e32 v0, s3
	s_sub_i32 s2, s0, s4
	s_sub_i32 s0, 0, s3
	s_mul_i32 s4, s2, s71
	s_delay_alu instid0(VALU_DEP_1) | instskip(SKIP_1) | instid1(SALU_CYCLE_1)
	v_rcp_iflag_f32_e32 v0, v0
	s_sub_i32 s4, s5, s4
	s_abs_i32 s5, s4
	s_waitcnt_depctr 0xfff
	v_mul_f32_e32 v0, 0x4f7ffffe, v0
	s_delay_alu instid0(VALU_DEP_1) | instskip(NEXT) | instid1(VALU_DEP_1)
	v_cvt_u32_f32_e32 v0, v0
	v_readfirstlane_b32 s6, v0
	s_delay_alu instid0(VALU_DEP_1) | instskip(NEXT) | instid1(SALU_CYCLE_1)
	s_mul_i32 s0, s0, s6
	s_mul_hi_u32 s0, s6, s0
	s_delay_alu instid0(SALU_CYCLE_1) | instskip(NEXT) | instid1(SALU_CYCLE_1)
	s_add_i32 s6, s6, s0
	s_mul_hi_u32 s0, s5, s6
	s_xor_b32 s6, s4, s70
	s_mul_i32 s7, s0, s3
	s_ashr_i32 s6, s6, 31
	s_sub_i32 s5, s5, s7
	s_add_i32 s7, s0, 1
	s_sub_i32 s9, s5, s3
	s_cmp_ge_u32 s5, s3
	s_cselect_b32 s0, s7, s0
	s_cselect_b32 s5, s9, s5
	s_add_i32 s7, s0, 1
	s_cmp_ge_u32 s5, s3
	s_cselect_b32 s0, s7, s0
	s_delay_alu instid0(SALU_CYCLE_1) | instskip(NEXT) | instid1(SALU_CYCLE_1)
	s_xor_b32 s0, s0, s6
	s_sub_i32 s0, s0, s6
	s_delay_alu instid0(SALU_CYCLE_1) | instskip(NEXT) | instid1(SALU_CYCLE_1)
	s_mul_i32 s3, s0, s70
	s_sub_i32 s3, s4, s3
	s_delay_alu instid0(SALU_CYCLE_1) | instskip(SKIP_4) | instid1(SALU_CYCLE_1)
	s_abs_i32 s4, s3
	s_ashr_i32 s3, s3, 31
	s_mul_hi_u32 s5, s4, s76
	s_xor_b32 s9, s3, s75
	s_mul_i32 s6, s5, s74
	s_sub_i32 s3, s4, s6
	s_add_i32 s4, s5, 1
	s_sub_i32 s6, s3, s74
	s_cmp_ge_u32 s3, s74
	s_cselect_b32 s4, s4, s5
	s_cselect_b32 s3, s6, s3
	s_add_i32 s5, s4, 1
	s_cmp_ge_u32 s3, s74
	s_cselect_b32 s4, s5, s4
	s_abs_i32 s3, s58
	s_xor_b32 s4, s4, s9
	v_cvt_f32_u32_e32 v0, s3
	s_sub_i32 s9, s4, s9
	s_cmp_eq_u64 s[26:27], 0
	s_delay_alu instid0(VALU_DEP_1) | instskip(SKIP_2) | instid1(VALU_DEP_1)
	v_rcp_iflag_f32_e32 v0, v0
	s_waitcnt_depctr 0xfff
	v_mul_f32_e32 v0, 0x4f7ffffe, v0
	v_cvt_u32_f32_e32 v0, v0
	s_delay_alu instid0(VALU_DEP_1)
	v_readfirstlane_b32 s7, v0
	v_mov_b32_e32 v0, s52
	s_cbranch_scc1 .LBB25_403
; %bb.402:
	s_mul_i32 s4, s1, s69
	v_mov_b32_e32 v0, 0
	s_add_i32 s4, s9, s4
	s_delay_alu instid0(SALU_CYCLE_1) | instskip(NEXT) | instid1(SALU_CYCLE_1)
	s_ashr_i32 s5, s4, 31
	s_lshl_b64 s[4:5], s[4:5], 2
	s_delay_alu instid0(SALU_CYCLE_1) | instskip(SKIP_4) | instid1(VALU_DEP_1)
	s_add_u32 s4, s26, s4
	s_addc_u32 s5, s27, s5
	global_load_b32 v0, v0, s[4:5]
	s_waitcnt vmcnt(0)
	v_ashrrev_i32_e32 v1, 31, v0
	v_lshrrev_b32_e32 v1, 27, v1
	s_delay_alu instid0(VALU_DEP_1) | instskip(NEXT) | instid1(VALU_DEP_1)
	v_add_nc_u32_e32 v0, v0, v1
	v_ashrrev_i32_e32 v0, 5, v0
	s_delay_alu instid0(VALU_DEP_1)
	v_min_i32_e32 v0, s52, v0
.LBB25_403:
	scratch_load_b32 v1, off, off offset:100 ; 4-byte Folded Reload
	s_mul_i32 s4, s2, s68
	s_lshl_b32 s6, s0, 3
	s_mul_i32 s0, s1, s49
	s_add_i32 s4, s6, s4
	s_ashr_i32 s5, s0, 31
	s_mul_i32 s4, s4, s48
	s_add_u32 s0, s16, s0
	s_addc_u32 s5, s17, s5
	s_ashr_i32 s11, s4, 31
	s_add_u32 s4, s0, s4
	s_addc_u32 s5, s5, s11
	s_lshl_b32 s11, s9, 1
	s_waitcnt vmcnt(4)
	v_or_b32_e32 v2, s6, v73
	s_delay_alu instid0(VALU_DEP_1) | instskip(SKIP_3) | instid1(VALU_DEP_1)
	v_cmp_gt_i32_e32 vcc_lo, s68, v2
	s_xor_b32 s16, vcc_lo, -1
	s_waitcnt vmcnt(0)
	v_add_nc_u32_e32 v1, s11, v1
	v_cmp_le_i32_e64 s0, s8, v1
	s_delay_alu instid0(VALU_DEP_1) | instskip(NEXT) | instid1(SALU_CYCLE_1)
	s_or_b32 s0, s0, s16
	s_and_saveexec_b32 s17, s0
	s_delay_alu instid0(SALU_CYCLE_1)
	s_xor_b32 s0, exec_lo, s17
	s_cbranch_execz .LBB25_405
; %bb.404:
	v_mad_u32_u24 v1, 0x44, v237, v236
	v_mov_b32_e32 v2, 0
	s_delay_alu instid0(VALU_DEP_2)
	v_lshl_add_u32 v1, v1, 2, 0
	ds_store_2addr_b32 v1, v2, v2 offset1:32
                                        ; implicit-def: $vgpr1
.LBB25_405:
	s_and_not1_saveexec_b32 s0, s0
	s_cbranch_execz .LBB25_407
; %bb.406:
	v_mul_lo_u32 v1, v1, s51
	v_mul_lo_u32 v2, v73, s55
	v_mad_u32_u24 v5, 0x44, v237, v236
	s_delay_alu instid0(VALU_DEP_2) | instskip(NEXT) | instid1(VALU_DEP_1)
	v_add3_u32 v1, v1, v2, v236
	v_ashrrev_i32_e32 v2, 31, v1
	s_delay_alu instid0(VALU_DEP_1) | instskip(NEXT) | instid1(VALU_DEP_1)
	v_lshlrev_b64 v[1:2], 3, v[1:2]
	v_add_co_u32 v1, vcc_lo, s4, v1
	s_delay_alu instid0(VALU_DEP_2)
	v_add_co_ci_u32_e32 v2, vcc_lo, s5, v2, vcc_lo
	s_clause 0x1
	global_load_b64 v[3:4], v[1:2], off
	global_load_b64 v[1:2], v[1:2], off offset:256
	s_waitcnt vmcnt(1)
	v_cvt_f16_f32_e32 v3, v3
	v_cvt_f16_f32_e32 v4, v4
	s_waitcnt vmcnt(0)
	v_cvt_f16_f32_e32 v1, v1
	v_cvt_f16_f32_e32 v2, v2
	s_delay_alu instid0(VALU_DEP_3)
	v_pack_b32_f16 v3, v3, v4
	scratch_load_b32 v4, off, off offset:88 ; 4-byte Folded Reload
	v_pack_b32_f16 v1, v1, v2
	v_lshl_add_u32 v2, v5, 2, 0
	s_waitcnt vmcnt(0)
	v_pk_mul_f16 v3, v4, v3
	s_delay_alu instid0(VALU_DEP_3)
	v_pk_mul_f16 v1, v4, v1
	ds_store_2addr_b32 v2, v3, v1 offset1:32
.LBB25_407:
	s_or_b32 exec_lo, exec_lo, s0
	v_lshrrev_b32_e32 v2, 3, v76
	v_and_b32_e32 v1, 7, v76
	s_delay_alu instid0(VALU_DEP_2) | instskip(NEXT) | instid1(VALU_DEP_2)
	v_add_nc_u32_e32 v2, s11, v2
	v_or_b32_e32 v3, s6, v1
	s_delay_alu instid0(VALU_DEP_2) | instskip(NEXT) | instid1(VALU_DEP_2)
	v_cmp_le_i32_e32 vcc_lo, s8, v2
	v_cmp_le_i32_e64 s0, s68, v3
	s_delay_alu instid0(VALU_DEP_1) | instskip(NEXT) | instid1(SALU_CYCLE_1)
	s_or_b32 s0, vcc_lo, s0
	s_and_saveexec_b32 s17, s0
	s_delay_alu instid0(SALU_CYCLE_1)
	s_xor_b32 s0, exec_lo, s17
	s_cbranch_execz .LBB25_409
; %bb.408:
	v_mad_u32_u24 v1, 0x44, v76, v236
	v_mov_b32_e32 v2, 0
                                        ; implicit-def: $vgpr76
	s_delay_alu instid0(VALU_DEP_2)
	v_lshl_add_u32 v1, v1, 2, 0
	ds_store_2addr_b32 v1, v2, v2 offset1:32
                                        ; implicit-def: $vgpr2
                                        ; implicit-def: $vgpr1
.LBB25_409:
	s_and_not1_saveexec_b32 s0, s0
	s_cbranch_execz .LBB25_411
; %bb.410:
	v_mul_lo_u32 v2, v2, s51
	v_mul_lo_u32 v1, v1, s55
	v_mad_u32_u24 v5, 0x44, v76, v236
	s_delay_alu instid0(VALU_DEP_2) | instskip(NEXT) | instid1(VALU_DEP_1)
	v_add3_u32 v1, v2, v1, v236
	v_ashrrev_i32_e32 v2, 31, v1
	s_delay_alu instid0(VALU_DEP_1) | instskip(NEXT) | instid1(VALU_DEP_1)
	v_lshlrev_b64 v[1:2], 3, v[1:2]
	v_add_co_u32 v1, vcc_lo, s4, v1
	s_delay_alu instid0(VALU_DEP_2)
	v_add_co_ci_u32_e32 v2, vcc_lo, s5, v2, vcc_lo
	s_clause 0x1
	global_load_b64 v[3:4], v[1:2], off
	global_load_b64 v[1:2], v[1:2], off offset:256
	s_waitcnt vmcnt(1)
	v_cvt_f16_f32_e32 v3, v3
	v_cvt_f16_f32_e32 v4, v4
	s_waitcnt vmcnt(0)
	v_cvt_f16_f32_e32 v1, v1
	v_cvt_f16_f32_e32 v2, v2
	s_delay_alu instid0(VALU_DEP_3)
	v_pack_b32_f16 v3, v3, v4
	scratch_load_b32 v4, off, off offset:88 ; 4-byte Folded Reload
	v_pack_b32_f16 v1, v1, v2
	v_lshl_add_u32 v2, v5, 2, 0
	s_waitcnt vmcnt(0)
	v_pk_mul_f16 v3, v4, v3
	s_delay_alu instid0(VALU_DEP_3)
	v_pk_mul_f16 v1, v4, v1
	ds_store_2addr_b32 v2, v3, v1 offset1:32
.LBB25_411:
	s_or_b32 exec_lo, exec_lo, s0
	v_lshrrev_b32_e32 v2, 3, v75
	v_and_b32_e32 v1, 7, v75
	s_delay_alu instid0(VALU_DEP_2) | instskip(NEXT) | instid1(VALU_DEP_2)
	v_add_nc_u32_e32 v2, s11, v2
	v_or_b32_e32 v3, s6, v1
	s_delay_alu instid0(VALU_DEP_2) | instskip(NEXT) | instid1(VALU_DEP_2)
	v_cmp_le_i32_e32 vcc_lo, s8, v2
	v_cmp_le_i32_e64 s0, s68, v3
	s_delay_alu instid0(VALU_DEP_1) | instskip(NEXT) | instid1(SALU_CYCLE_1)
	s_or_b32 s0, vcc_lo, s0
	s_and_saveexec_b32 s17, s0
	s_delay_alu instid0(SALU_CYCLE_1)
	s_xor_b32 s0, exec_lo, s17
	s_cbranch_execz .LBB25_413
; %bb.412:
	v_mad_u32_u24 v1, 0x44, v75, v236
	v_mov_b32_e32 v2, 0
                                        ; implicit-def: $vgpr75
	s_delay_alu instid0(VALU_DEP_2)
	v_lshl_add_u32 v1, v1, 2, 0
	ds_store_2addr_b32 v1, v2, v2 offset1:32
                                        ; implicit-def: $vgpr2
                                        ; implicit-def: $vgpr1
.LBB25_413:
	s_and_not1_saveexec_b32 s0, s0
	s_cbranch_execz .LBB25_415
; %bb.414:
	v_mul_lo_u32 v2, v2, s51
	v_mul_lo_u32 v1, v1, s55
	v_mad_u32_u24 v5, 0x44, v75, v236
	s_delay_alu instid0(VALU_DEP_2) | instskip(NEXT) | instid1(VALU_DEP_1)
	v_add3_u32 v1, v2, v1, v236
	v_ashrrev_i32_e32 v2, 31, v1
	s_delay_alu instid0(VALU_DEP_1) | instskip(NEXT) | instid1(VALU_DEP_1)
	v_lshlrev_b64 v[1:2], 3, v[1:2]
	v_add_co_u32 v1, vcc_lo, s4, v1
	s_delay_alu instid0(VALU_DEP_2)
	v_add_co_ci_u32_e32 v2, vcc_lo, s5, v2, vcc_lo
	s_clause 0x1
	global_load_b64 v[3:4], v[1:2], off
	global_load_b64 v[1:2], v[1:2], off offset:256
	s_waitcnt vmcnt(1)
	v_cvt_f16_f32_e32 v3, v3
	v_cvt_f16_f32_e32 v4, v4
	s_waitcnt vmcnt(0)
	v_cvt_f16_f32_e32 v1, v1
	v_cvt_f16_f32_e32 v2, v2
	s_delay_alu instid0(VALU_DEP_3)
	v_pack_b32_f16 v3, v3, v4
	scratch_load_b32 v4, off, off offset:88 ; 4-byte Folded Reload
	v_pack_b32_f16 v1, v1, v2
	v_lshl_add_u32 v2, v5, 2, 0
	s_waitcnt vmcnt(0)
	v_pk_mul_f16 v3, v4, v3
	s_delay_alu instid0(VALU_DEP_3)
	v_pk_mul_f16 v1, v4, v1
	ds_store_2addr_b32 v2, v3, v1 offset1:32
.LBB25_415:
	s_or_b32 exec_lo, exec_lo, s0
	v_lshrrev_b32_e32 v2, 3, v74
	v_and_b32_e32 v1, 7, v74
	s_delay_alu instid0(VALU_DEP_2) | instskip(NEXT) | instid1(VALU_DEP_2)
	v_add_nc_u32_e32 v2, s11, v2
	v_or_b32_e32 v3, s6, v1
	s_delay_alu instid0(VALU_DEP_2) | instskip(NEXT) | instid1(VALU_DEP_2)
	v_cmp_le_i32_e32 vcc_lo, s8, v2
	v_cmp_le_i32_e64 s0, s68, v3
	s_delay_alu instid0(VALU_DEP_1) | instskip(NEXT) | instid1(SALU_CYCLE_1)
	s_or_b32 s0, vcc_lo, s0
	s_and_saveexec_b32 s17, s0
	s_delay_alu instid0(SALU_CYCLE_1)
	s_xor_b32 s0, exec_lo, s17
	s_cbranch_execz .LBB25_417
; %bb.416:
	v_mad_u32_u24 v1, 0x44, v74, v236
	v_mov_b32_e32 v2, 0
                                        ; implicit-def: $vgpr74
	s_delay_alu instid0(VALU_DEP_2)
	v_lshl_add_u32 v1, v1, 2, 0
	ds_store_2addr_b32 v1, v2, v2 offset1:32
                                        ; implicit-def: $vgpr2
                                        ; implicit-def: $vgpr1
.LBB25_417:
	s_and_not1_saveexec_b32 s0, s0
	s_cbranch_execz .LBB25_419
; %bb.418:
	v_mul_lo_u32 v2, v2, s51
	v_mul_lo_u32 v1, v1, s55
	v_mad_u32_u24 v5, 0x44, v74, v236
	s_delay_alu instid0(VALU_DEP_2) | instskip(NEXT) | instid1(VALU_DEP_1)
	v_add3_u32 v1, v2, v1, v236
	v_ashrrev_i32_e32 v2, 31, v1
	s_delay_alu instid0(VALU_DEP_1) | instskip(NEXT) | instid1(VALU_DEP_1)
	v_lshlrev_b64 v[1:2], 3, v[1:2]
	v_add_co_u32 v1, vcc_lo, s4, v1
	s_delay_alu instid0(VALU_DEP_2)
	v_add_co_ci_u32_e32 v2, vcc_lo, s5, v2, vcc_lo
	s_clause 0x1
	global_load_b64 v[3:4], v[1:2], off
	global_load_b64 v[1:2], v[1:2], off offset:256
	s_waitcnt vmcnt(1)
	v_cvt_f16_f32_e32 v3, v3
	v_cvt_f16_f32_e32 v4, v4
	s_waitcnt vmcnt(0)
	v_cvt_f16_f32_e32 v1, v1
	v_cvt_f16_f32_e32 v2, v2
	s_delay_alu instid0(VALU_DEP_3)
	v_pack_b32_f16 v3, v3, v4
	scratch_load_b32 v4, off, off offset:88 ; 4-byte Folded Reload
	v_pack_b32_f16 v1, v1, v2
	v_lshl_add_u32 v2, v5, 2, 0
	s_waitcnt vmcnt(0)
	v_pk_mul_f16 v3, v4, v3
	s_delay_alu instid0(VALU_DEP_3)
	v_pk_mul_f16 v1, v4, v1
	ds_store_2addr_b32 v2, v3, v1 offset1:32
.LBB25_419:
	s_or_b32 exec_lo, exec_lo, s0
	v_lshrrev_b32_e32 v1, 3, v72
	s_delay_alu instid0(VALU_DEP_1) | instskip(NEXT) | instid1(VALU_DEP_1)
	v_add_nc_u32_e32 v1, s11, v1
	v_cmp_le_i32_e32 vcc_lo, s8, v1
	s_or_b32 s0, vcc_lo, s16
	s_delay_alu instid0(SALU_CYCLE_1) | instskip(NEXT) | instid1(SALU_CYCLE_1)
	s_and_saveexec_b32 s16, s0
	s_xor_b32 s0, exec_lo, s16
	s_cbranch_execz .LBB25_421
; %bb.420:
	v_mad_u32_u24 v1, 0x44, v72, v236
	v_mov_b32_e32 v2, 0
                                        ; implicit-def: $vgpr73
                                        ; implicit-def: $vgpr72
	s_delay_alu instid0(VALU_DEP_2)
	v_lshl_add_u32 v1, v1, 2, 0
	ds_store_2addr_b32 v1, v2, v2 offset1:32
                                        ; implicit-def: $vgpr1
.LBB25_421:
	s_and_not1_saveexec_b32 s0, s0
	s_cbranch_execz .LBB25_423
; %bb.422:
	v_mul_lo_u32 v1, v1, s51
	v_mul_lo_u32 v2, v73, s55
	v_mad_u32_u24 v5, 0x44, v72, v236
	s_delay_alu instid0(VALU_DEP_2) | instskip(NEXT) | instid1(VALU_DEP_1)
	v_add3_u32 v1, v1, v2, v236
	v_ashrrev_i32_e32 v2, 31, v1
	s_delay_alu instid0(VALU_DEP_1) | instskip(NEXT) | instid1(VALU_DEP_1)
	v_lshlrev_b64 v[1:2], 3, v[1:2]
	v_add_co_u32 v1, vcc_lo, s4, v1
	s_delay_alu instid0(VALU_DEP_2)
	v_add_co_ci_u32_e32 v2, vcc_lo, s5, v2, vcc_lo
	s_clause 0x1
	global_load_b64 v[3:4], v[1:2], off
	global_load_b64 v[1:2], v[1:2], off offset:256
	s_waitcnt vmcnt(1)
	v_cvt_f16_f32_e32 v3, v3
	v_cvt_f16_f32_e32 v4, v4
	s_waitcnt vmcnt(0)
	v_cvt_f16_f32_e32 v1, v1
	v_cvt_f16_f32_e32 v2, v2
	s_delay_alu instid0(VALU_DEP_3)
	v_pack_b32_f16 v3, v3, v4
	scratch_load_b32 v4, off, off offset:88 ; 4-byte Folded Reload
	v_pack_b32_f16 v1, v1, v2
	v_lshl_add_u32 v2, v5, 2, 0
	s_waitcnt vmcnt(0)
	v_pk_mul_f16 v3, v4, v3
	s_delay_alu instid0(VALU_DEP_3)
	v_pk_mul_f16 v1, v4, v1
	ds_store_2addr_b32 v2, v3, v1 offset1:32
.LBB25_423:
	s_or_b32 exec_lo, exec_lo, s0
	v_lshrrev_b32_e32 v2, 3, v71
	v_and_b32_e32 v1, 7, v71
	s_sub_i32 s16, 0, s3
	s_delay_alu instid0(VALU_DEP_2) | instskip(NEXT) | instid1(VALU_DEP_2)
	v_add_nc_u32_e32 v2, s11, v2
	v_or_b32_e32 v3, s6, v1
	s_delay_alu instid0(VALU_DEP_2) | instskip(NEXT) | instid1(VALU_DEP_2)
	v_cmp_le_i32_e32 vcc_lo, s8, v2
	v_cmp_le_i32_e64 s0, s68, v3
	s_delay_alu instid0(VALU_DEP_1) | instskip(NEXT) | instid1(SALU_CYCLE_1)
	s_or_b32 s0, vcc_lo, s0
	s_and_saveexec_b32 s17, s0
	s_delay_alu instid0(SALU_CYCLE_1)
	s_xor_b32 s0, exec_lo, s17
	s_cbranch_execz .LBB25_425
; %bb.424:
	v_mad_u32_u24 v1, 0x44, v71, v236
	v_mov_b32_e32 v2, 0
                                        ; implicit-def: $vgpr71
	s_delay_alu instid0(VALU_DEP_2)
	v_lshl_add_u32 v1, v1, 2, 0
	ds_store_2addr_b32 v1, v2, v2 offset1:32
                                        ; implicit-def: $vgpr2
                                        ; implicit-def: $vgpr1
.LBB25_425:
	s_or_saveexec_b32 s0, s0
	s_mul_i32 s16, s16, s7
	s_xor_b32 exec_lo, exec_lo, s0
	s_cbranch_execz .LBB25_427
; %bb.426:
	v_mul_lo_u32 v2, v2, s51
	v_mul_lo_u32 v1, v1, s55
	v_mad_u32_u24 v5, 0x44, v71, v236
	s_delay_alu instid0(VALU_DEP_2) | instskip(NEXT) | instid1(VALU_DEP_1)
	v_add3_u32 v1, v2, v1, v236
	v_ashrrev_i32_e32 v2, 31, v1
	s_delay_alu instid0(VALU_DEP_1) | instskip(NEXT) | instid1(VALU_DEP_1)
	v_lshlrev_b64 v[1:2], 3, v[1:2]
	v_add_co_u32 v1, vcc_lo, s4, v1
	s_delay_alu instid0(VALU_DEP_2)
	v_add_co_ci_u32_e32 v2, vcc_lo, s5, v2, vcc_lo
	s_clause 0x1
	global_load_b64 v[3:4], v[1:2], off
	global_load_b64 v[1:2], v[1:2], off offset:256
	s_waitcnt vmcnt(1)
	v_cvt_f16_f32_e32 v3, v3
	v_cvt_f16_f32_e32 v4, v4
	s_waitcnt vmcnt(0)
	v_cvt_f16_f32_e32 v1, v1
	v_cvt_f16_f32_e32 v2, v2
	s_delay_alu instid0(VALU_DEP_3)
	v_pack_b32_f16 v3, v3, v4
	scratch_load_b32 v4, off, off offset:88 ; 4-byte Folded Reload
	v_pack_b32_f16 v1, v1, v2
	v_lshl_add_u32 v2, v5, 2, 0
	s_waitcnt vmcnt(0)
	v_pk_mul_f16 v3, v4, v3
	s_delay_alu instid0(VALU_DEP_3)
	v_pk_mul_f16 v1, v4, v1
	ds_store_2addr_b32 v2, v3, v1 offset1:32
.LBB25_427:
	s_or_b32 exec_lo, exec_lo, s0
	v_lshrrev_b32_e32 v2, 3, v70
	v_and_b32_e32 v1, 7, v70
	s_mul_hi_u32 s16, s7, s16
	s_delay_alu instid0(VALU_DEP_2) | instskip(NEXT) | instid1(VALU_DEP_2)
	v_add_nc_u32_e32 v2, s11, v2
	v_or_b32_e32 v3, s6, v1
	s_delay_alu instid0(VALU_DEP_2) | instskip(NEXT) | instid1(VALU_DEP_2)
	v_cmp_le_i32_e32 vcc_lo, s8, v2
	v_cmp_le_i32_e64 s0, s68, v3
	s_delay_alu instid0(VALU_DEP_1) | instskip(NEXT) | instid1(SALU_CYCLE_1)
	s_or_b32 s0, vcc_lo, s0
	s_and_saveexec_b32 s17, s0
	s_delay_alu instid0(SALU_CYCLE_1)
	s_xor_b32 s0, exec_lo, s17
	s_cbranch_execz .LBB25_429
; %bb.428:
	v_mad_u32_u24 v1, 0x44, v70, v236
	v_mov_b32_e32 v2, 0
                                        ; implicit-def: $vgpr70
	s_delay_alu instid0(VALU_DEP_2)
	v_lshl_add_u32 v1, v1, 2, 0
	ds_store_2addr_b32 v1, v2, v2 offset1:32
                                        ; implicit-def: $vgpr2
                                        ; implicit-def: $vgpr1
.LBB25_429:
	s_or_saveexec_b32 s0, s0
	s_abs_i32 s17, s1
	s_add_i32 s7, s7, s16
	s_xor_b32 exec_lo, exec_lo, s0
	s_cbranch_execz .LBB25_431
; %bb.430:
	v_mul_lo_u32 v2, v2, s51
	v_mul_lo_u32 v1, v1, s55
	v_mad_u32_u24 v5, 0x44, v70, v236
	s_delay_alu instid0(VALU_DEP_2) | instskip(NEXT) | instid1(VALU_DEP_1)
	v_add3_u32 v1, v2, v1, v236
	v_ashrrev_i32_e32 v2, 31, v1
	s_delay_alu instid0(VALU_DEP_1) | instskip(NEXT) | instid1(VALU_DEP_1)
	v_lshlrev_b64 v[1:2], 3, v[1:2]
	v_add_co_u32 v1, vcc_lo, s4, v1
	s_delay_alu instid0(VALU_DEP_2)
	v_add_co_ci_u32_e32 v2, vcc_lo, s5, v2, vcc_lo
	s_clause 0x1
	global_load_b64 v[3:4], v[1:2], off
	global_load_b64 v[1:2], v[1:2], off offset:256
	s_waitcnt vmcnt(1)
	v_cvt_f16_f32_e32 v3, v3
	v_cvt_f16_f32_e32 v4, v4
	s_waitcnt vmcnt(0)
	v_cvt_f16_f32_e32 v1, v1
	v_cvt_f16_f32_e32 v2, v2
	s_delay_alu instid0(VALU_DEP_3)
	v_pack_b32_f16 v3, v3, v4
	scratch_load_b32 v4, off, off offset:88 ; 4-byte Folded Reload
	v_pack_b32_f16 v1, v1, v2
	v_lshl_add_u32 v2, v5, 2, 0
	s_waitcnt vmcnt(0)
	v_pk_mul_f16 v3, v4, v3
	s_delay_alu instid0(VALU_DEP_3)
	v_pk_mul_f16 v1, v4, v1
	ds_store_2addr_b32 v2, v3, v1 offset1:32
.LBB25_431:
	s_or_b32 exec_lo, exec_lo, s0
	v_lshrrev_b32_e32 v2, 3, v69
	v_and_b32_e32 v1, 7, v69
	s_delay_alu instid0(VALU_DEP_2) | instskip(NEXT) | instid1(VALU_DEP_2)
	v_add_nc_u32_e32 v2, s11, v2
	v_or_b32_e32 v3, s6, v1
	s_mul_hi_u32 s6, s17, s7
	s_delay_alu instid0(VALU_DEP_2) | instskip(NEXT) | instid1(VALU_DEP_2)
	v_cmp_le_i32_e32 vcc_lo, s8, v2
	v_cmp_le_i32_e64 s0, s68, v3
	s_delay_alu instid0(VALU_DEP_1) | instskip(NEXT) | instid1(SALU_CYCLE_1)
	s_or_b32 s0, vcc_lo, s0
	s_and_saveexec_b32 s7, s0
	s_delay_alu instid0(SALU_CYCLE_1)
	s_xor_b32 s0, exec_lo, s7
	s_cbranch_execz .LBB25_433
; %bb.432:
	v_mad_u32_u24 v1, 0x44, v69, v236
	v_mov_b32_e32 v2, 0
                                        ; implicit-def: $vgpr3
                                        ; kill: killed $vgpr3
                                        ; implicit-def: $vgpr69
	s_delay_alu instid0(VALU_DEP_2)
	v_lshl_add_u32 v1, v1, 2, 0
	ds_store_2addr_b32 v1, v2, v2 offset1:32
                                        ; implicit-def: $vgpr2
                                        ; implicit-def: $vgpr1
.LBB25_433:
	s_or_saveexec_b32 s7, s0
	s_ashr_i32 s0, s1, 31
	s_xor_b32 exec_lo, exec_lo, s7
	s_cbranch_execz .LBB25_435
; %bb.434:
	v_mul_lo_u32 v2, v2, s51
	v_mul_lo_u32 v1, v1, s55
	v_mad_u32_u24 v5, 0x44, v69, v236
	s_delay_alu instid0(VALU_DEP_2) | instskip(NEXT) | instid1(VALU_DEP_1)
	v_add3_u32 v1, v2, v1, v236
	v_ashrrev_i32_e32 v2, 31, v1
	s_delay_alu instid0(VALU_DEP_1) | instskip(NEXT) | instid1(VALU_DEP_1)
	v_lshlrev_b64 v[1:2], 3, v[1:2]
	v_add_co_u32 v1, vcc_lo, s4, v1
	s_delay_alu instid0(VALU_DEP_2)
	v_add_co_ci_u32_e32 v2, vcc_lo, s5, v2, vcc_lo
	s_clause 0x1
	global_load_b64 v[3:4], v[1:2], off
	global_load_b64 v[1:2], v[1:2], off offset:256
	s_waitcnt vmcnt(1)
	v_cvt_f16_f32_e32 v3, v3
	v_cvt_f16_f32_e32 v4, v4
	s_waitcnt vmcnt(0)
	v_cvt_f16_f32_e32 v1, v1
	v_cvt_f16_f32_e32 v2, v2
	s_delay_alu instid0(VALU_DEP_3)
	v_pack_b32_f16 v3, v3, v4
	scratch_load_b32 v4, off, off offset:88 ; 4-byte Folded Reload
	v_pack_b32_f16 v1, v1, v2
	v_lshl_add_u32 v2, v5, 2, 0
	s_waitcnt vmcnt(0)
	v_pk_mul_f16 v3, v4, v3
	s_delay_alu instid0(VALU_DEP_3)
	v_pk_mul_f16 v1, v4, v1
	ds_store_2addr_b32 v2, v3, v1 offset1:32
.LBB25_435:
	s_or_b32 exec_lo, exec_lo, s7
	v_and_b32_e32 v1, 0x1ff0, v239
	v_dual_mov_b32 v31, 0 :: v_dual_and_b32 v142, 15, v236
	s_mul_i32 s4, s1, s37
	s_mul_hi_u32 s5, s1, s36
	s_mul_i32 s7, s1, s36
	s_add_i32 s4, s5, s4
	s_mul_i32 s5, s0, s36
	v_mul_u32_u24_e32 v2, 0x110, v1
	s_add_i32 s4, s4, s5
	v_mul_u32_u24_e32 v148, 0x110, v142
	s_add_u32 s5, s18, s7
	s_mul_i32 s7, s2, s47
	s_addc_u32 s4, s19, s4
	s_ashr_i32 s16, s7, 31
	s_mul_i32 s6, s6, s3
	s_add_u32 s11, s5, s7
	s_addc_u32 s16, s4, s16
	s_sub_i32 s4, s17, s6
	v_add3_u32 v2, 0, v2, v148
	s_sub_i32 s5, s4, s3
	s_cmp_ge_u32 s4, s3
	s_waitcnt lgkmcnt(0)
	s_waitcnt_vscnt null, 0x0
	s_cselect_b32 s4, s5, s4
	s_barrier
	buffer_gl0_inv
	ds_load_b128 v[64:67], v2
	ds_load_b128 v[68:71], v2 offset:16
	ds_load_b128 v[32:35], v2 offset:32
	;; [unrolled: 1-line block ×9, first 2 shown]
	s_sub_i32 s5, s4, s3
	s_cmp_ge_u32 s4, s3
	v_lshrrev_b32_e32 v143, 4, v236
	s_cselect_b32 s3, s5, s4
	ds_load_b128 v[80:83], v2 offset:160
	ds_load_b128 v[84:87], v2 offset:176
	;; [unrolled: 1-line block ×4, first 2 shown]
	s_xor_b32 s3, s3, s0
	ds_load_b128 v[72:75], v2 offset:224
	ds_load_b128 v[76:79], v2 offset:240
	s_sub_i32 s3, s3, s0
	v_lshl_add_u32 v163, v237, 1, v143
	s_mul_i32 s4, s3, s45
	s_mul_hi_u32 s5, s3, s44
	s_ashr_i32 s6, s3, 31
	s_add_i32 s4, s5, s4
	s_mul_i32 s6, s6, s44
	s_mul_i32 s3, s3, s44
	s_add_i32 s4, s4, s6
	v_mul_lo_u32 v107, s34, v163
	v_mul_lo_u32 v105, s10, v163
	s_add_u32 s17, s22, s3
	s_mul_i32 s3, s1, s43
	s_mul_hi_u32 s5, s1, s42
	v_add_nc_u32_e32 v150, -1, v0
	s_addc_u32 s18, s23, s4
	s_add_i32 s3, s5, s3
	s_mul_i32 s0, s0, s42
	s_mul_i32 s1, s1, s42
	s_add_i32 s3, s3, s0
	s_mul_i32 s2, s2, s39
	s_add_u32 s0, s20, s1
	v_cmp_ge_i32_e32 vcc_lo, s104, v150
	s_addc_u32 s1, s21, s3
	s_ashr_i32 s3, s2, 31
	s_add_u32 s6, s0, s2
	v_cmp_gt_u32_e64 s0, 2, v163
	v_lshlrev_b32_e32 v141, 2, v236
	v_ashrrev_i32_e32 v108, 31, v107
	v_and_or_b32 v147, v236, 8, v1
	v_lshlrev_b32_e32 v146, 1, v143
	v_mbcnt_lo_u32_b32 v145, -1, 0
	v_xor_b32_e32 v144, 1, v143
	v_ashrrev_i32_e32 v106, 31, v105
	s_addc_u32 s7, s1, s3
	s_waitcnt lgkmcnt(0)
	s_barrier
	buffer_gl0_inv
	s_cbranch_vccnz .LBB25_474
; %bb.436:
	v_xor_b32_e32 v8, 16, v145
	v_dual_mov_b32 v151, 0xfeffffff :: v_dual_and_b32 v28, 60, v141
	v_mov_b32_e32 v96, 0
	v_mad_u32_u24 v1, 0x50, v163, 0
	s_delay_alu instid0(VALU_DEP_4) | instskip(NEXT) | instid1(VALU_DEP_4)
	v_cmp_gt_i32_e32 vcc_lo, 32, v8
	v_lshlrev_b32_e32 v9, 2, v28
	v_add_nc_u32_e32 v0, s9, v237
	v_mul_u32_u24_e32 v5, 0xc0, v163
	s_lshl_b32 s1, s34, 2
	v_cndmask_b32_e32 v19, v145, v8, vcc_lo
	s_lshl_b32 s2, s10, 2
	v_lshl_add_u32 v3, v0, 1, v143
	v_add3_u32 v153, v1, v5, v9
	v_add_nc_u32_e32 v0, s1, v107
	v_add_nc_u32_e32 v2, s2, v105
	;; [unrolled: 1-line block ×3, first 2 shown]
	v_mul_hi_u32 v4, s12, v3
	v_dual_mov_b32 v173, 0 :: v_dual_and_b32 v6, 16, v238
	v_ashrrev_i32_e32 v1, 31, v0
	v_lshrrev_b32_e32 v7, 3, v147
	v_lshlrev_b32_e32 v167, 2, v19
	s_delay_alu instid0(VALU_DEP_4)
	v_mad_u32_u24 v23, 0x110, v6, 0
	v_lshlrev_b32_e32 v11, 1, v6
	v_add_nc_u32_e32 v4, v3, v4
	v_lshlrev_b64 v[111:112], 2, v[0:1]
	v_mov_b32_e32 v1, v96
	v_lshl_add_u32 v29, v142, 2, v23
	v_mad_u32_u24 v7, 0x50, v7, 0
	v_lshrrev_b32_e32 v10, s13, v4
	v_add_nc_u32_e32 v4, s1, v0
	s_delay_alu instid0(VALU_DEP_4) | instskip(SKIP_1) | instid1(VALU_DEP_4)
	v_dual_mov_b32 v0, 0 :: v_dual_add_nc_u32 v169, 64, v29
	v_add_nc_u32_e32 v170, 0x80, v29
	v_mul_lo_u32 v9, v10, s8
	s_delay_alu instid0(VALU_DEP_4)
	v_add_nc_u32_e32 v8, s1, v4
	v_add_nc_u32_e32 v171, 0xc0, v29
	v_add3_u32 v166, v7, v11, v146
	v_add_nc_u32_e32 v165, v23, v148
	v_lshlrev_b64 v[109:110], 2, v[107:108]
	v_add_nc_u32_e32 v12, s1, v8
	v_lshlrev_b64 v[125:126], 2, v[105:106]
	v_sub_nc_u32_e32 v3, v3, v9
	v_add_nc_u32_e32 v154, 0x440, v153
	v_add_nc_u32_e32 v155, 0x880, v153
	;; [unrolled: 1-line block ×4, first 2 shown]
	v_mad_i64_i32 v[14:15], null, v3, s40, 0
	s_delay_alu instid0(VALU_DEP_3)
	v_dual_mov_b32 v31, v96 :: v_dual_add_nc_u32 v20, s1, v16
	v_add_nc_u32_e32 v157, 0x1100, v153
	v_add_nc_u32_e32 v158, 0x1540, v153
	;; [unrolled: 1-line block ×4, first 2 shown]
	v_lshlrev_b64 v[14:15], 1, v[14:15]
	v_ashrrev_i32_e32 v21, 31, v20
	v_add_nc_u32_e32 v24, s1, v20
	v_lshlrev_b32_e32 v172, 2, v28
	v_mov_b32_e32 v30, v96
	s_lshl_b32 s4, s104, 5
	v_add_co_u32 v3, vcc_lo, s17, v14
	v_add_co_ci_u32_e32 v14, vcc_lo, s18, v15, vcc_lo
	v_lshlrev_b64 v[121:122], 2, v[20:21]
	s_delay_alu instid0(VALU_DEP_3) | instskip(SKIP_1) | instid1(VALU_DEP_4)
	v_add_co_u32 v161, vcc_lo, v3, v28
	v_ashrrev_i32_e32 v3, 31, v2
	v_add_co_ci_u32_e32 v162, vcc_lo, 0, v14, vcc_lo
	v_mov_b32_e32 v21, v96
	v_ashrrev_i32_e32 v13, 31, v12
	s_delay_alu instid0(VALU_DEP_4) | instskip(SKIP_2) | instid1(VALU_DEP_4)
	v_lshlrev_b64 v[127:128], 2, v[2:3]
	v_dual_mov_b32 v3, v96 :: v_dual_add_nc_u32 v6, s2, v2
	v_ashrrev_i32_e32 v25, 31, v24
	v_lshlrev_b64 v[117:118], 2, v[12:13]
	v_mov_b32_e32 v13, v96
	s_delay_alu instid0(VALU_DEP_4)
	v_dual_mov_b32 v29, v96 :: v_dual_add_nc_u32 v10, s2, v6
	v_ashrrev_i32_e32 v9, 31, v8
	v_lshlrev_b64 v[123:124], 2, v[24:25]
	v_mov_b32_e32 v25, v96
	v_ashrrev_i32_e32 v17, 31, v16
	v_add_nc_u32_e32 v18, s2, v10
	v_lshlrev_b64 v[115:116], 2, v[8:9]
	v_mov_b32_e32 v9, v96
	v_ashrrev_i32_e32 v5, 31, v4
	v_lshlrev_b64 v[119:120], 2, v[16:17]
	v_add_nc_u32_e32 v22, s2, v18
	v_ashrrev_i32_e32 v19, 31, v18
	v_mov_b32_e32 v2, v96
	v_lshlrev_b64 v[113:114], 2, v[4:5]
	v_mov_b32_e32 v4, v96
	v_add_nc_u32_e32 v14, s2, v22
	v_ashrrev_i32_e32 v23, 31, v22
	v_lshlrev_b64 v[133:134], 2, v[18:19]
	v_dual_mov_b32 v5, v96 :: v_dual_mov_b32 v8, 0
	s_delay_alu instid0(VALU_DEP_4)
	v_ashrrev_i32_e32 v15, 31, v14
	v_add_nc_u32_e32 v26, s2, v14
	v_lshlrev_b64 v[135:136], 2, v[22:23]
	v_mad_i32_i24 v168, 0xfffffef4, v142, v165
	v_mov_b32_e32 v12, v96
	v_lshlrev_b64 v[137:138], 2, v[14:15]
	v_mov_b32_e32 v15, v96
	v_ashrrev_i32_e32 v11, 31, v10
	v_ashrrev_i32_e32 v27, 31, v26
	v_mov_b32_e32 v14, v96
	v_dual_mov_b32 v16, 0 :: v_dual_mov_b32 v17, v96
	s_delay_alu instid0(VALU_DEP_4)
	v_lshlrev_b64 v[131:132], 2, v[10:11]
	v_mov_b32_e32 v11, v96
	v_ashrrev_i32_e32 v7, 31, v6
	v_lshlrev_b64 v[139:140], 2, v[26:27]
	v_mov_b32_e32 v10, v96
	v_mov_b32_e32 v18, v96
	;; [unrolled: 1-line block ×3, first 2 shown]
	v_lshlrev_b64 v[129:130], 2, v[6:7]
	v_mov_b32_e32 v6, v96
	v_mov_b32_e32 v7, v96
	;; [unrolled: 1-line block ×4, first 2 shown]
	v_dual_mov_b32 v23, v96 :: v_dual_mov_b32 v24, 0
	v_mov_b32_e32 v26, v96
	v_mov_b32_e32 v27, v96
	;; [unrolled: 1-line block ×3, first 2 shown]
	s_mov_b32 s19, 0xbbbac73d
	s_ashr_i32 s5, s4, 31
	s_and_saveexec_b32 s1, s0
	s_cbranch_execz .LBB25_438
.LBB25_437:
	s_lshl_b64 s[2:3], s[4:5], 1
	s_delay_alu instid0(SALU_CYCLE_1)
	v_add_co_u32 v97, vcc_lo, v161, s2
	v_add_co_ci_u32_e32 v98, vcc_lo, s3, v162, vcc_lo
	global_load_b32 v97, v[97:98], off
	s_waitcnt vmcnt(0)
	ds_store_b32 v152, v97 offset:8704
.LBB25_438:                             ; =>This Inner Loop Header: Depth=1
	s_or_b32 exec_lo, exec_lo, s1
	s_mul_hi_i32 s3, s4, s34
	s_mul_i32 s2, s4, s34
	s_delay_alu instid0(SALU_CYCLE_1) | instskip(NEXT) | instid1(SALU_CYCLE_1)
	s_lshl_b64 s[2:3], s[2:3], 2
	s_add_u32 s1, s11, s2
	s_addc_u32 s2, s16, s3
	v_add_co_u32 v97, vcc_lo, s1, v109
	v_add_co_ci_u32_e32 v98, vcc_lo, s2, v110, vcc_lo
	v_add_co_u32 v99, vcc_lo, s1, v111
	v_add_co_ci_u32_e32 v100, vcc_lo, s2, v112, vcc_lo
	s_delay_alu instid0(VALU_DEP_4) | instskip(NEXT) | instid1(VALU_DEP_4)
	v_add_co_u32 v97, vcc_lo, v97, v172
	v_add_co_ci_u32_e32 v98, vcc_lo, 0, v98, vcc_lo
	s_delay_alu instid0(VALU_DEP_4) | instskip(NEXT) | instid1(VALU_DEP_4)
	v_add_co_u32 v102, vcc_lo, v99, v172
	v_add_co_ci_u32_e32 v103, vcc_lo, 0, v100, vcc_lo
	s_clause 0x1
	global_load_b128 v[98:101], v[97:98], off
	global_load_b128 v[174:177], v[102:103], off
	v_add_co_u32 v97, vcc_lo, s1, v113
	v_add_co_ci_u32_e32 v103, vcc_lo, s2, v114, vcc_lo
	v_add_co_u32 v104, vcc_lo, s1, v115
	v_add_co_ci_u32_e32 v149, vcc_lo, s2, v116, vcc_lo
	s_delay_alu instid0(VALU_DEP_4) | instskip(NEXT) | instid1(VALU_DEP_4)
	v_add_co_u32 v102, vcc_lo, v97, v172
	v_add_co_ci_u32_e32 v103, vcc_lo, 0, v103, vcc_lo
	s_delay_alu instid0(VALU_DEP_4) | instskip(NEXT) | instid1(VALU_DEP_4)
	v_add_co_u32 v182, vcc_lo, v104, v172
	v_add_co_ci_u32_e32 v183, vcc_lo, 0, v149, vcc_lo
	v_add_co_u32 v97, vcc_lo, s1, v117
	v_add_co_ci_u32_e32 v104, vcc_lo, s2, v118, vcc_lo
	v_add_co_u32 v149, vcc_lo, s1, v119
	v_add_co_ci_u32_e32 v164, vcc_lo, s2, v120, vcc_lo
	s_delay_alu instid0(VALU_DEP_4) | instskip(NEXT) | instid1(VALU_DEP_4)
	v_add_co_u32 v186, vcc_lo, v97, v172
	v_add_co_ci_u32_e32 v187, vcc_lo, 0, v104, vcc_lo
	s_delay_alu instid0(VALU_DEP_4) | instskip(NEXT) | instid1(VALU_DEP_4)
	v_add_co_u32 v190, vcc_lo, v149, v172
	v_add_co_ci_u32_e32 v191, vcc_lo, 0, v164, vcc_lo
	;; [unrolled: 10-line block ×3, first 2 shown]
	s_clause 0x5
	global_load_b128 v[178:181], v[102:103], off
	global_load_b128 v[182:185], v[182:183], off
	;; [unrolled: 1-line block ×6, first 2 shown]
	v_mov_b32_e32 v103, v96
	v_mov_b32_e32 v97, v96
	;; [unrolled: 1-line block ×3, first 2 shown]
	s_waitcnt vmcnt(7)
	ds_store_b128 v153, v[98:101]
	s_waitcnt vmcnt(6)
	ds_store_b128 v154, v[174:177]
	;; [unrolled: 2-line block ×8, first 2 shown]
	s_waitcnt lgkmcnt(0)
	s_barrier
	buffer_gl0_inv
	ds_load_b128 v[174:177], v165
	ds_load_b128 v[178:181], v165 offset:16
	ds_load_b128 v[182:185], v165 offset:32
	;; [unrolled: 1-line block ×5, first 2 shown]
	v_mov_b32_e32 v98, v96
	v_mov_b32_e32 v99, v96
	;; [unrolled: 1-line block ×6, first 2 shown]
	s_delay_alu instid0(VALU_DEP_3)
	v_mov_b32_e32 v102, v101
	v_mov_b32_e32 v101, v100
	;; [unrolled: 1-line block ×6, first 2 shown]
	ds_load_b128 v[198:201], v165 offset:96
	ds_load_b128 v[202:205], v165 offset:112
	s_waitcnt lgkmcnt(6)
	v_wmma_f32_16x16x16_f16 v[97:104], v[174:181], v[64:71], v[97:104]
	ds_load_b128 v[174:177], v165 offset:128
	ds_load_b128 v[178:181], v165 offset:144
	s_waitcnt lgkmcnt(6)
	v_wmma_f32_16x16x16_f16 v[97:104], v[182:189], v[32:39], v[97:104]
	;; [unrolled: 4-line block ×4, first 2 shown]
	ds_load_b128 v[198:201], v165 offset:224
	ds_load_b128 v[202:205], v165 offset:240
	s_waitcnt lgkmcnt(0)
	s_barrier
	buffer_gl0_inv
	v_wmma_f32_16x16x16_f16 v[97:104], v[174:181], v[40:47], v[97:104]
                                        ; implicit-def: $vgpr179
	s_delay_alu instid0(VALU_DEP_1) | instskip(NEXT) | instid1(VALU_DEP_1)
	v_wmma_f32_16x16x16_f16 v[97:104], v[182:189], v[80:87], v[97:104]
	v_wmma_f32_16x16x16_f16 v[97:104], v[190:197], v[88:95], v[97:104]
	s_delay_alu instid0(VALU_DEP_1) | instskip(NEXT) | instid1(VALU_DEP_1)
	v_wmma_f32_16x16x16_f16 v[97:104], v[198:205], v[72:79], v[97:104]
	v_cmp_ngt_f32_e64 s1, 0x3f200000, |v97|
	s_delay_alu instid0(VALU_DEP_1) | instskip(NEXT) | instid1(SALU_CYCLE_1)
	s_and_saveexec_b32 s2, s1
	s_xor_b32 s1, exec_lo, s2
	s_cbranch_execz .LBB25_440
; %bb.439:                              ;   in Loop: Header=BB25_438 Depth=1
	v_add_f32_e64 v149, |v97|, |v97|
	s_delay_alu instid0(VALU_DEP_1) | instskip(SKIP_1) | instid1(VALU_DEP_2)
	v_mul_f32_e32 v164, 0x3fb8aa3b, v149
	v_cmp_ngt_f32_e32 vcc_lo, 0xc2ce8ed0, v149
	v_rndne_f32_e32 v174, v164
	v_fma_f32 v175, 0x3fb8aa3b, v149, -v164
	s_delay_alu instid0(VALU_DEP_1) | instskip(SKIP_1) | instid1(VALU_DEP_2)
	v_dual_sub_f32 v164, v164, v174 :: v_dual_fmac_f32 v175, 0x32a5705f, v149
	v_cvt_i32_f32_e32 v174, v174
	v_add_f32_e32 v164, v164, v175
	s_delay_alu instid0(VALU_DEP_1) | instskip(SKIP_2) | instid1(VALU_DEP_1)
	v_exp_f32_e32 v164, v164
	s_waitcnt_depctr 0xfff
	v_ldexp_f32 v164, v164, v174
	v_cndmask_b32_e32 v164, 0, v164, vcc_lo
	v_cmp_nlt_f32_e32 vcc_lo, 0x42b17218, v149
	s_delay_alu instid0(VALU_DEP_2) | instskip(NEXT) | instid1(VALU_DEP_1)
	v_cndmask_b32_e32 v149, 0x7f800000, v164, vcc_lo
	v_add_f32_e32 v149, 1.0, v149
	s_delay_alu instid0(VALU_DEP_1)
	v_rcp_f32_e32 v149, v149
	s_waitcnt_depctr 0xfff
	v_fma_f32 v179, v149, -2.0, 1.0
.LBB25_440:                             ;   in Loop: Header=BB25_438 Depth=1
	s_and_not1_saveexec_b32 s1, s1
; %bb.441:                              ;   in Loop: Header=BB25_438 Depth=1
	v_mul_f32_e32 v149, v97, v97
	s_delay_alu instid0(VALU_DEP_1) | instskip(NEXT) | instid1(VALU_DEP_1)
	v_fmaak_f32 v164, s19, v149, 0x3ca908c9
	v_fmaak_f32 v164, v149, v164, 0xbd5c1c4e
	s_delay_alu instid0(VALU_DEP_1) | instskip(NEXT) | instid1(VALU_DEP_1)
	v_fmaak_f32 v164, v149, v164, 0x3e088382
	v_fmaak_f32 v164, v149, v164, 0xbeaaaa99
	s_delay_alu instid0(VALU_DEP_1) | instskip(NEXT) | instid1(VALU_DEP_1)
	v_mul_f32_e64 v164, |v97|, v164
	v_fma_f32 v179, v149, v164, |v97|
; %bb.442:                              ;   in Loop: Header=BB25_438 Depth=1
	s_or_b32 exec_lo, exec_lo, s1
	v_cmp_ngt_f32_e64 s1, 0x3f200000, |v98|
                                        ; implicit-def: $vgpr180
	s_delay_alu instid0(VALU_DEP_1) | instskip(NEXT) | instid1(SALU_CYCLE_1)
	s_and_saveexec_b32 s2, s1
	s_xor_b32 s1, exec_lo, s2
	s_cbranch_execz .LBB25_444
; %bb.443:                              ;   in Loop: Header=BB25_438 Depth=1
	v_add_f32_e64 v149, |v98|, |v98|
	s_delay_alu instid0(VALU_DEP_1) | instskip(SKIP_1) | instid1(VALU_DEP_2)
	v_mul_f32_e32 v164, 0x3fb8aa3b, v149
	v_cmp_ngt_f32_e32 vcc_lo, 0xc2ce8ed0, v149
	v_rndne_f32_e32 v174, v164
	v_fma_f32 v175, 0x3fb8aa3b, v149, -v164
	s_delay_alu instid0(VALU_DEP_1) | instskip(SKIP_1) | instid1(VALU_DEP_2)
	v_dual_sub_f32 v164, v164, v174 :: v_dual_fmac_f32 v175, 0x32a5705f, v149
	v_cvt_i32_f32_e32 v174, v174
	v_add_f32_e32 v164, v164, v175
	s_delay_alu instid0(VALU_DEP_1) | instskip(SKIP_2) | instid1(VALU_DEP_1)
	v_exp_f32_e32 v164, v164
	s_waitcnt_depctr 0xfff
	v_ldexp_f32 v164, v164, v174
	v_cndmask_b32_e32 v164, 0, v164, vcc_lo
	v_cmp_nlt_f32_e32 vcc_lo, 0x42b17218, v149
	s_delay_alu instid0(VALU_DEP_2) | instskip(NEXT) | instid1(VALU_DEP_1)
	v_cndmask_b32_e32 v149, 0x7f800000, v164, vcc_lo
	v_add_f32_e32 v149, 1.0, v149
	s_delay_alu instid0(VALU_DEP_1)
	v_rcp_f32_e32 v149, v149
	s_waitcnt_depctr 0xfff
	v_fma_f32 v180, v149, -2.0, 1.0
.LBB25_444:                             ;   in Loop: Header=BB25_438 Depth=1
	s_and_not1_saveexec_b32 s1, s1
; %bb.445:                              ;   in Loop: Header=BB25_438 Depth=1
	v_mul_f32_e32 v149, v98, v98
	s_delay_alu instid0(VALU_DEP_1) | instskip(NEXT) | instid1(VALU_DEP_1)
	v_fmaak_f32 v164, s19, v149, 0x3ca908c9
	v_fmaak_f32 v164, v149, v164, 0xbd5c1c4e
	s_delay_alu instid0(VALU_DEP_1) | instskip(NEXT) | instid1(VALU_DEP_1)
	v_fmaak_f32 v164, v149, v164, 0x3e088382
	v_fmaak_f32 v164, v149, v164, 0xbeaaaa99
	s_delay_alu instid0(VALU_DEP_1) | instskip(NEXT) | instid1(VALU_DEP_1)
	v_mul_f32_e64 v164, |v98|, v164
	v_fma_f32 v180, v149, v164, |v98|
; %bb.446:                              ;   in Loop: Header=BB25_438 Depth=1
	s_or_b32 exec_lo, exec_lo, s1
	v_cmp_ngt_f32_e64 s1, 0x3f200000, |v99|
                                        ; implicit-def: $vgpr181
	s_delay_alu instid0(VALU_DEP_1) | instskip(NEXT) | instid1(SALU_CYCLE_1)
	s_and_saveexec_b32 s2, s1
	s_xor_b32 s1, exec_lo, s2
	s_cbranch_execz .LBB25_448
; %bb.447:                              ;   in Loop: Header=BB25_438 Depth=1
	v_add_f32_e64 v149, |v99|, |v99|
	s_delay_alu instid0(VALU_DEP_1) | instskip(SKIP_1) | instid1(VALU_DEP_2)
	v_mul_f32_e32 v164, 0x3fb8aa3b, v149
	v_cmp_ngt_f32_e32 vcc_lo, 0xc2ce8ed0, v149
	v_rndne_f32_e32 v174, v164
	v_fma_f32 v175, 0x3fb8aa3b, v149, -v164
	s_delay_alu instid0(VALU_DEP_1) | instskip(SKIP_1) | instid1(VALU_DEP_2)
	v_dual_sub_f32 v164, v164, v174 :: v_dual_fmac_f32 v175, 0x32a5705f, v149
	v_cvt_i32_f32_e32 v174, v174
	v_add_f32_e32 v164, v164, v175
	s_delay_alu instid0(VALU_DEP_1) | instskip(SKIP_2) | instid1(VALU_DEP_1)
	v_exp_f32_e32 v164, v164
	s_waitcnt_depctr 0xfff
	v_ldexp_f32 v164, v164, v174
	v_cndmask_b32_e32 v164, 0, v164, vcc_lo
	v_cmp_nlt_f32_e32 vcc_lo, 0x42b17218, v149
	s_delay_alu instid0(VALU_DEP_2) | instskip(NEXT) | instid1(VALU_DEP_1)
	v_cndmask_b32_e32 v149, 0x7f800000, v164, vcc_lo
	v_add_f32_e32 v149, 1.0, v149
	s_delay_alu instid0(VALU_DEP_1)
	v_rcp_f32_e32 v149, v149
	s_waitcnt_depctr 0xfff
	v_fma_f32 v181, v149, -2.0, 1.0
.LBB25_448:                             ;   in Loop: Header=BB25_438 Depth=1
	s_and_not1_saveexec_b32 s1, s1
; %bb.449:                              ;   in Loop: Header=BB25_438 Depth=1
	v_mul_f32_e32 v149, v99, v99
	s_delay_alu instid0(VALU_DEP_1) | instskip(NEXT) | instid1(VALU_DEP_1)
	v_fmaak_f32 v164, s19, v149, 0x3ca908c9
	v_fmaak_f32 v164, v149, v164, 0xbd5c1c4e
	s_delay_alu instid0(VALU_DEP_1) | instskip(NEXT) | instid1(VALU_DEP_1)
	v_fmaak_f32 v164, v149, v164, 0x3e088382
	v_fmaak_f32 v164, v149, v164, 0xbeaaaa99
	s_delay_alu instid0(VALU_DEP_1) | instskip(NEXT) | instid1(VALU_DEP_1)
	v_mul_f32_e64 v164, |v99|, v164
	v_fma_f32 v181, v149, v164, |v99|
; %bb.450:                              ;   in Loop: Header=BB25_438 Depth=1
	s_or_b32 exec_lo, exec_lo, s1
	v_cmp_ngt_f32_e64 s1, 0x3f200000, |v100|
                                        ; implicit-def: $vgpr175
	s_delay_alu instid0(VALU_DEP_1) | instskip(NEXT) | instid1(SALU_CYCLE_1)
	s_and_saveexec_b32 s2, s1
	s_xor_b32 s1, exec_lo, s2
	s_cbranch_execz .LBB25_452
; %bb.451:                              ;   in Loop: Header=BB25_438 Depth=1
	v_add_f32_e64 v149, |v100|, |v100|
	s_delay_alu instid0(VALU_DEP_1) | instskip(SKIP_1) | instid1(VALU_DEP_2)
	v_mul_f32_e32 v164, 0x3fb8aa3b, v149
	v_cmp_ngt_f32_e32 vcc_lo, 0xc2ce8ed0, v149
	v_rndne_f32_e32 v174, v164
	v_fma_f32 v175, 0x3fb8aa3b, v149, -v164
	s_delay_alu instid0(VALU_DEP_1) | instskip(SKIP_1) | instid1(VALU_DEP_2)
	v_dual_sub_f32 v164, v164, v174 :: v_dual_fmac_f32 v175, 0x32a5705f, v149
	v_cvt_i32_f32_e32 v174, v174
	v_add_f32_e32 v164, v164, v175
	s_delay_alu instid0(VALU_DEP_1) | instskip(SKIP_2) | instid1(VALU_DEP_1)
	v_exp_f32_e32 v164, v164
	s_waitcnt_depctr 0xfff
	v_ldexp_f32 v164, v164, v174
	v_cndmask_b32_e32 v164, 0, v164, vcc_lo
	v_cmp_nlt_f32_e32 vcc_lo, 0x42b17218, v149
	s_delay_alu instid0(VALU_DEP_2) | instskip(NEXT) | instid1(VALU_DEP_1)
	v_cndmask_b32_e32 v149, 0x7f800000, v164, vcc_lo
	v_add_f32_e32 v149, 1.0, v149
	s_delay_alu instid0(VALU_DEP_1)
	v_rcp_f32_e32 v149, v149
	s_waitcnt_depctr 0xfff
	v_fma_f32 v175, v149, -2.0, 1.0
.LBB25_452:                             ;   in Loop: Header=BB25_438 Depth=1
	s_and_not1_saveexec_b32 s1, s1
; %bb.453:                              ;   in Loop: Header=BB25_438 Depth=1
	v_mul_f32_e32 v149, v100, v100
	s_delay_alu instid0(VALU_DEP_1) | instskip(NEXT) | instid1(VALU_DEP_1)
	v_fmaak_f32 v164, s19, v149, 0x3ca908c9
	v_fmaak_f32 v164, v149, v164, 0xbd5c1c4e
	s_delay_alu instid0(VALU_DEP_1) | instskip(NEXT) | instid1(VALU_DEP_1)
	v_fmaak_f32 v164, v149, v164, 0x3e088382
	v_fmaak_f32 v164, v149, v164, 0xbeaaaa99
	s_delay_alu instid0(VALU_DEP_1) | instskip(NEXT) | instid1(VALU_DEP_1)
	v_mul_f32_e64 v164, |v100|, v164
	v_fma_f32 v175, v149, v164, |v100|
; %bb.454:                              ;   in Loop: Header=BB25_438 Depth=1
	s_or_b32 exec_lo, exec_lo, s1
	v_cmp_ngt_f32_e64 s1, 0x3f200000, |v101|
                                        ; implicit-def: $vgpr174
	s_delay_alu instid0(VALU_DEP_1) | instskip(NEXT) | instid1(SALU_CYCLE_1)
	s_and_saveexec_b32 s2, s1
	s_xor_b32 s1, exec_lo, s2
	s_cbranch_execz .LBB25_456
; %bb.455:                              ;   in Loop: Header=BB25_438 Depth=1
	v_add_f32_e64 v149, |v101|, |v101|
	s_delay_alu instid0(VALU_DEP_1) | instskip(SKIP_1) | instid1(VALU_DEP_2)
	v_mul_f32_e32 v164, 0x3fb8aa3b, v149
	v_cmp_ngt_f32_e32 vcc_lo, 0xc2ce8ed0, v149
	v_rndne_f32_e32 v174, v164
	v_fma_f32 v176, 0x3fb8aa3b, v149, -v164
	s_delay_alu instid0(VALU_DEP_2) | instskip(NEXT) | instid1(VALU_DEP_2)
	v_sub_f32_e32 v164, v164, v174
	v_fmac_f32_e32 v176, 0x32a5705f, v149
	v_cvt_i32_f32_e32 v174, v174
	s_delay_alu instid0(VALU_DEP_2) | instskip(NEXT) | instid1(VALU_DEP_1)
	v_add_f32_e32 v164, v164, v176
	v_exp_f32_e32 v164, v164
	s_waitcnt_depctr 0xfff
	v_ldexp_f32 v164, v164, v174
	s_delay_alu instid0(VALU_DEP_1) | instskip(SKIP_1) | instid1(VALU_DEP_2)
	v_cndmask_b32_e32 v164, 0, v164, vcc_lo
	v_cmp_nlt_f32_e32 vcc_lo, 0x42b17218, v149
	v_cndmask_b32_e32 v149, 0x7f800000, v164, vcc_lo
	s_delay_alu instid0(VALU_DEP_1) | instskip(NEXT) | instid1(VALU_DEP_1)
	v_add_f32_e32 v149, 1.0, v149
	v_rcp_f32_e32 v149, v149
	s_waitcnt_depctr 0xfff
	v_fma_f32 v174, v149, -2.0, 1.0
.LBB25_456:                             ;   in Loop: Header=BB25_438 Depth=1
	s_and_not1_saveexec_b32 s1, s1
; %bb.457:                              ;   in Loop: Header=BB25_438 Depth=1
	v_mul_f32_e32 v149, v101, v101
	s_delay_alu instid0(VALU_DEP_1) | instskip(NEXT) | instid1(VALU_DEP_1)
	v_fmaak_f32 v164, s19, v149, 0x3ca908c9
	v_fmaak_f32 v164, v149, v164, 0xbd5c1c4e
	s_delay_alu instid0(VALU_DEP_1) | instskip(NEXT) | instid1(VALU_DEP_1)
	v_fmaak_f32 v164, v149, v164, 0x3e088382
	v_fmaak_f32 v164, v149, v164, 0xbeaaaa99
	s_delay_alu instid0(VALU_DEP_1) | instskip(NEXT) | instid1(VALU_DEP_1)
	v_mul_f32_e64 v164, |v101|, v164
	v_fma_f32 v174, v149, v164, |v101|
; %bb.458:                              ;   in Loop: Header=BB25_438 Depth=1
	s_or_b32 exec_lo, exec_lo, s1
	v_cmp_ngt_f32_e64 s1, 0x3f200000, |v102|
                                        ; implicit-def: $vgpr176
	s_delay_alu instid0(VALU_DEP_1) | instskip(NEXT) | instid1(SALU_CYCLE_1)
	s_and_saveexec_b32 s2, s1
	s_xor_b32 s1, exec_lo, s2
	s_cbranch_execz .LBB25_460
; %bb.459:                              ;   in Loop: Header=BB25_438 Depth=1
	v_add_f32_e64 v149, |v102|, |v102|
	s_delay_alu instid0(VALU_DEP_1) | instskip(SKIP_1) | instid1(VALU_DEP_2)
	v_mul_f32_e32 v164, 0x3fb8aa3b, v149
	v_cmp_ngt_f32_e32 vcc_lo, 0xc2ce8ed0, v149
	v_rndne_f32_e32 v176, v164
	v_fma_f32 v177, 0x3fb8aa3b, v149, -v164
	s_delay_alu instid0(VALU_DEP_1) | instskip(SKIP_1) | instid1(VALU_DEP_2)
	v_dual_sub_f32 v164, v164, v176 :: v_dual_fmac_f32 v177, 0x32a5705f, v149
	v_cvt_i32_f32_e32 v176, v176
	v_add_f32_e32 v164, v164, v177
	s_delay_alu instid0(VALU_DEP_1) | instskip(SKIP_2) | instid1(VALU_DEP_1)
	v_exp_f32_e32 v164, v164
	s_waitcnt_depctr 0xfff
	v_ldexp_f32 v164, v164, v176
	v_cndmask_b32_e32 v164, 0, v164, vcc_lo
	v_cmp_nlt_f32_e32 vcc_lo, 0x42b17218, v149
	s_delay_alu instid0(VALU_DEP_2) | instskip(NEXT) | instid1(VALU_DEP_1)
	v_cndmask_b32_e32 v149, 0x7f800000, v164, vcc_lo
	v_add_f32_e32 v149, 1.0, v149
	s_delay_alu instid0(VALU_DEP_1)
	v_rcp_f32_e32 v149, v149
	s_waitcnt_depctr 0xfff
	v_fma_f32 v176, v149, -2.0, 1.0
.LBB25_460:                             ;   in Loop: Header=BB25_438 Depth=1
	s_and_not1_saveexec_b32 s1, s1
; %bb.461:                              ;   in Loop: Header=BB25_438 Depth=1
	v_mul_f32_e32 v149, v102, v102
	s_delay_alu instid0(VALU_DEP_1) | instskip(NEXT) | instid1(VALU_DEP_1)
	v_fmaak_f32 v164, s19, v149, 0x3ca908c9
	v_fmaak_f32 v164, v149, v164, 0xbd5c1c4e
	s_delay_alu instid0(VALU_DEP_1) | instskip(NEXT) | instid1(VALU_DEP_1)
	v_fmaak_f32 v164, v149, v164, 0x3e088382
	v_fmaak_f32 v164, v149, v164, 0xbeaaaa99
	s_delay_alu instid0(VALU_DEP_1) | instskip(NEXT) | instid1(VALU_DEP_1)
	v_mul_f32_e64 v164, |v102|, v164
	v_fma_f32 v176, v149, v164, |v102|
; %bb.462:                              ;   in Loop: Header=BB25_438 Depth=1
	s_or_b32 exec_lo, exec_lo, s1
	v_cmp_ngt_f32_e64 s1, 0x3f200000, |v103|
                                        ; implicit-def: $vgpr177
	s_delay_alu instid0(VALU_DEP_1) | instskip(NEXT) | instid1(SALU_CYCLE_1)
	s_and_saveexec_b32 s2, s1
	s_xor_b32 s1, exec_lo, s2
	s_cbranch_execz .LBB25_464
; %bb.463:                              ;   in Loop: Header=BB25_438 Depth=1
	v_add_f32_e64 v149, |v103|, |v103|
	s_delay_alu instid0(VALU_DEP_1) | instskip(SKIP_1) | instid1(VALU_DEP_2)
	v_mul_f32_e32 v164, 0x3fb8aa3b, v149
	v_cmp_ngt_f32_e32 vcc_lo, 0xc2ce8ed0, v149
	v_rndne_f32_e32 v177, v164
	v_fma_f32 v178, 0x3fb8aa3b, v149, -v164
	s_delay_alu instid0(VALU_DEP_2) | instskip(NEXT) | instid1(VALU_DEP_2)
	v_sub_f32_e32 v164, v164, v177
	v_fmac_f32_e32 v178, 0x32a5705f, v149
	v_cvt_i32_f32_e32 v177, v177
	s_delay_alu instid0(VALU_DEP_2) | instskip(NEXT) | instid1(VALU_DEP_1)
	v_add_f32_e32 v164, v164, v178
	v_exp_f32_e32 v164, v164
	s_waitcnt_depctr 0xfff
	v_ldexp_f32 v164, v164, v177
	s_delay_alu instid0(VALU_DEP_1) | instskip(SKIP_1) | instid1(VALU_DEP_2)
	v_cndmask_b32_e32 v164, 0, v164, vcc_lo
	v_cmp_nlt_f32_e32 vcc_lo, 0x42b17218, v149
	v_cndmask_b32_e32 v149, 0x7f800000, v164, vcc_lo
	s_delay_alu instid0(VALU_DEP_1) | instskip(NEXT) | instid1(VALU_DEP_1)
	v_add_f32_e32 v149, 1.0, v149
	v_rcp_f32_e32 v149, v149
	s_waitcnt_depctr 0xfff
	v_fma_f32 v177, v149, -2.0, 1.0
.LBB25_464:                             ;   in Loop: Header=BB25_438 Depth=1
	s_and_not1_saveexec_b32 s1, s1
; %bb.465:                              ;   in Loop: Header=BB25_438 Depth=1
	v_mul_f32_e32 v149, v103, v103
	s_delay_alu instid0(VALU_DEP_1) | instskip(NEXT) | instid1(VALU_DEP_1)
	v_fmaak_f32 v164, s19, v149, 0x3ca908c9
	v_fmaak_f32 v164, v149, v164, 0xbd5c1c4e
	s_delay_alu instid0(VALU_DEP_1) | instskip(NEXT) | instid1(VALU_DEP_1)
	v_fmaak_f32 v164, v149, v164, 0x3e088382
	v_fmaak_f32 v164, v149, v164, 0xbeaaaa99
	s_delay_alu instid0(VALU_DEP_1) | instskip(NEXT) | instid1(VALU_DEP_1)
	v_mul_f32_e64 v164, |v103|, v164
	v_fma_f32 v177, v149, v164, |v103|
; %bb.466:                              ;   in Loop: Header=BB25_438 Depth=1
	s_or_b32 exec_lo, exec_lo, s1
	v_cmp_ngt_f32_e64 s1, 0x3f200000, |v104|
                                        ; implicit-def: $vgpr178
	s_delay_alu instid0(VALU_DEP_1) | instskip(NEXT) | instid1(SALU_CYCLE_1)
	s_and_saveexec_b32 s2, s1
	s_xor_b32 s1, exec_lo, s2
	s_cbranch_execz .LBB25_468
; %bb.467:                              ;   in Loop: Header=BB25_438 Depth=1
	v_add_f32_e64 v149, |v104|, |v104|
	s_delay_alu instid0(VALU_DEP_1) | instskip(SKIP_1) | instid1(VALU_DEP_2)
	v_mul_f32_e32 v164, 0x3fb8aa3b, v149
	v_cmp_ngt_f32_e32 vcc_lo, 0xc2ce8ed0, v149
	v_rndne_f32_e32 v178, v164
	v_fma_f32 v182, 0x3fb8aa3b, v149, -v164
	s_delay_alu instid0(VALU_DEP_2) | instskip(NEXT) | instid1(VALU_DEP_2)
	v_sub_f32_e32 v164, v164, v178
	v_fmac_f32_e32 v182, 0x32a5705f, v149
	v_cvt_i32_f32_e32 v178, v178
	s_delay_alu instid0(VALU_DEP_2) | instskip(NEXT) | instid1(VALU_DEP_1)
	v_add_f32_e32 v164, v164, v182
	v_exp_f32_e32 v164, v164
	s_waitcnt_depctr 0xfff
	v_ldexp_f32 v164, v164, v178
	s_delay_alu instid0(VALU_DEP_1) | instskip(SKIP_1) | instid1(VALU_DEP_2)
	v_cndmask_b32_e32 v164, 0, v164, vcc_lo
	v_cmp_nlt_f32_e32 vcc_lo, 0x42b17218, v149
	v_cndmask_b32_e32 v149, 0x7f800000, v164, vcc_lo
	s_delay_alu instid0(VALU_DEP_1) | instskip(NEXT) | instid1(VALU_DEP_1)
	v_add_f32_e32 v149, 1.0, v149
	v_rcp_f32_e32 v149, v149
	s_waitcnt_depctr 0xfff
	v_fma_f32 v178, v149, -2.0, 1.0
.LBB25_468:                             ;   in Loop: Header=BB25_438 Depth=1
	s_and_not1_saveexec_b32 s1, s1
; %bb.469:                              ;   in Loop: Header=BB25_438 Depth=1
	v_mul_f32_e32 v149, v104, v104
	s_delay_alu instid0(VALU_DEP_1) | instskip(NEXT) | instid1(VALU_DEP_1)
	v_fmaak_f32 v164, s19, v149, 0x3ca908c9
	v_fmaak_f32 v164, v149, v164, 0xbd5c1c4e
	s_delay_alu instid0(VALU_DEP_1) | instskip(NEXT) | instid1(VALU_DEP_1)
	v_fmaak_f32 v164, v149, v164, 0x3e088382
	v_fmaak_f32 v164, v149, v164, 0xbeaaaa99
	s_delay_alu instid0(VALU_DEP_1) | instskip(NEXT) | instid1(VALU_DEP_1)
	v_mul_f32_e64 v164, |v104|, v164
	v_fma_f32 v178, v149, v164, |v104|
; %bb.470:                              ;   in Loop: Header=BB25_438 Depth=1
	s_or_b32 exec_lo, exec_lo, s1
	v_bfi_b32 v207, 0x7fffffff, v181, v99
	v_bfi_b32 v175, 0x7fffffff, v175, v100
	ds_load_u16 v99, v166 offset:8704
	ds_load_u16 v100, v166 offset:8708
	;; [unrolled: 1-line block ×8, first 2 shown]
	v_bfi_b32 v149, 0x7fffffff, v179, v97
	v_bfi_b32 v164, 0x7fffffff, v180, v98
	v_bfi_b32 v101, 0x7fffffff, v174, v101
	v_bfi_b32 v102, 0x7fffffff, v176, v102
	v_bfi_b32 v103, 0x7fffffff, v177, v103
	v_bfi_b32 v104, 0x7fffffff, v178, v104
	s_mul_hi_i32 s3, s4, s10
	s_mul_i32 s2, s4, s10
	v_add_nc_u32_e32 v228, 0x800, v168
	s_lshl_b64 s[2:3], s[2:3], 2
	v_add_nc_u32_e32 v229, 0xc00, v168
	s_add_u32 s1, s6, s2
	s_addc_u32 s2, s7, s3
	v_add_co_u32 v97, vcc_lo, s1, v125
	s_waitcnt lgkmcnt(5)
	v_fma_mix_f32 v207, v207, s33, v208 op_sel_hi:[0,0,1]
	s_waitcnt lgkmcnt(4)
	v_fma_mix_f32 v175, v175, s33, v209 op_sel_hi:[0,0,1]
	v_fma_mix_f32 v149, v149, s33, v99 op_sel_hi:[0,0,1]
	;; [unrolled: 1-line block ×3, first 2 shown]
	s_waitcnt lgkmcnt(3)
	v_fma_mix_f32 v101, v101, s33, v210 op_sel_hi:[0,0,1]
	s_waitcnt lgkmcnt(2)
	v_fma_mix_f32 v102, v102, s33, v211 op_sel_hi:[0,0,1]
	v_add_f32_e32 v176, 0x40051340, v207
	v_dual_add_f32 v214, 0x40051340, v149 :: v_dual_add_f32 v215, 0x40051340, v164
	s_delay_alu instid0(VALU_DEP_3)
	v_dual_add_f32 v208, 0x40051340, v175 :: v_dual_add_f32 v177, 0x40051340, v102
	s_waitcnt lgkmcnt(1)
	v_fma_mix_f32 v103, v103, s33, v212 op_sel_hi:[0,0,1]
	s_waitcnt lgkmcnt(0)
	v_fma_mix_f32 v178, v104, s33, v213 op_sel_hi:[0,0,1]
	v_max3_f32 v174, v151, v214, v215
	v_add_co_ci_u32_e32 v98, vcc_lo, s2, v126, vcc_lo
	v_add_co_u32 v179, vcc_lo, s1, v127
	s_delay_alu instid0(VALU_DEP_3) | instskip(SKIP_3) | instid1(VALU_DEP_3)
	v_max3_f32 v174, v174, v176, v208
	v_add_f32_e32 v176, 0x40051340, v101
	v_add_co_ci_u32_e32 v180, vcc_lo, s2, v128, vcc_lo
	v_add_co_u32 v97, vcc_lo, v97, v172
	v_max3_f32 v104, v174, v176, v177
	v_add_f32_e32 v174, 0x40051340, v103
	v_add_f32_e32 v176, 0x40051340, v178
	v_add_co_ci_u32_e32 v98, vcc_lo, 0, v98, vcc_lo
	v_add_co_u32 v179, vcc_lo, v179, v172
	s_delay_alu instid0(VALU_DEP_3)
	v_max3_f32 v104, v104, v174, v176
	v_add_co_ci_u32_e32 v180, vcc_lo, 0, v180, vcc_lo
	v_add_co_u32 v183, vcc_lo, s1, v129
	ds_bpermute_b32 v174, v167, v104
	v_add_co_ci_u32_e32 v184, vcc_lo, s2, v130, vcc_lo
	v_add_co_u32 v185, vcc_lo, s1, v131
	v_add_co_ci_u32_e32 v186, vcc_lo, s2, v132, vcc_lo
	v_add_co_u32 v183, vcc_lo, v183, v172
	s_delay_alu instid0(VALU_DEP_4) | instskip(NEXT) | instid1(VALU_DEP_4)
	v_add_co_ci_u32_e32 v184, vcc_lo, 0, v184, vcc_lo
	v_add_co_u32 v187, vcc_lo, v185, v172
	s_delay_alu instid0(VALU_DEP_4) | instskip(SKIP_4) | instid1(VALU_DEP_4)
	v_add_co_ci_u32_e32 v188, vcc_lo, 0, v186, vcc_lo
	v_add_co_u32 v185, vcc_lo, s1, v133
	v_add_co_ci_u32_e32 v186, vcc_lo, s2, v134, vcc_lo
	v_add_co_u32 v189, vcc_lo, s1, v135
	;; [unrolled: 2-line block ×3, first 2 shown]
	s_delay_alu instid0(VALU_DEP_4) | instskip(NEXT) | instid1(VALU_DEP_4)
	v_add_co_ci_u32_e32 v192, vcc_lo, 0, v186, vcc_lo
	v_add_co_u32 v195, vcc_lo, v189, v172
	s_waitcnt lgkmcnt(0)
	v_max_f32_e32 v174, v174, v174
	v_add_co_ci_u32_e32 v196, vcc_lo, 0, v190, vcc_lo
	v_add_co_u32 v185, vcc_lo, s1, v137
	v_add_co_ci_u32_e32 v186, vcc_lo, s2, v138, vcc_lo
	s_delay_alu instid0(VALU_DEP_4) | instskip(SKIP_3) | instid1(VALU_DEP_4)
	v_max_f32_e32 v104, v104, v174
	v_add_co_u32 v189, vcc_lo, s1, v139
	v_add_co_ci_u32_e32 v190, vcc_lo, s2, v140, vcc_lo
	v_add_co_u32 v199, vcc_lo, v185, v172
	v_sub_f32_e32 v175, v175, v104
	v_add_co_ci_u32_e32 v200, vcc_lo, 0, v186, vcc_lo
	v_add_co_u32 v203, vcc_lo, v189, v172
	s_delay_alu instid0(VALU_DEP_3)
	v_mul_f32_e32 v211, 0x3fb8aa3b, v175
	v_add_co_ci_u32_e32 v204, vcc_lo, 0, v190, vcc_lo
	s_clause 0x7
	global_load_b128 v[97:100], v[97:98], off
	global_load_b128 v[179:182], v[179:180], off
	;; [unrolled: 1-line block ×8, first 2 shown]
	v_sub_f32_e32 v149, v149, v104
	v_sub_f32_e32 v101, v101, v104
	;; [unrolled: 1-line block ×4, first 2 shown]
	s_delay_alu instid0(VALU_DEP_4) | instskip(SKIP_1) | instid1(VALU_DEP_4)
	v_dual_sub_f32 v103, v103, v104 :: v_dual_mul_f32 v174, 0x3fb8aa3b, v149
	v_cmp_ngt_f32_e32 vcc_lo, 0xc2ce8ed0, v149
	v_dual_mul_f32 v210, 0x3fb8aa3b, v207 :: v_dual_sub_f32 v151, v151, v104
	v_cmp_eq_u32_e64 s1, 0, v144
	s_delay_alu instid0(VALU_DEP_4)
	v_fma_f32 v176, 0x3fb8aa3b, v149, -v174
	v_rndne_f32_e32 v177, v174
	v_cmp_eq_u32_e64 s2, 1, v143
	v_cmp_eq_u32_e64 s3, 0, v143
	s_add_i32 s104, s104, 1
	v_fmac_f32_e32 v176, 0x32a5705f, v149
	v_sub_f32_e32 v174, v174, v177
	v_cvt_i32_f32_e32 v177, v177
	s_add_i32 s4, s4, 32
	s_waitcnt vmcnt(7)
	ds_store_b128 v153, v[97:100]
	s_waitcnt vmcnt(6)
	ds_store_b128 v154, v[179:182]
	;; [unrolled: 2-line block ×8, first 2 shown]
	v_add_f32_e32 v174, v174, v176
	v_add_nc_u32_e32 v206, 0x400, v168
	s_waitcnt lgkmcnt(0)
	s_barrier
	buffer_gl0_inv
	v_exp_f32_e32 v174, v174
	ds_load_2addr_b32 v[97:98], v168 offset1:16
	v_ldexp_f32 v174, v174, v177
	v_fma_f32 v177, 0x3fb8aa3b, v207, -v210
	s_delay_alu instid0(VALU_DEP_2) | instskip(SKIP_1) | instid1(VALU_DEP_3)
	v_cndmask_b32_e32 v174, 0, v174, vcc_lo
	v_cmp_nlt_f32_e32 vcc_lo, 0x42b17218, v149
	v_dual_sub_f32 v164, v164, v104 :: v_dual_fmac_f32 v177, 0x32a5705f, v207
	s_delay_alu instid0(VALU_DEP_3) | instskip(NEXT) | instid1(VALU_DEP_2)
	v_cndmask_b32_e32 v149, 0x7f800000, v174, vcc_lo
	v_mul_f32_e32 v176, 0x3fb8aa3b, v164
	v_cmp_ngt_f32_e32 vcc_lo, 0xc2ce8ed0, v164
	s_delay_alu instid0(VALU_DEP_2) | instskip(SKIP_1) | instid1(VALU_DEP_2)
	v_fma_f32 v208, 0x3fb8aa3b, v164, -v176
	v_rndne_f32_e32 v209, v176
	v_fmac_f32_e32 v208, 0x32a5705f, v164
	s_delay_alu instid0(VALU_DEP_2) | instskip(SKIP_2) | instid1(VALU_DEP_3)
	v_sub_f32_e32 v176, v176, v209
	v_cvt_i32_f32_e32 v174, v209
	v_fma_f32 v209, 0x3fb8aa3b, v175, -v211
	v_add_f32_e32 v176, v176, v208
	v_rndne_f32_e32 v208, v210
	s_delay_alu instid0(VALU_DEP_3) | instskip(NEXT) | instid1(VALU_DEP_3)
	v_fmac_f32_e32 v209, 0x32a5705f, v175
	v_exp_f32_e32 v176, v176
	s_delay_alu instid0(VALU_DEP_2) | instskip(SKIP_1) | instid1(VALU_DEP_2)
	v_sub_f32_e32 v210, v210, v208
	v_cvt_i32_f32_e32 v208, v208
	v_add_f32_e32 v177, v210, v177
	v_rndne_f32_e32 v210, v211
	s_waitcnt_depctr 0xfff
	v_ldexp_f32 v174, v176, v174
	v_exp_f32_e32 v176, v177
	v_sub_f32_e32 v177, v211, v210
	v_mul_f32_e32 v211, 0x3fb8aa3b, v101
	v_cvt_i32_f32_e32 v210, v210
	v_cndmask_b32_e32 v174, 0, v174, vcc_lo
	v_cmp_nlt_f32_e32 vcc_lo, 0x42b17218, v164
	v_add_f32_e32 v177, v177, v209
	v_fma_f32 v209, 0x3fb8aa3b, v101, -v211
	v_rndne_f32_e32 v212, v211
	v_cndmask_b32_e32 v164, 0x7f800000, v174, vcc_lo
	v_ldexp_f32 v174, v176, v208
	v_exp_f32_e32 v176, v177
	v_fmac_f32_e32 v209, 0x32a5705f, v101
	v_sub_f32_e32 v177, v211, v212
	v_cmp_ngt_f32_e32 vcc_lo, 0xc2ce8ed0, v207
	s_delay_alu instid0(VALU_DEP_2)
	v_dual_add_f32 v177, v177, v209 :: v_dual_cndmask_b32 v174, 0, v174
	v_cmp_nlt_f32_e32 vcc_lo, 0x42b17218, v207
	s_waitcnt_depctr 0xfff
	v_ldexp_f32 v176, v176, v210
	v_cvt_i32_f32_e32 v209, v212
	v_exp_f32_e32 v177, v177
	v_mul_f32_e32 v207, 0x3fb8aa3b, v102
	v_cndmask_b32_e32 v174, 0x7f800000, v174, vcc_lo
	v_cmp_ngt_f32_e32 vcc_lo, 0xc2ce8ed0, v175
	v_mul_f32_e32 v212, 0x3fb8aa3b, v151
	s_delay_alu instid0(VALU_DEP_4)
	v_fma_f32 v210, 0x3fb8aa3b, v102, -v207
	v_rndne_f32_e32 v211, v207
	v_cndmask_b32_e32 v176, 0, v176, vcc_lo
	v_cmp_nlt_f32_e32 vcc_lo, 0x42b17218, v175
	v_fma_f32 v214, 0x3fb8aa3b, v151, -v212
	v_rndne_f32_e32 v215, v212
	s_delay_alu instid0(VALU_DEP_4)
	v_cndmask_b32_e32 v175, 0x7f800000, v176, vcc_lo
	v_ldexp_f32 v176, v177, v209
	v_cmp_ngt_f32_e32 vcc_lo, 0xc2ce8ed0, v101
	v_sub_f32_e32 v177, v207, v211
	v_cvt_i32_f32_e32 v211, v211
	v_fmac_f32_e32 v214, 0x32a5705f, v151
	v_cndmask_b32_e32 v176, 0, v176, vcc_lo
	v_cmp_nlt_f32_e32 vcc_lo, 0x42b17218, v101
	s_delay_alu instid0(VALU_DEP_2) | instskip(SKIP_2) | instid1(VALU_DEP_1)
	v_cndmask_b32_e32 v101, 0x7f800000, v176, vcc_lo
	v_sub_f32_e32 v176, v178, v104
	v_fmac_f32_e32 v210, 0x32a5705f, v102
	v_add_f32_e32 v177, v177, v210
	v_cmp_ngt_f32_e32 vcc_lo, 0xc2ce8ed0, v102
	s_delay_alu instid0(VALU_DEP_2) | instskip(SKIP_2) | instid1(VALU_DEP_1)
	v_exp_f32_e32 v177, v177
	s_waitcnt_depctr 0xfff
	v_ldexp_f32 v177, v177, v211
	v_dual_add_f32 v208, v149, v164 :: v_dual_cndmask_b32 v177, 0, v177
	s_delay_alu instid0(VALU_DEP_1) | instskip(SKIP_1) | instid1(VALU_DEP_2)
	v_add_f32_e32 v208, v174, v208
	v_cmp_nlt_f32_e32 vcc_lo, 0x42b17218, v102
	v_dual_add_f32 v207, v175, v208 :: v_dual_mul_f32 v208, 0x3fb8aa3b, v103
	s_delay_alu instid0(VALU_DEP_4) | instskip(SKIP_2) | instid1(VALU_DEP_4)
	v_cndmask_b32_e32 v102, 0x7f800000, v177, vcc_lo
	v_cmp_ngt_f32_e32 vcc_lo, 0xc2ce8ed0, v103
	v_cvt_i32_f32_e32 v177, v215
	v_fma_f32 v178, 0x3fb8aa3b, v103, -v208
	v_rndne_f32_e32 v209, v208
	s_delay_alu instid0(VALU_DEP_2) | instskip(NEXT) | instid1(VALU_DEP_2)
	v_fmac_f32_e32 v178, 0x32a5705f, v103
	v_sub_f32_e32 v208, v208, v209
	v_cvt_i32_f32_e32 v209, v209
	s_delay_alu instid0(VALU_DEP_2) | instskip(SKIP_1) | instid1(VALU_DEP_2)
	v_dual_add_f32 v178, v208, v178 :: v_dual_add_f32 v207, v101, v207
	v_sub_f32_e32 v208, v212, v215
	v_exp_f32_e32 v178, v178
	s_delay_alu instid0(VALU_DEP_2) | instskip(SKIP_2) | instid1(VALU_DEP_1)
	v_add_f32_e32 v207, v102, v207
	s_waitcnt_depctr 0xfff
	v_ldexp_f32 v178, v178, v209
	v_cndmask_b32_e32 v178, 0, v178, vcc_lo
	v_cmp_nlt_f32_e32 vcc_lo, 0x42b17218, v103
	s_delay_alu instid0(VALU_DEP_2) | instskip(SKIP_1) | instid1(VALU_DEP_2)
	v_cndmask_b32_e32 v103, 0x7f800000, v178, vcc_lo
	v_cmp_ngt_f32_e32 vcc_lo, 0xc2ce8ed0, v151
	v_dual_add_f32 v207, v103, v207 :: v_dual_mul_f32 v210, 0x3fb8aa3b, v176
	ds_bpermute_b32 v212, v167, v103
	v_add_f32_e32 v208, v208, v214
	v_fma_f32 v213, 0x3fb8aa3b, v176, -v210
	v_rndne_f32_e32 v216, v210
	s_delay_alu instid0(VALU_DEP_3) | instskip(NEXT) | instid1(VALU_DEP_2)
	v_exp_f32_e32 v208, v208
	v_fmac_f32_e32 v213, 0x32a5705f, v176
	s_delay_alu instid0(VALU_DEP_2) | instskip(SKIP_1) | instid1(VALU_DEP_2)
	v_sub_f32_e32 v210, v210, v216
	v_cvt_i32_f32_e32 v209, v216
	v_add_f32_e32 v210, v210, v213
	s_waitcnt_depctr 0xfff
	v_ldexp_f32 v177, v208, v177
	v_exp_f32_e32 v210, v210
	s_delay_alu instid0(VALU_DEP_1)
	v_cndmask_b32_e32 v177, 0, v177, vcc_lo
	v_cmp_ngt_f32_e32 vcc_lo, 0xc2ce8ed0, v176
	s_waitcnt_depctr 0xfff
	v_ldexp_f32 v208, v210, v209
	ds_bpermute_b32 v210, v167, v102
	ds_bpermute_b32 v209, v167, v101
	v_cndmask_b32_e32 v178, 0, v208, vcc_lo
	v_cmp_nlt_f32_e32 vcc_lo, 0x42b17218, v151
	ds_bpermute_b32 v208, v167, v175
	v_cndmask_b32_e32 v177, 0x7f800000, v177, vcc_lo
	v_cmp_nlt_f32_e32 vcc_lo, 0x42b17218, v176
	v_cndmask_b32_e32 v176, 0x7f800000, v178, vcc_lo
	ds_bpermute_b32 v178, v167, v149
	v_cmp_le_f32_e32 vcc_lo, 0xc1a00000, v151
	v_add_f32_e32 v151, v176, v207
	ds_bpermute_b32 v207, v167, v174
	v_cndmask_b32_e32 v177, 0, v177, vcc_lo
	v_cmp_eq_u32_e32 vcc_lo, 1, v144
	ds_bpermute_b32 v213, v167, v176
	v_fmac_f32_e32 v151, v173, v177
	ds_bpermute_b32 v173, v167, v164
	v_cvt_f16_f32_e64 v217, v177
	s_delay_alu instid0(VALU_DEP_1)
	v_pk_mul_f16 v24, v217, v24 op_sel_hi:[0,1]
	v_pk_mul_f16 v25, v217, v25 op_sel_hi:[0,1]
	s_waitcnt lgkmcnt(3)
	v_cndmask_b32_e32 v177, v149, v178, vcc_lo
	v_cndmask_b32_e64 v149, v149, v178, s1
	v_pk_mul_f16 v26, v217, v26 op_sel_hi:[0,1]
	v_pk_mul_f16 v27, v217, v27 op_sel_hi:[0,1]
	;; [unrolled: 1-line block ×3, first 2 shown]
	v_cndmask_b32_e64 v178, v177, v164, s2
	v_cndmask_b32_e64 v164, v149, v164, s3
	v_cvt_f16_f32_e64 v149, v149
	v_cvt_f16_f32_e64 v177, v177
	v_pk_mul_f16 v29, v217, v29 op_sel_hi:[0,1]
	v_pk_mul_f16 v30, v217, v30 op_sel_hi:[0,1]
	;; [unrolled: 1-line block ×3, first 2 shown]
	s_waitcnt lgkmcnt(0)
	v_cndmask_b32_e32 v178, v178, v173, vcc_lo
	v_cndmask_b32_e64 v164, v164, v173, s1
	v_pk_mul_f16 v16, v217, v16 op_sel_hi:[0,1]
	v_pk_mul_f16 v17, v217, v17 op_sel_hi:[0,1]
	;; [unrolled: 1-line block ×3, first 2 shown]
	v_cndmask_b32_e64 v173, v178, v174, s2
	v_cndmask_b32_e64 v174, v164, v174, s3
	v_cvt_f16_f32_e64 v164, v164
	v_cvt_f16_f32_e64 v178, v178
	v_pk_mul_f16 v19, v217, v19 op_sel_hi:[0,1]
	v_cndmask_b32_e32 v173, v173, v207, vcc_lo
	v_cndmask_b32_e64 v174, v174, v207, s1
	v_pk_mul_f16 v20, v217, v20 op_sel_hi:[0,1]
	v_pk_mul_f16 v21, v217, v21 op_sel_hi:[0,1]
	;; [unrolled: 1-line block ×3, first 2 shown]
	v_cndmask_b32_e64 v207, v173, v175, s2
	v_cndmask_b32_e64 v175, v174, v175, s3
	v_pk_mul_f16 v23, v217, v23 op_sel_hi:[0,1]
	v_pk_mul_f16 v8, v217, v8 op_sel_hi:[0,1]
	;; [unrolled: 1-line block ×3, first 2 shown]
	v_cndmask_b32_e32 v207, v207, v208, vcc_lo
	v_cndmask_b32_e64 v208, v175, v208, s1
	v_pk_mul_f16 v10, v217, v10 op_sel_hi:[0,1]
	v_pk_mul_f16 v11, v217, v11 op_sel_hi:[0,1]
	;; [unrolled: 1-line block ×3, first 2 shown]
	v_cndmask_b32_e64 v175, v207, v101, s2
	v_cndmask_b32_e64 v101, v208, v101, s3
	v_pk_mul_f16 v13, v217, v13 op_sel_hi:[0,1]
	v_pk_mul_f16 v14, v217, v14 op_sel_hi:[0,1]
	v_pk_mul_f16 v15, v217, v15 op_sel_hi:[0,1]
	v_cndmask_b32_e32 v211, v175, v209, vcc_lo
	v_cndmask_b32_e64 v101, v101, v209, s1
	v_pk_mul_f16 v0, v217, v0 op_sel_hi:[0,1]
	v_pk_mul_f16 v1, v217, v1 op_sel_hi:[0,1]
	;; [unrolled: 1-line block ×3, first 2 shown]
	v_cndmask_b32_e64 v175, v211, v102, s2
	v_cndmask_b32_e64 v102, v101, v102, s3
	v_cvt_f16_f32_e64 v218, v211
	v_pk_mul_f16 v3, v217, v3 op_sel_hi:[0,1]
	v_pk_mul_f16 v4, v217, v4 op_sel_hi:[0,1]
	v_cndmask_b32_e32 v209, v175, v210, vcc_lo
	v_cndmask_b32_e64 v102, v102, v210, s1
	v_cvt_f16_f32_e64 v210, v173
	v_pack_b32_f16 v173, v149, v177
	v_cvt_f16_f32_e64 v175, v174
	v_cndmask_b32_e64 v149, v209, v103, s2
	v_cndmask_b32_e64 v103, v102, v103, s3
	v_pack_b32_f16 v174, v164, v178
	v_cvt_f16_f32_e64 v178, v101
	v_pack_b32_f16 v175, v175, v210
	v_cndmask_b32_e32 v149, v149, v212, vcc_lo
	v_cndmask_b32_e64 v103, v103, v212, s1
	v_cvt_f16_f32_e64 v164, v208
	v_cvt_f16_f32_e64 v177, v207
	;; [unrolled: 1-line block ×3, first 2 shown]
	v_cndmask_b32_e64 v101, v149, v176, s2
	v_cndmask_b32_e64 v176, v103, v176, s3
	v_cvt_f16_f32_e64 v220, v209
	v_cvt_f16_f32_e32 v103, v103
	v_cvt_f16_f32_e64 v149, v149
	v_cndmask_b32_e32 v221, v101, v213, vcc_lo
	v_cndmask_b32_e64 v176, v176, v213, s1
	ds_load_2addr_b32 v[99:100], v168 offset0:68 offset1:84
	ds_load_2addr_b32 v[101:102], v168 offset0:136 offset1:152
	;; [unrolled: 1-line block ×13, first 2 shown]
	v_cvt_f16_f32_e64 v181, v221
	v_cvt_f16_f32_e64 v180, v176
	v_pack_b32_f16 v176, v164, v177
	v_pack_b32_f16 v177, v178, v218
	;; [unrolled: 1-line block ×5, first 2 shown]
	v_add_nc_u32_e32 v164, 0x1000, v168
	v_pk_mul_f16 v5, v217, v5 op_sel_hi:[0,1]
	v_pk_mul_f16 v6, v217, v6 op_sel_hi:[0,1]
	;; [unrolled: 1-line block ×3, first 2 shown]
	v_cmp_lt_i32_e32 vcc_lo, s104, v150
	s_waitcnt lgkmcnt(5)
	v_perm_b32 v193, v198, v212, 0x7060302
	v_perm_b32 v181, v99, v97, 0x5040100
	;; [unrolled: 1-line block ×7, first 2 shown]
	s_waitcnt lgkmcnt(3)
	v_perm_b32 v186, v202, v200, 0x5040100
	s_waitcnt lgkmcnt(2)
	v_perm_b32 v187, v205, v204, 0x5040100
	s_waitcnt lgkmcnt(0)
	v_perm_b32 v188, v216, v214, 0x5040100
	v_perm_b32 v189, v99, v97, 0x7060302
	v_perm_b32 v190, v196, v101, 0x7060302
	;; [unrolled: 1-line block ×6, first 2 shown]
	v_wmma_f16_16x16x16_f16 v[24:31], v[181:188], v[173:180], v[24:31]
	v_perm_b32 v181, v100, v98, 0x5040100
	v_perm_b32 v182, v197, v102, 0x5040100
	;; [unrolled: 1-line block ×3, first 2 shown]
	s_and_b32 vcc_lo, exec_lo, vcc_lo
	v_wmma_f16_16x16x16_f16 v[24:31], v[189:196], v[173:180], v[24:31] op_sel:[0,0,1]
	v_perm_b32 v189, v100, v98, 0x7060302
	ds_load_2addr_b32 v[97:98], v206 offset0:100 offset1:116
	ds_load_b32 v103, v169 offset:1088
	ds_load_2addr_b32 v[99:100], v206 offset0:168 offset1:184
	ds_load_2addr_b32 v[204:205], v206 offset0:236 offset1:252
	ds_load_b32 v149, v169 offset:2176
	v_perm_b32 v190, v197, v102, 0x7060302
	ds_load_2addr_b32 v[101:102], v229 offset0:132 offset1:148
	ds_load_2addr_b32 v[216:217], v229 offset0:200 offset1:216
	ds_load_b32 v195, v169 offset:3264
	ds_load_2addr_b32 v[218:219], v164 offset0:12 offset1:28
	ds_load_2addr_b32 v[220:221], v168 offset0:32 offset1:48
	;; [unrolled: 1-line block ×5, first 2 shown]
	ds_load_b32 v164, v170 offset:1088
	ds_load_b32 v202, v170 offset:2176
	;; [unrolled: 1-line block ×5, first 2 shown]
	ds_load_2addr_b32 v[230:231], v228 offset0:132 offset1:148
	ds_load_2addr_b32 v[232:233], v228 offset0:200 offset1:216
	;; [unrolled: 1-line block ×3, first 2 shown]
	v_perm_b32 v194, v203, v201, 0x7060302
	s_waitcnt lgkmcnt(13)
	v_perm_b32 v187, v101, v195, 0x5040100
	s_waitcnt lgkmcnt(12)
	v_perm_b32 v188, v218, v216, 0x5040100
	v_perm_b32 v195, v101, v195, 0x7060302
	;; [unrolled: 1-line block ×3, first 2 shown]
	s_waitcnt lgkmcnt(10)
	v_perm_b32 v197, v222, v220, 0x7060302
	v_perm_b32 v183, v97, v103, 0x5040100
	;; [unrolled: 1-line block ×6, first 2 shown]
	s_waitcnt lgkmcnt(7)
	v_perm_b32 v199, v98, v164, 0x7060302
	ds_load_b32 v97, v171 offset:2176
	v_perm_b32 v192, v204, v99, 0x7060302
	v_wmma_f16_16x16x16_f16 v[16:23], v[181:188], v[173:180], v[16:23]
	v_perm_b32 v183, v98, v164, 0x5040100
	ds_load_b32 v98, v171 offset:3264
	v_perm_b32 v181, v222, v220, 0x5040100
	v_perm_b32 v182, v226, v224, 0x5040100
	;; [unrolled: 1-line block ×3, first 2 shown]
	s_waitcnt lgkmcnt(4)
	v_perm_b32 v185, v230, v202, 0x5040100
	s_waitcnt lgkmcnt(2)
	v_perm_b32 v186, v234, v232, 0x5040100
	v_perm_b32 v187, v102, v206, 0x5040100
	;; [unrolled: 1-line block ×7, first 2 shown]
	v_wmma_f16_16x16x16_f16 v[8:15], v[181:188], v[173:180], v[8:15]
	v_perm_b32 v181, v223, v221, 0x5040100
	v_perm_b32 v182, v227, v225, 0x5040100
	;; [unrolled: 1-line block ×4, first 2 shown]
	s_waitcnt lgkmcnt(1)
	v_perm_b32 v185, v231, v97, 0x5040100
	v_perm_b32 v186, v235, v233, 0x5040100
	;; [unrolled: 1-line block ×3, first 2 shown]
	s_waitcnt lgkmcnt(0)
	v_perm_b32 v187, v213, v98, 0x5040100
	v_perm_b32 v203, v102, v206, 0x7060302
	;; [unrolled: 1-line block ×11, first 2 shown]
	v_wmma_f16_16x16x16_f16 v[0:7], v[181:188], v[173:180], v[0:7]
	v_wmma_f16_16x16x16_f16 v[16:23], v[189:196], v[173:180], v[16:23] op_sel:[0,0,1]
	v_wmma_f16_16x16x16_f16 v[8:15], v[197:204], v[173:180], v[8:15] op_sel:[0,0,1]
	s_barrier
	s_delay_alu instid0(VALU_DEP_3)
	v_wmma_f16_16x16x16_f16 v[0:7], v[205:212], v[173:180], v[0:7] op_sel:[0,0,1]
	buffer_gl0_inv
	s_cbranch_vccz .LBB25_475
; %bb.471:                              ;   in Loop: Header=BB25_438 Depth=1
	v_mov_b32_e32 v173, v151
	v_mov_b32_e32 v151, v104
	s_ashr_i32 s5, s4, 31
	s_and_saveexec_b32 s1, s0
	s_cbranch_execnz .LBB25_437
	s_branch .LBB25_438
.LBB25_472:
                                        ; implicit-def: $sgpr50_sgpr51
	s_load_b64 s[48:49], s[0:1], 0x74
	v_cvt_f32_u32_e32 v2, s14
	s_branch .LBB25_2
.LBB25_473:
                                        ; implicit-def: $sgpr54_sgpr55
	s_load_b64 s[12:13], s[0:1], 0x5c
	s_branch .LBB25_5
.LBB25_474:
	v_dual_mov_b32 v151, 0 :: v_dual_mov_b32 v104, 0xfeffffff
	v_dual_mov_b32 v30, 0 :: v_dual_mov_b32 v29, 0
	;; [unrolled: 1-line block ×16, first 2 shown]
	v_mov_b32_e32 v0, 0
.LBB25_475:
	s_lshl_b32 s0, s104, 5
	s_mov_b32 s2, exec_lo
	s_ashr_i32 s1, s0, 31
	v_cmpx_gt_u32_e32 2, v163
	s_cbranch_execz .LBB25_477
; %bb.476:
	v_add_nc_u32_e32 v96, s9, v237
	s_lshl_b64 s[4:5], s[0:1], 1
	s_delay_alu instid0(SALU_CYCLE_1) | instskip(SKIP_1) | instid1(VALU_DEP_1)
	s_add_u32 s1, s17, s4
	s_addc_u32 s3, s18, s5
	v_lshl_or_b32 v96, v96, 1, v143
	s_delay_alu instid0(VALU_DEP_1) | instskip(NEXT) | instid1(VALU_DEP_1)
	v_mul_hi_u32 v97, s12, v96
	v_add_nc_u32_e32 v97, v96, v97
	s_delay_alu instid0(VALU_DEP_1) | instskip(NEXT) | instid1(VALU_DEP_1)
	v_lshrrev_b32_e32 v97, s13, v97
	v_mul_lo_u32 v97, v97, s8
	s_delay_alu instid0(VALU_DEP_1) | instskip(NEXT) | instid1(VALU_DEP_1)
	v_sub_nc_u32_e32 v98, v96, v97
	v_mad_i64_i32 v[96:97], null, v98, s40, 0
	v_and_b32_e32 v98, 60, v141
	s_delay_alu instid0(VALU_DEP_2) | instskip(NEXT) | instid1(VALU_DEP_1)
	v_lshlrev_b64 v[96:97], 1, v[96:97]
	v_add_co_u32 v96, vcc_lo, s1, v96
	s_delay_alu instid0(VALU_DEP_2) | instskip(NEXT) | instid1(VALU_DEP_2)
	v_add_co_ci_u32_e32 v97, vcc_lo, s3, v97, vcc_lo
	v_add_co_u32 v96, vcc_lo, v96, v98
	s_delay_alu instid0(VALU_DEP_2) | instskip(SKIP_2) | instid1(VALU_DEP_1)
	v_add_co_ci_u32_e32 v97, vcc_lo, 0, v97, vcc_lo
	global_load_b32 v96, v[96:97], off
	v_mul_u32_u24_e32 v97, 0x50, v163
	v_add3_u32 v97, 0, v97, v98
	s_waitcnt vmcnt(0)
	ds_store_b32 v97, v96 offset:8704
.LBB25_477:
	s_or_b32 exec_lo, exec_lo, s2
	s_mul_hi_i32 s3, s0, s34
	s_mul_i32 s2, s0, s34
	v_and_b32_e32 v97, 60, v141
	s_lshl_b64 s[2:3], s[2:3], 2
	v_lshlrev_b64 v[98:99], 2, v[107:108]
	s_add_u32 s1, s11, s2
	s_addc_u32 s2, s16, s3
	s_lshl_b32 s3, s34, 2
	v_lshlrev_b32_e32 v109, 2, v97
	v_add_nc_u32_e32 v96, s3, v107
	v_add_co_u32 v100, vcc_lo, s1, v98
	v_add_co_ci_u32_e32 v101, vcc_lo, s2, v99, vcc_lo
	s_delay_alu instid0(VALU_DEP_3) | instskip(NEXT) | instid1(VALU_DEP_3)
	v_ashrrev_i32_e32 v97, 31, v96
	v_add_co_u32 v99, vcc_lo, v100, v109
	s_delay_alu instid0(VALU_DEP_3) | instskip(NEXT) | instid1(VALU_DEP_3)
	v_add_co_ci_u32_e32 v100, vcc_lo, 0, v101, vcc_lo
	v_lshlrev_b64 v[97:98], 2, v[96:97]
	v_add_nc_u32_e32 v96, s3, v96
	s_delay_alu instid0(VALU_DEP_1) | instskip(NEXT) | instid1(VALU_DEP_3)
	v_add_nc_u32_e32 v107, s3, v96
	v_add_co_u32 v101, vcc_lo, s1, v97
	v_ashrrev_i32_e32 v97, 31, v96
	v_add_co_ci_u32_e32 v98, vcc_lo, s2, v98, vcc_lo
	s_delay_alu instid0(VALU_DEP_3) | instskip(NEXT) | instid1(VALU_DEP_3)
	v_add_co_u32 v101, vcc_lo, v101, v109
	v_lshlrev_b64 v[115:116], 2, v[96:97]
	v_ashrrev_i32_e32 v108, 31, v107
	s_delay_alu instid0(VALU_DEP_4)
	v_add_co_ci_u32_e32 v102, vcc_lo, 0, v98, vcc_lo
	s_clause 0x1
	global_load_b128 v[97:100], v[99:100], off
	global_load_b128 v[111:114], v[101:102], off
	v_add_co_u32 v96, vcc_lo, s1, v115
	v_lshlrev_b64 v[101:102], 2, v[107:108]
	v_add_nc_u32_e32 v107, s3, v107
	v_add_co_ci_u32_e32 v103, vcc_lo, s2, v116, vcc_lo
	s_delay_alu instid0(VALU_DEP_4) | instskip(NEXT) | instid1(VALU_DEP_3)
	v_add_co_u32 v115, vcc_lo, v96, v109
	v_ashrrev_i32_e32 v108, 31, v107
	s_delay_alu instid0(VALU_DEP_3) | instskip(SKIP_2) | instid1(VALU_DEP_4)
	v_add_co_ci_u32_e32 v116, vcc_lo, 0, v103, vcc_lo
	v_add_co_u32 v96, vcc_lo, s1, v101
	v_add_co_ci_u32_e32 v103, vcc_lo, s2, v102, vcc_lo
	v_lshlrev_b64 v[101:102], 2, v[107:108]
	v_add_nc_u32_e32 v107, s3, v107
	s_delay_alu instid0(VALU_DEP_4) | instskip(NEXT) | instid1(VALU_DEP_4)
	v_add_co_u32 v119, vcc_lo, v96, v109
	v_add_co_ci_u32_e32 v120, vcc_lo, 0, v103, vcc_lo
	s_delay_alu instid0(VALU_DEP_3) | instskip(SKIP_2) | instid1(VALU_DEP_3)
	v_ashrrev_i32_e32 v108, 31, v107
	v_add_co_u32 v96, vcc_lo, s1, v101
	v_add_co_ci_u32_e32 v103, vcc_lo, s2, v102, vcc_lo
	v_lshlrev_b64 v[101:102], 2, v[107:108]
	v_add_nc_u32_e32 v107, s3, v107
	s_delay_alu instid0(VALU_DEP_4) | instskip(NEXT) | instid1(VALU_DEP_4)
	v_add_co_u32 v123, vcc_lo, v96, v109
	v_add_co_ci_u32_e32 v124, vcc_lo, 0, v103, vcc_lo
	s_delay_alu instid0(VALU_DEP_3) | instskip(SKIP_3) | instid1(VALU_DEP_4)
	v_add_nc_u32_e32 v117, s3, v107
	v_ashrrev_i32_e32 v108, 31, v107
	v_add_co_u32 v96, vcc_lo, s1, v101
	v_add_co_ci_u32_e32 v103, vcc_lo, s2, v102, vcc_lo
	v_ashrrev_i32_e32 v118, 31, v117
	s_delay_alu instid0(VALU_DEP_4) | instskip(NEXT) | instid1(VALU_DEP_4)
	v_lshlrev_b64 v[101:102], 2, v[107:108]
	v_add_co_u32 v107, vcc_lo, v96, v109
	s_delay_alu instid0(VALU_DEP_4) | instskip(NEXT) | instid1(VALU_DEP_4)
	v_add_co_ci_u32_e32 v108, vcc_lo, 0, v103, vcc_lo
	v_lshlrev_b64 v[117:118], 2, v[117:118]
	s_delay_alu instid0(VALU_DEP_4) | instskip(SKIP_1) | instid1(VALU_DEP_3)
	v_add_co_u32 v96, vcc_lo, s1, v101
	v_add_co_ci_u32_e32 v102, vcc_lo, s2, v102, vcc_lo
	v_add_co_u32 v103, vcc_lo, s1, v117
	s_delay_alu instid0(VALU_DEP_4) | instskip(NEXT) | instid1(VALU_DEP_4)
	v_add_co_ci_u32_e32 v110, vcc_lo, s2, v118, vcc_lo
	v_add_co_u32 v101, vcc_lo, v96, v109
	s_delay_alu instid0(VALU_DEP_4) | instskip(NEXT) | instid1(VALU_DEP_4)
	v_add_co_ci_u32_e32 v102, vcc_lo, 0, v102, vcc_lo
	v_add_co_u32 v135, vcc_lo, v103, v109
	s_delay_alu instid0(VALU_DEP_4)
	v_add_co_ci_u32_e32 v136, vcc_lo, 0, v110, vcc_lo
	s_clause 0x5
	global_load_b128 v[115:118], v[115:116], off
	global_load_b128 v[119:122], v[119:120], off
	;; [unrolled: 1-line block ×6, first 2 shown]
	v_mul_u32_u24_e32 v96, 0x110, v163
	s_delay_alu instid0(VALU_DEP_1)
	v_add3_u32 v108, 0, v96, v109
	v_mov_b32_e32 v96, 0
	v_and_b32_e32 v110, 16, v238
	s_waitcnt vmcnt(7)
	ds_store_b128 v108, v[97:100]
	s_waitcnt vmcnt(6)
	ds_store_b128 v108, v[111:114] offset:1088
	s_waitcnt vmcnt(5)
	ds_store_b128 v108, v[115:118] offset:2176
	;; [unrolled: 2-line block ×7, first 2 shown]
	v_mov_b32_e32 v97, v96
	v_mad_u32_u24 v107, 0x110, v110, 0
	s_waitcnt lgkmcnt(0)
	s_barrier
	buffer_gl0_inv
	v_dual_mov_b32 v98, v96 :: v_dual_add_nc_u32 v139, v107, v148
	ds_load_b128 v[111:114], v139
	ds_load_b128 v[115:118], v139 offset:16
	ds_load_b128 v[119:122], v139 offset:32
	ds_load_b128 v[123:126], v139 offset:48
	ds_load_b128 v[127:130], v139 offset:64
	ds_load_b128 v[131:134], v139 offset:80
	v_mov_b32_e32 v99, v96
	v_mov_b32_e32 v100, v96
	;; [unrolled: 1-line block ×5, first 2 shown]
	ds_load_b128 v[152:155], v139 offset:96
	ds_load_b128 v[156:159], v139 offset:112
	s_waitcnt lgkmcnt(6)
	v_wmma_f32_16x16x16_f16 v[96:103], v[111:118], v[64:71], v[96:103]
	ds_load_b128 v[64:67], v139 offset:128
	ds_load_b128 v[68:71], v139 offset:144
	s_waitcnt lgkmcnt(6)
	v_wmma_f32_16x16x16_f16 v[96:103], v[119:126], v[32:39], v[96:103]
	;; [unrolled: 4-line block ×4, first 2 shown]
	ds_load_b128 v[48:51], v139 offset:224
	ds_load_b128 v[52:55], v139 offset:240
	s_waitcnt lgkmcnt(0)
	s_barrier
	buffer_gl0_inv
	v_wmma_f32_16x16x16_f16 v[96:103], v[64:71], v[40:47], v[96:103]
	s_delay_alu instid0(VALU_DEP_1) | instskip(NEXT) | instid1(VALU_DEP_1)
	v_wmma_f32_16x16x16_f16 v[96:103], v[32:39], v[80:87], v[96:103]
                                        ; implicit-def: $vgpr34
	v_wmma_f32_16x16x16_f16 v[96:103], v[56:63], v[88:95], v[96:103]
	s_delay_alu instid0(VALU_DEP_1) | instskip(NEXT) | instid1(VALU_DEP_1)
	v_wmma_f32_16x16x16_f16 v[96:103], v[48:55], v[72:79], v[96:103]
	v_cmp_ngt_f32_e64 s1, 0x3f200000, |v96|
	s_delay_alu instid0(VALU_DEP_1) | instskip(NEXT) | instid1(SALU_CYCLE_1)
	s_and_saveexec_b32 s2, s1
	s_xor_b32 s1, exec_lo, s2
	s_cbranch_execz .LBB25_479
; %bb.478:
	v_add_f32_e64 v32, |v96|, |v96|
	s_delay_alu instid0(VALU_DEP_1) | instskip(SKIP_1) | instid1(VALU_DEP_2)
	v_mul_f32_e32 v33, 0x3fb8aa3b, v32
	v_cmp_ngt_f32_e32 vcc_lo, 0xc2ce8ed0, v32
	v_rndne_f32_e32 v34, v33
	v_fma_f32 v35, 0x3fb8aa3b, v32, -v33
	s_delay_alu instid0(VALU_DEP_2) | instskip(NEXT) | instid1(VALU_DEP_2)
	v_sub_f32_e32 v33, v33, v34
	v_fmamk_f32 v35, v32, 0x32a5705f, v35
	v_cvt_i32_f32_e32 v34, v34
	s_delay_alu instid0(VALU_DEP_2) | instskip(NEXT) | instid1(VALU_DEP_1)
	v_add_f32_e32 v33, v33, v35
	v_exp_f32_e32 v33, v33
	s_waitcnt_depctr 0xfff
	v_ldexp_f32 v33, v33, v34
	s_delay_alu instid0(VALU_DEP_1) | instskip(SKIP_1) | instid1(VALU_DEP_2)
	v_cndmask_b32_e32 v33, 0, v33, vcc_lo
	v_cmp_nlt_f32_e32 vcc_lo, 0x42b17218, v32
	v_cndmask_b32_e32 v32, 0x7f800000, v33, vcc_lo
	s_delay_alu instid0(VALU_DEP_1) | instskip(NEXT) | instid1(VALU_DEP_1)
	v_add_f32_e32 v32, 1.0, v32
	v_rcp_f32_e32 v32, v32
	s_waitcnt_depctr 0xfff
	v_fma_f32 v34, v32, -2.0, 1.0
.LBB25_479:
	s_and_not1_saveexec_b32 s1, s1
; %bb.480:
	v_mul_f32_e32 v32, v96, v96
	s_mov_b32 s2, 0xbbbac73d
	s_delay_alu instid0(VALU_DEP_1) | instid1(SALU_CYCLE_1)
	v_fmaak_f32 v33, s2, v32, 0x3ca908c9
	s_delay_alu instid0(VALU_DEP_1) | instskip(NEXT) | instid1(VALU_DEP_1)
	v_fmaak_f32 v33, v32, v33, 0xbd5c1c4e
	v_fmaak_f32 v33, v32, v33, 0x3e088382
	s_delay_alu instid0(VALU_DEP_1) | instskip(NEXT) | instid1(VALU_DEP_1)
	v_fmaak_f32 v33, v32, v33, 0xbeaaaa99
	v_mul_f32_e64 v33, |v96|, v33
	s_delay_alu instid0(VALU_DEP_1)
	v_fma_f32 v34, v32, v33, |v96|
; %bb.481:
	s_or_b32 exec_lo, exec_lo, s1
	v_cmp_ngt_f32_e64 s1, 0x3f200000, |v97|
                                        ; implicit-def: $vgpr42
	s_delay_alu instid0(VALU_DEP_1) | instskip(NEXT) | instid1(SALU_CYCLE_1)
	s_and_saveexec_b32 s2, s1
	s_xor_b32 s1, exec_lo, s2
	s_cbranch_execz .LBB25_483
; %bb.482:
	v_add_f32_e64 v32, |v97|, |v97|
	s_delay_alu instid0(VALU_DEP_1) | instskip(SKIP_1) | instid1(VALU_DEP_2)
	v_mul_f32_e32 v33, 0x3fb8aa3b, v32
	v_cmp_ngt_f32_e32 vcc_lo, 0xc2ce8ed0, v32
	v_rndne_f32_e32 v35, v33
	v_fma_f32 v36, 0x3fb8aa3b, v32, -v33
	s_delay_alu instid0(VALU_DEP_1) | instskip(SKIP_1) | instid1(VALU_DEP_2)
	v_dual_sub_f32 v33, v33, v35 :: v_dual_fmamk_f32 v36, v32, 0x32a5705f, v36
	v_cvt_i32_f32_e32 v35, v35
	v_add_f32_e32 v33, v33, v36
	s_delay_alu instid0(VALU_DEP_1) | instskip(SKIP_2) | instid1(VALU_DEP_1)
	v_exp_f32_e32 v33, v33
	s_waitcnt_depctr 0xfff
	v_ldexp_f32 v33, v33, v35
	v_cndmask_b32_e32 v33, 0, v33, vcc_lo
	v_cmp_nlt_f32_e32 vcc_lo, 0x42b17218, v32
	s_delay_alu instid0(VALU_DEP_2) | instskip(NEXT) | instid1(VALU_DEP_1)
	v_cndmask_b32_e32 v32, 0x7f800000, v33, vcc_lo
	v_add_f32_e32 v32, 1.0, v32
	s_delay_alu instid0(VALU_DEP_1)
	v_rcp_f32_e32 v32, v32
	s_waitcnt_depctr 0xfff
	v_fma_f32 v42, v32, -2.0, 1.0
.LBB25_483:
	s_and_not1_saveexec_b32 s1, s1
; %bb.484:
	v_mul_f32_e32 v32, v97, v97
	s_mov_b32 s2, 0xbbbac73d
	s_delay_alu instid0(VALU_DEP_1) | instid1(SALU_CYCLE_1)
	v_fmaak_f32 v33, s2, v32, 0x3ca908c9
	s_delay_alu instid0(VALU_DEP_1) | instskip(NEXT) | instid1(VALU_DEP_1)
	v_fmaak_f32 v33, v32, v33, 0xbd5c1c4e
	v_fmaak_f32 v33, v32, v33, 0x3e088382
	s_delay_alu instid0(VALU_DEP_1) | instskip(NEXT) | instid1(VALU_DEP_1)
	v_fmaak_f32 v33, v32, v33, 0xbeaaaa99
	v_mul_f32_e64 v33, |v97|, v33
	s_delay_alu instid0(VALU_DEP_1)
	v_fma_f32 v42, v32, v33, |v97|
; %bb.485:
	s_or_b32 exec_lo, exec_lo, s1
	v_cmp_ngt_f32_e64 s1, 0x3f200000, |v98|
                                        ; implicit-def: $vgpr43
	s_delay_alu instid0(VALU_DEP_1) | instskip(NEXT) | instid1(SALU_CYCLE_1)
	s_and_saveexec_b32 s2, s1
	s_xor_b32 s1, exec_lo, s2
	s_cbranch_execz .LBB25_487
; %bb.486:
	v_add_f32_e64 v32, |v98|, |v98|
	s_delay_alu instid0(VALU_DEP_1) | instskip(SKIP_1) | instid1(VALU_DEP_2)
	v_mul_f32_e32 v33, 0x3fb8aa3b, v32
	v_cmp_ngt_f32_e32 vcc_lo, 0xc2ce8ed0, v32
	v_rndne_f32_e32 v35, v33
	v_fma_f32 v36, 0x3fb8aa3b, v32, -v33
	s_delay_alu instid0(VALU_DEP_1) | instskip(SKIP_1) | instid1(VALU_DEP_2)
	v_dual_sub_f32 v33, v33, v35 :: v_dual_fmamk_f32 v36, v32, 0x32a5705f, v36
	v_cvt_i32_f32_e32 v35, v35
	v_add_f32_e32 v33, v33, v36
	s_delay_alu instid0(VALU_DEP_1) | instskip(SKIP_2) | instid1(VALU_DEP_1)
	v_exp_f32_e32 v33, v33
	s_waitcnt_depctr 0xfff
	v_ldexp_f32 v33, v33, v35
	v_cndmask_b32_e32 v33, 0, v33, vcc_lo
	v_cmp_nlt_f32_e32 vcc_lo, 0x42b17218, v32
	s_delay_alu instid0(VALU_DEP_2) | instskip(NEXT) | instid1(VALU_DEP_1)
	v_cndmask_b32_e32 v32, 0x7f800000, v33, vcc_lo
	v_add_f32_e32 v32, 1.0, v32
	s_delay_alu instid0(VALU_DEP_1)
	v_rcp_f32_e32 v32, v32
	s_waitcnt_depctr 0xfff
	v_fma_f32 v43, v32, -2.0, 1.0
.LBB25_487:
	s_and_not1_saveexec_b32 s1, s1
; %bb.488:
	v_mul_f32_e32 v32, v98, v98
	s_mov_b32 s2, 0xbbbac73d
	s_delay_alu instid0(VALU_DEP_1) | instid1(SALU_CYCLE_1)
	v_fmaak_f32 v33, s2, v32, 0x3ca908c9
	s_delay_alu instid0(VALU_DEP_1) | instskip(NEXT) | instid1(VALU_DEP_1)
	v_fmaak_f32 v33, v32, v33, 0xbd5c1c4e
	v_fmaak_f32 v33, v32, v33, 0x3e088382
	s_delay_alu instid0(VALU_DEP_1) | instskip(NEXT) | instid1(VALU_DEP_1)
	v_fmaak_f32 v33, v32, v33, 0xbeaaaa99
	v_mul_f32_e64 v33, |v98|, v33
	s_delay_alu instid0(VALU_DEP_1)
	v_fma_f32 v43, v32, v33, |v98|
; %bb.489:
	s_or_b32 exec_lo, exec_lo, s1
	v_cmp_ngt_f32_e64 s1, 0x3f200000, |v99|
                                        ; implicit-def: $vgpr44
	s_delay_alu instid0(VALU_DEP_1) | instskip(NEXT) | instid1(SALU_CYCLE_1)
	s_and_saveexec_b32 s2, s1
	s_xor_b32 s1, exec_lo, s2
	s_cbranch_execz .LBB25_491
; %bb.490:
	v_add_f32_e64 v32, |v99|, |v99|
	s_delay_alu instid0(VALU_DEP_1) | instskip(SKIP_1) | instid1(VALU_DEP_2)
	v_mul_f32_e32 v33, 0x3fb8aa3b, v32
	v_cmp_ngt_f32_e32 vcc_lo, 0xc2ce8ed0, v32
	v_rndne_f32_e32 v35, v33
	v_fma_f32 v36, 0x3fb8aa3b, v32, -v33
	s_delay_alu instid0(VALU_DEP_1) | instskip(SKIP_1) | instid1(VALU_DEP_2)
	v_dual_sub_f32 v33, v33, v35 :: v_dual_fmamk_f32 v36, v32, 0x32a5705f, v36
	v_cvt_i32_f32_e32 v35, v35
	v_add_f32_e32 v33, v33, v36
	s_delay_alu instid0(VALU_DEP_1) | instskip(SKIP_2) | instid1(VALU_DEP_1)
	v_exp_f32_e32 v33, v33
	s_waitcnt_depctr 0xfff
	v_ldexp_f32 v33, v33, v35
	v_cndmask_b32_e32 v33, 0, v33, vcc_lo
	v_cmp_nlt_f32_e32 vcc_lo, 0x42b17218, v32
	s_delay_alu instid0(VALU_DEP_2) | instskip(NEXT) | instid1(VALU_DEP_1)
	v_cndmask_b32_e32 v32, 0x7f800000, v33, vcc_lo
	v_add_f32_e32 v32, 1.0, v32
	s_delay_alu instid0(VALU_DEP_1)
	v_rcp_f32_e32 v32, v32
	s_waitcnt_depctr 0xfff
	v_fma_f32 v44, v32, -2.0, 1.0
.LBB25_491:
	s_and_not1_saveexec_b32 s1, s1
; %bb.492:
	v_mul_f32_e32 v32, v99, v99
	s_mov_b32 s2, 0xbbbac73d
	s_delay_alu instid0(VALU_DEP_1) | instid1(SALU_CYCLE_1)
	v_fmaak_f32 v33, s2, v32, 0x3ca908c9
	s_delay_alu instid0(VALU_DEP_1) | instskip(NEXT) | instid1(VALU_DEP_1)
	v_fmaak_f32 v33, v32, v33, 0xbd5c1c4e
	v_fmaak_f32 v33, v32, v33, 0x3e088382
	s_delay_alu instid0(VALU_DEP_1) | instskip(NEXT) | instid1(VALU_DEP_1)
	v_fmaak_f32 v33, v32, v33, 0xbeaaaa99
	v_mul_f32_e64 v33, |v99|, v33
	s_delay_alu instid0(VALU_DEP_1)
	v_fma_f32 v44, v32, v33, |v99|
; %bb.493:
	s_or_b32 exec_lo, exec_lo, s1
	v_cmp_ngt_f32_e64 s1, 0x3f200000, |v100|
                                        ; implicit-def: $vgpr45
	s_delay_alu instid0(VALU_DEP_1) | instskip(NEXT) | instid1(SALU_CYCLE_1)
	s_and_saveexec_b32 s2, s1
	s_xor_b32 s1, exec_lo, s2
	s_cbranch_execz .LBB25_495
; %bb.494:
	v_add_f32_e64 v32, |v100|, |v100|
	s_delay_alu instid0(VALU_DEP_1) | instskip(SKIP_1) | instid1(VALU_DEP_2)
	v_mul_f32_e32 v33, 0x3fb8aa3b, v32
	v_cmp_ngt_f32_e32 vcc_lo, 0xc2ce8ed0, v32
	v_rndne_f32_e32 v35, v33
	v_fma_f32 v36, 0x3fb8aa3b, v32, -v33
	s_delay_alu instid0(VALU_DEP_1) | instskip(SKIP_1) | instid1(VALU_DEP_2)
	v_dual_sub_f32 v33, v33, v35 :: v_dual_fmamk_f32 v36, v32, 0x32a5705f, v36
	v_cvt_i32_f32_e32 v35, v35
	v_add_f32_e32 v33, v33, v36
	s_delay_alu instid0(VALU_DEP_1) | instskip(SKIP_2) | instid1(VALU_DEP_1)
	v_exp_f32_e32 v33, v33
	s_waitcnt_depctr 0xfff
	v_ldexp_f32 v33, v33, v35
	v_cndmask_b32_e32 v33, 0, v33, vcc_lo
	v_cmp_nlt_f32_e32 vcc_lo, 0x42b17218, v32
	s_delay_alu instid0(VALU_DEP_2) | instskip(NEXT) | instid1(VALU_DEP_1)
	v_cndmask_b32_e32 v32, 0x7f800000, v33, vcc_lo
	v_add_f32_e32 v32, 1.0, v32
	s_delay_alu instid0(VALU_DEP_1)
	v_rcp_f32_e32 v32, v32
	s_waitcnt_depctr 0xfff
	v_fma_f32 v45, v32, -2.0, 1.0
.LBB25_495:
	s_and_not1_saveexec_b32 s1, s1
; %bb.496:
	v_mul_f32_e32 v32, v100, v100
	s_mov_b32 s2, 0xbbbac73d
	s_delay_alu instid0(VALU_DEP_1) | instid1(SALU_CYCLE_1)
	v_fmaak_f32 v33, s2, v32, 0x3ca908c9
	s_delay_alu instid0(VALU_DEP_1) | instskip(NEXT) | instid1(VALU_DEP_1)
	v_fmaak_f32 v33, v32, v33, 0xbd5c1c4e
	v_fmaak_f32 v33, v32, v33, 0x3e088382
	s_delay_alu instid0(VALU_DEP_1) | instskip(NEXT) | instid1(VALU_DEP_1)
	v_fmaak_f32 v33, v32, v33, 0xbeaaaa99
	v_mul_f32_e64 v33, |v100|, v33
	s_delay_alu instid0(VALU_DEP_1)
	v_fma_f32 v45, v32, v33, |v100|
; %bb.497:
	s_or_b32 exec_lo, exec_lo, s1
	v_cmp_ngt_f32_e64 s1, 0x3f200000, |v101|
                                        ; implicit-def: $vgpr46
	s_delay_alu instid0(VALU_DEP_1) | instskip(NEXT) | instid1(SALU_CYCLE_1)
	s_and_saveexec_b32 s2, s1
	s_xor_b32 s1, exec_lo, s2
	s_cbranch_execz .LBB25_499
; %bb.498:
	v_add_f32_e64 v32, |v101|, |v101|
	s_delay_alu instid0(VALU_DEP_1) | instskip(SKIP_1) | instid1(VALU_DEP_2)
	v_mul_f32_e32 v33, 0x3fb8aa3b, v32
	v_cmp_ngt_f32_e32 vcc_lo, 0xc2ce8ed0, v32
	v_rndne_f32_e32 v35, v33
	v_fma_f32 v36, 0x3fb8aa3b, v32, -v33
	s_delay_alu instid0(VALU_DEP_1) | instskip(SKIP_1) | instid1(VALU_DEP_2)
	v_dual_sub_f32 v33, v33, v35 :: v_dual_fmamk_f32 v36, v32, 0x32a5705f, v36
	v_cvt_i32_f32_e32 v35, v35
	v_add_f32_e32 v33, v33, v36
	s_delay_alu instid0(VALU_DEP_1) | instskip(SKIP_2) | instid1(VALU_DEP_1)
	v_exp_f32_e32 v33, v33
	s_waitcnt_depctr 0xfff
	v_ldexp_f32 v33, v33, v35
	v_cndmask_b32_e32 v33, 0, v33, vcc_lo
	v_cmp_nlt_f32_e32 vcc_lo, 0x42b17218, v32
	s_delay_alu instid0(VALU_DEP_2) | instskip(NEXT) | instid1(VALU_DEP_1)
	v_cndmask_b32_e32 v32, 0x7f800000, v33, vcc_lo
	v_add_f32_e32 v32, 1.0, v32
	s_delay_alu instid0(VALU_DEP_1)
	v_rcp_f32_e32 v32, v32
	s_waitcnt_depctr 0xfff
	v_fma_f32 v46, v32, -2.0, 1.0
.LBB25_499:
	s_and_not1_saveexec_b32 s1, s1
; %bb.500:
	v_mul_f32_e32 v32, v101, v101
	s_mov_b32 s2, 0xbbbac73d
	s_delay_alu instid0(VALU_DEP_1) | instid1(SALU_CYCLE_1)
	v_fmaak_f32 v33, s2, v32, 0x3ca908c9
	s_delay_alu instid0(VALU_DEP_1) | instskip(NEXT) | instid1(VALU_DEP_1)
	v_fmaak_f32 v33, v32, v33, 0xbd5c1c4e
	v_fmaak_f32 v33, v32, v33, 0x3e088382
	s_delay_alu instid0(VALU_DEP_1) | instskip(NEXT) | instid1(VALU_DEP_1)
	v_fmaak_f32 v33, v32, v33, 0xbeaaaa99
	v_mul_f32_e64 v33, |v101|, v33
	s_delay_alu instid0(VALU_DEP_1)
	v_fma_f32 v46, v32, v33, |v101|
; %bb.501:
	s_or_b32 exec_lo, exec_lo, s1
	v_cmp_ngt_f32_e64 s1, 0x3f200000, |v102|
                                        ; implicit-def: $vgpr32
	s_delay_alu instid0(VALU_DEP_1) | instskip(NEXT) | instid1(SALU_CYCLE_1)
	s_and_saveexec_b32 s2, s1
	s_xor_b32 s1, exec_lo, s2
	s_cbranch_execz .LBB25_503
; %bb.502:
	v_add_f32_e64 v32, |v102|, |v102|
	s_delay_alu instid0(VALU_DEP_1) | instskip(SKIP_1) | instid1(VALU_DEP_2)
	v_mul_f32_e32 v33, 0x3fb8aa3b, v32
	v_cmp_ngt_f32_e32 vcc_lo, 0xc2ce8ed0, v32
	v_rndne_f32_e32 v35, v33
	v_fma_f32 v36, 0x3fb8aa3b, v32, -v33
	s_delay_alu instid0(VALU_DEP_1) | instskip(SKIP_1) | instid1(VALU_DEP_2)
	v_dual_sub_f32 v33, v33, v35 :: v_dual_fmamk_f32 v36, v32, 0x32a5705f, v36
	v_cvt_i32_f32_e32 v35, v35
	v_add_f32_e32 v33, v33, v36
	s_delay_alu instid0(VALU_DEP_1) | instskip(SKIP_2) | instid1(VALU_DEP_1)
	v_exp_f32_e32 v33, v33
	s_waitcnt_depctr 0xfff
	v_ldexp_f32 v33, v33, v35
	v_cndmask_b32_e32 v33, 0, v33, vcc_lo
	v_cmp_nlt_f32_e32 vcc_lo, 0x42b17218, v32
	s_delay_alu instid0(VALU_DEP_2) | instskip(NEXT) | instid1(VALU_DEP_1)
	v_cndmask_b32_e32 v32, 0x7f800000, v33, vcc_lo
	v_add_f32_e32 v32, 1.0, v32
	s_delay_alu instid0(VALU_DEP_1)
	v_rcp_f32_e32 v32, v32
	s_waitcnt_depctr 0xfff
	v_fma_f32 v32, v32, -2.0, 1.0
.LBB25_503:
	s_and_not1_saveexec_b32 s1, s1
; %bb.504:
	v_mul_f32_e32 v32, v102, v102
	s_mov_b32 s2, 0xbbbac73d
	s_delay_alu instid0(VALU_DEP_1) | instid1(SALU_CYCLE_1)
	v_fmaak_f32 v33, s2, v32, 0x3ca908c9
	s_delay_alu instid0(VALU_DEP_1) | instskip(NEXT) | instid1(VALU_DEP_1)
	v_fmaak_f32 v33, v32, v33, 0xbd5c1c4e
	v_fmaak_f32 v33, v32, v33, 0x3e088382
	s_delay_alu instid0(VALU_DEP_1) | instskip(NEXT) | instid1(VALU_DEP_1)
	v_fmaak_f32 v33, v32, v33, 0xbeaaaa99
	v_mul_f32_e64 v33, |v102|, v33
	s_delay_alu instid0(VALU_DEP_1)
	v_fma_f32 v32, v32, v33, |v102|
; %bb.505:
	s_or_b32 exec_lo, exec_lo, s1
	v_cmp_ngt_f32_e64 s1, 0x3f200000, |v103|
                                        ; implicit-def: $vgpr33
	s_delay_alu instid0(VALU_DEP_1) | instskip(NEXT) | instid1(SALU_CYCLE_1)
	s_and_saveexec_b32 s2, s1
	s_xor_b32 s1, exec_lo, s2
	s_cbranch_execz .LBB25_507
; %bb.506:
	v_add_f32_e64 v33, |v103|, |v103|
	s_delay_alu instid0(VALU_DEP_1) | instskip(SKIP_1) | instid1(VALU_DEP_2)
	v_mul_f32_e32 v35, 0x3fb8aa3b, v33
	v_cmp_ngt_f32_e32 vcc_lo, 0xc2ce8ed0, v33
	v_rndne_f32_e32 v36, v35
	v_fma_f32 v37, 0x3fb8aa3b, v33, -v35
	s_delay_alu instid0(VALU_DEP_2) | instskip(NEXT) | instid1(VALU_DEP_2)
	v_sub_f32_e32 v35, v35, v36
	v_fmamk_f32 v37, v33, 0x32a5705f, v37
	v_cvt_i32_f32_e32 v36, v36
	s_delay_alu instid0(VALU_DEP_2) | instskip(NEXT) | instid1(VALU_DEP_1)
	v_add_f32_e32 v35, v35, v37
	v_exp_f32_e32 v35, v35
	s_waitcnt_depctr 0xfff
	v_ldexp_f32 v35, v35, v36
	s_delay_alu instid0(VALU_DEP_1) | instskip(SKIP_1) | instid1(VALU_DEP_2)
	v_cndmask_b32_e32 v35, 0, v35, vcc_lo
	v_cmp_nlt_f32_e32 vcc_lo, 0x42b17218, v33
	v_cndmask_b32_e32 v33, 0x7f800000, v35, vcc_lo
	s_delay_alu instid0(VALU_DEP_1) | instskip(NEXT) | instid1(VALU_DEP_1)
	v_add_f32_e32 v33, 1.0, v33
	v_rcp_f32_e32 v33, v33
	s_waitcnt_depctr 0xfff
	v_fma_f32 v33, v33, -2.0, 1.0
.LBB25_507:
	s_or_saveexec_b32 s1, s1
	v_add_nc_u32_e32 v36, 0x440, v108
	v_add_nc_u32_e32 v37, 0x880, v108
	;; [unrolled: 1-line block ×7, first 2 shown]
	s_xor_b32 exec_lo, exec_lo, s1
; %bb.508:
	v_mul_f32_e32 v33, v103, v103
	s_mov_b32 s2, 0xbbbac73d
	s_delay_alu instid0(VALU_DEP_1) | instid1(SALU_CYCLE_1)
	v_fmaak_f32 v47, s2, v33, 0x3ca908c9
	s_delay_alu instid0(VALU_DEP_1) | instskip(NEXT) | instid1(VALU_DEP_1)
	v_fmaak_f32 v47, v33, v47, 0xbd5c1c4e
	v_fmaak_f32 v47, v33, v47, 0x3e088382
	s_delay_alu instid0(VALU_DEP_1) | instskip(NEXT) | instid1(VALU_DEP_1)
	v_fmaak_f32 v47, v33, v47, 0xbeaaaa99
	v_mul_f32_e64 v47, |v103|, v47
	s_delay_alu instid0(VALU_DEP_1)
	v_fma_f32 v33, v33, v47, |v103|
; %bb.509:
	s_or_b32 exec_lo, exec_lo, s1
	v_lshrrev_b32_e32 v47, 3, v147
	v_bfi_b32 v48, 0x7fffffff, v42, v97
	v_lshlrev_b32_e32 v42, 1, v110
	v_bfi_b32 v74, 0x7fffffff, v46, v101
	v_bfi_b32 v49, 0x7fffffff, v43, v98
	v_mad_u32_u24 v47, 0x50, v47, 0
	s_mul_hi_i32 s1, s0, s10
	s_mul_i32 s0, s0, s10
	v_bfi_b32 v34, 0x7fffffff, v34, v96
	s_lshl_b64 s[0:1], s[0:1], 2
	v_add3_u32 v46, v47, v42, v146
	v_lshlrev_b64 v[42:43], 2, v[105:106]
	s_add_u32 s0, s6, s0
	v_bfi_b32 v50, 0x7fffffff, v44, v99
	s_addc_u32 s1, s7, s1
	ds_load_u16 v47, v46 offset:8704
	ds_load_u16 v52, v46 offset:8708
	;; [unrolled: 1-line block ×3, first 2 shown]
	s_lshl_b32 s2, s10, 2
	v_add_co_u32 v44, vcc_lo, s0, v42
	v_add_co_ci_u32_e32 v43, vcc_lo, s1, v43, vcc_lo
	v_bfi_b32 v51, 0x7fffffff, v45, v100
	s_delay_alu instid0(VALU_DEP_3) | instskip(NEXT) | instid1(VALU_DEP_3)
	v_add_co_u32 v44, vcc_lo, v44, v109
	v_add_co_ci_u32_e32 v45, vcc_lo, 0, v43, vcc_lo
	ds_load_u16 v54, v46 offset:8716
	ds_load_u16 v55, v46 offset:8720
	;; [unrolled: 1-line block ×5, first 2 shown]
	v_bfi_b32 v32, 0x7fffffff, v32, v102
	v_bfi_b32 v33, 0x7fffffff, v33, v103
	s_waitcnt lgkmcnt(7)
	v_fma_mix_f32 v34, v34, s33, v47 op_sel_hi:[0,0,1]
	v_add_nc_u32_e32 v42, s2, v105
	s_waitcnt lgkmcnt(6)
	v_fma_mix_f32 v78, v48, s33, v52 op_sel_hi:[0,0,1]
	s_waitcnt lgkmcnt(5)
	v_fma_mix_f32 v79, v49, s33, v53 op_sel_hi:[0,0,1]
	v_add_f32_e32 v47, 0x40051340, v34
	v_ashrrev_i32_e32 v43, 31, v42
	v_add_nc_u32_e32 v46, s2, v42
	v_add_f32_e32 v48, 0x40051340, v78
	s_delay_alu instid0(VALU_DEP_3) | instskip(SKIP_2) | instid1(VALU_DEP_3)
	v_lshlrev_b64 v[42:43], 2, v[42:43]
	s_waitcnt lgkmcnt(4)
	v_fma_mix_f32 v80, v50, s33, v54 op_sel_hi:[0,0,1]
	v_max3_f32 v83, v104, v47, v48
	v_ashrrev_i32_e32 v47, 31, v46
	s_waitcnt lgkmcnt(3)
	v_fma_mix_f32 v81, v51, s33, v55 op_sel_hi:[0,0,1]
	s_waitcnt lgkmcnt(2)
	v_fma_mix_f32 v74, v74, s33, v75 op_sel_hi:[0,0,1]
	v_add_co_u32 v48, vcc_lo, s0, v42
	v_add_co_ci_u32_e32 v49, vcc_lo, s1, v43, vcc_lo
	v_lshlrev_b64 v[42:43], 2, v[46:47]
	v_add_nc_u32_e32 v46, s2, v46
	s_delay_alu instid0(VALU_DEP_4) | instskip(NEXT) | instid1(VALU_DEP_4)
	v_add_co_u32 v48, vcc_lo, v48, v109
	v_add_co_ci_u32_e32 v49, vcc_lo, 0, v49, vcc_lo
	s_delay_alu instid0(VALU_DEP_3) | instskip(SKIP_2) | instid1(VALU_DEP_3)
	v_ashrrev_i32_e32 v47, 31, v46
	v_add_co_u32 v50, vcc_lo, s0, v42
	v_add_co_ci_u32_e32 v51, vcc_lo, s1, v43, vcc_lo
	v_lshlrev_b64 v[42:43], 2, v[46:47]
	v_add_nc_u32_e32 v46, s2, v46
	s_delay_alu instid0(VALU_DEP_4) | instskip(NEXT) | instid1(VALU_DEP_4)
	v_add_co_u32 v50, vcc_lo, v50, v109
	v_add_co_ci_u32_e32 v51, vcc_lo, 0, v51, vcc_lo
	s_delay_alu instid0(VALU_DEP_3) | instskip(SKIP_3) | instid1(VALU_DEP_4)
	v_ashrrev_i32_e32 v47, 31, v46
	v_add_co_u32 v42, vcc_lo, s0, v42
	v_add_nc_u32_e32 v60, s2, v46
	v_add_co_ci_u32_e32 v43, vcc_lo, s1, v43, vcc_lo
	v_lshlrev_b64 v[58:59], 2, v[46:47]
	s_delay_alu instid0(VALU_DEP_4) | instskip(NEXT) | instid1(VALU_DEP_4)
	v_add_co_u32 v54, vcc_lo, v42, v109
	v_ashrrev_i32_e32 v61, 31, v60
	s_delay_alu instid0(VALU_DEP_4) | instskip(NEXT) | instid1(VALU_DEP_4)
	v_add_co_ci_u32_e32 v55, vcc_lo, 0, v43, vcc_lo
	v_add_co_u32 v62, vcc_lo, s0, v58
	v_add_co_ci_u32_e32 v63, vcc_lo, s1, v59, vcc_lo
	s_delay_alu instid0(VALU_DEP_4) | instskip(SKIP_1) | instid1(VALU_DEP_4)
	v_lshlrev_b64 v[58:59], 2, v[60:61]
	v_add_nc_u32_e32 v60, s2, v60
	v_add_co_u32 v62, vcc_lo, v62, v109
	s_delay_alu instid0(VALU_DEP_4) | instskip(NEXT) | instid1(VALU_DEP_3)
	v_add_co_ci_u32_e32 v63, vcc_lo, 0, v63, vcc_lo
	v_add_nc_u32_e32 v64, s2, v60
	v_ashrrev_i32_e32 v61, 31, v60
	v_add_co_u32 v66, vcc_lo, s0, v58
	v_add_co_ci_u32_e32 v67, vcc_lo, s1, v59, vcc_lo
	s_delay_alu instid0(VALU_DEP_4) | instskip(NEXT) | instid1(VALU_DEP_4)
	v_ashrrev_i32_e32 v65, 31, v64
	v_lshlrev_b64 v[58:59], 2, v[60:61]
	s_delay_alu instid0(VALU_DEP_4) | instskip(NEXT) | instid1(VALU_DEP_4)
	v_add_co_u32 v66, vcc_lo, v66, v109
	v_add_co_ci_u32_e32 v67, vcc_lo, 0, v67, vcc_lo
	s_delay_alu instid0(VALU_DEP_4) | instskip(NEXT) | instid1(VALU_DEP_4)
	v_lshlrev_b64 v[60:61], 2, v[64:65]
	v_add_co_u32 v58, vcc_lo, s0, v58
	v_add_co_ci_u32_e32 v59, vcc_lo, s1, v59, vcc_lo
	s_clause 0x3
	global_load_b128 v[42:45], v[44:45], off
	global_load_b128 v[46:49], v[48:49], off
	global_load_b128 v[50:53], v[50:51], off
	global_load_b128 v[54:57], v[54:55], off
	v_add_co_u32 v60, vcc_lo, s0, v60
	v_add_co_ci_u32_e32 v61, vcc_lo, s1, v61, vcc_lo
	v_add_co_u32 v68, vcc_lo, v58, v109
	v_add_co_ci_u32_e32 v69, vcc_lo, 0, v59, vcc_lo
	s_delay_alu instid0(VALU_DEP_4) | instskip(NEXT) | instid1(VALU_DEP_4)
	v_add_co_u32 v70, vcc_lo, v60, v109
	v_add_co_ci_u32_e32 v71, vcc_lo, 0, v61, vcc_lo
	s_clause 0x2
	global_load_b128 v[58:61], v[62:63], off
	global_load_b128 v[62:65], v[66:67], off
	;; [unrolled: 1-line block ×3, first 2 shown]
	v_add_f32_e32 v82, 0x40051340, v79
	v_add_f32_e32 v84, 0x40051340, v80
	global_load_b128 v[70:73], v[70:71], off
	s_waitcnt lgkmcnt(1)
	v_fma_mix_f32 v32, v32, s33, v76 op_sel_hi:[0,0,1]
	v_xor_b32_e32 v76, 16, v145
	s_waitcnt lgkmcnt(0)
	v_fma_mix_f32 v33, v33, s33, v77 op_sel_hi:[0,0,1]
	v_max3_f32 v75, v83, v82, v84
	v_dual_add_f32 v82, 0x40051340, v81 :: v_dual_add_f32 v83, 0x40051340, v74
	v_cmp_gt_i32_e32 vcc_lo, 32, v76
	v_add_f32_e32 v77, 0x40051340, v32
	v_cmp_eq_u32_e64 s0, 1, v144
	v_cmp_eq_u32_e64 s1, 0, v143
	v_max3_f32 v75, v75, v82, v83
	v_add_f32_e32 v82, 0x40051340, v33
	v_cndmask_b32_e32 v76, v145, v76, vcc_lo
	v_cmp_eq_u32_e64 s2, 1, v143
	s_waitcnt vmcnt(7)
	ds_store_b128 v108, v[42:45]
	s_waitcnt vmcnt(6)
	ds_store_b128 v36, v[46:49]
	;; [unrolled: 2-line block ×7, first 2 shown]
	v_max3_f32 v75, v75, v77, v82
	v_lshlrev_b32_e32 v105, 2, v76
	v_lshl_add_u32 v55, v142, 2, v107
	s_waitcnt vmcnt(0)
	ds_store_b128 v35, v[70:73]
	s_waitcnt lgkmcnt(0)
	s_barrier
	ds_bpermute_b32 v76, v105, v75
	v_add_nc_u32_e32 v127, 0xc00, v55
	s_waitcnt lgkmcnt(0)
	buffer_gl0_inv
	ds_load_2addr_b32 v[47:48], v55 offset1:16
	ds_load_2addr_b32 v[49:50], v55 offset0:68 offset1:84
	ds_load_2addr_b32 v[51:52], v55 offset0:136 offset1:152
	;; [unrolled: 1-line block ×3, first 2 shown]
	v_add_nc_u32_e32 v111, 0x400, v55
	v_add_nc_u32_e32 v119, 0x800, v55
	v_dual_max_f32 v76, v76, v76 :: v_dual_add_nc_u32 v35, 0xe00, v55
	s_waitcnt lgkmcnt(2)
	v_perm_b32 v56, v49, v47, 0x5040100
	s_waitcnt lgkmcnt(0)
	v_perm_b32 v57, v53, v51, 0x5040100
	v_max_f32_e32 v106, v75, v76
	v_perm_b32 v41, v53, v51, 0x7060302
	v_add_nc_u32_e32 v53, 0x600, v55
	v_perm_b32 v40, v49, v47, 0x7060302
	v_perm_b32 v64, v50, v48, 0x5040100
	v_sub_f32_e32 v80, v80, v106
	v_sub_f32_e32 v34, v34, v106
	;; [unrolled: 1-line block ×4, first 2 shown]
	v_perm_b32 v48, v50, v48, 0x7060302
	v_mul_f32_e32 v85, 0x3fb8aa3b, v80
	v_mul_f32_e32 v75, 0x3fb8aa3b, v34
	v_cmp_ngt_f32_e32 vcc_lo, 0xc2ce8ed0, v34
	v_mul_f32_e32 v84, 0x3fb8aa3b, v79
	v_perm_b32 v65, v54, v52, 0x5040100
	v_perm_b32 v49, v54, v52, 0x7060302
	v_fma_f32 v76, 0x3fb8aa3b, v34, -v75
	v_rndne_f32_e32 v77, v75
	s_delay_alu instid0(VALU_DEP_1) | instskip(SKIP_1) | instid1(VALU_DEP_2)
	v_dual_fmac_f32 v76, 0x32a5705f, v34 :: v_dual_sub_f32 v75, v75, v77
	v_cvt_i32_f32_e32 v77, v77
	v_dual_add_f32 v75, v75, v76 :: v_dual_mul_f32 v76, 0x3fb8aa3b, v78
	s_delay_alu instid0(VALU_DEP_1) | instskip(NEXT) | instid1(VALU_DEP_1)
	v_exp_f32_e32 v75, v75
	v_fma_f32 v82, 0x3fb8aa3b, v78, -v76
	v_rndne_f32_e32 v83, v76
	s_delay_alu instid0(VALU_DEP_2) | instskip(NEXT) | instid1(VALU_DEP_2)
	v_fmac_f32_e32 v82, 0x32a5705f, v78
	v_sub_f32_e32 v76, v76, v83
	s_waitcnt_depctr 0xfff
	v_ldexp_f32 v75, v75, v77
	v_fma_f32 v77, 0x3fb8aa3b, v79, -v84
	v_add_f32_e32 v76, v76, v82
	v_rndne_f32_e32 v82, v84
	s_delay_alu instid0(VALU_DEP_4) | instskip(NEXT) | instid1(VALU_DEP_4)
	v_cndmask_b32_e32 v75, 0, v75, vcc_lo
	v_fmac_f32_e32 v77, 0x32a5705f, v79
	s_delay_alu instid0(VALU_DEP_4) | instskip(NEXT) | instid1(VALU_DEP_3)
	v_exp_f32_e32 v76, v76
	v_sub_f32_e32 v84, v84, v82
	v_cmp_nlt_f32_e32 vcc_lo, 0x42b17218, v34
	v_cvt_i32_f32_e32 v82, v82
	s_delay_alu instid0(VALU_DEP_3)
	v_dual_add_f32 v77, v84, v77 :: v_dual_cndmask_b32 v34, 0x7f800000, v75
	v_cvt_i32_f32_e32 v75, v83
	v_fma_f32 v83, 0x3fb8aa3b, v80, -v85
	v_rndne_f32_e32 v84, v85
	v_cmp_ngt_f32_e32 vcc_lo, 0xc2ce8ed0, v78
	s_delay_alu instid0(TRANS32_DEP_1) | instid1(VALU_DEP_4)
	v_ldexp_f32 v75, v76, v75
	v_exp_f32_e32 v76, v77
	v_fmac_f32_e32 v83, 0x32a5705f, v80
	v_sub_f32_e32 v77, v85, v84
	v_cvt_i32_f32_e32 v84, v84
	v_cndmask_b32_e32 v75, 0, v75, vcc_lo
	v_cmp_nlt_f32_e32 vcc_lo, 0x42b17218, v78
	s_delay_alu instid0(VALU_DEP_4) | instskip(SKIP_1) | instid1(VALU_DEP_4)
	v_add_f32_e32 v77, v77, v83
	v_sub_f32_e32 v81, v81, v106
	v_dual_sub_f32 v74, v74, v106 :: v_dual_cndmask_b32 v75, 0x7f800000, v75
	s_delay_alu instid0(TRANS32_DEP_1) | instskip(NEXT) | instid1(VALU_DEP_4)
	v_ldexp_f32 v76, v76, v82
	v_exp_f32_e32 v77, v77
	s_delay_alu instid0(VALU_DEP_3) | instskip(SKIP_3) | instid1(VALU_DEP_4)
	v_mul_f32_e32 v85, 0x3fb8aa3b, v81
	v_cmp_ngt_f32_e32 vcc_lo, 0xc2ce8ed0, v79
	v_sub_f32_e32 v32, v32, v106
	v_sub_f32_e32 v33, v33, v106
	v_fma_f32 v83, 0x3fb8aa3b, v81, -v85
	v_rndne_f32_e32 v86, v85
	v_cndmask_b32_e32 v76, 0, v76, vcc_lo
	v_cmp_nlt_f32_e32 vcc_lo, 0x42b17218, v79
	v_mul_f32_e32 v79, 0x3fb8aa3b, v74
	s_delay_alu instid0(VALU_DEP_4) | instskip(SKIP_2) | instid1(VALU_DEP_4)
	v_dual_fmac_f32 v83, 0x32a5705f, v81 :: v_dual_sub_f32 v78, v85, v86
	v_ldexp_f32 v77, v77, v84
	v_cndmask_b32_e32 v76, 0x7f800000, v76, vcc_lo
	v_fma_f32 v84, 0x3fb8aa3b, v74, -v79
	v_rndne_f32_e32 v85, v79
	v_add_f32_e32 v78, v78, v83
	v_cvt_i32_f32_e32 v83, v86
	v_mul_f32_e32 v87, 0x3fb8aa3b, v33
	s_delay_alu instid0(VALU_DEP_4) | instskip(NEXT) | instid1(VALU_DEP_4)
	v_dual_fmac_f32 v84, 0x32a5705f, v74 :: v_dual_sub_f32 v79, v79, v85
	v_exp_f32_e32 v78, v78
	v_cvt_i32_f32_e32 v85, v85
	s_delay_alu instid0(VALU_DEP_3) | instskip(SKIP_3) | instid1(VALU_DEP_4)
	v_fma_f32 v90, 0x3fb8aa3b, v33, -v87
	v_rndne_f32_e32 v91, v87
	v_add_f32_e32 v79, v79, v84
	v_cmp_ngt_f32_e32 vcc_lo, 0xc2ce8ed0, v80
	v_fmac_f32_e32 v90, 0x32a5705f, v33
	s_delay_alu instid0(VALU_DEP_3) | instskip(SKIP_3) | instid1(VALU_DEP_3)
	v_exp_f32_e32 v79, v79
	v_cndmask_b32_e32 v77, 0, v77, vcc_lo
	v_cmp_nlt_f32_e32 vcc_lo, 0x42b17218, v80
	v_ldexp_f32 v78, v78, v83
	v_cndmask_b32_e32 v77, 0x7f800000, v77, vcc_lo
	v_cmp_ngt_f32_e32 vcc_lo, 0xc2ce8ed0, v81
	s_waitcnt_depctr 0xfff
	v_ldexp_f32 v79, v79, v85
	v_cndmask_b32_e32 v78, 0, v78, vcc_lo
	v_cmp_nlt_f32_e32 vcc_lo, 0x42b17218, v81
	v_dual_sub_f32 v81, v104, v106 :: v_dual_add_f32 v82, v34, v75
	s_delay_alu instid0(VALU_DEP_3) | instskip(NEXT) | instid1(VALU_DEP_2)
	v_cndmask_b32_e32 v78, 0x7f800000, v78, vcc_lo
	v_mul_f32_e32 v86, 0x3fb8aa3b, v81
	s_delay_alu instid0(VALU_DEP_3) | instskip(SKIP_1) | instid1(VALU_DEP_3)
	v_add_f32_e32 v82, v76, v82
	v_cmp_ngt_f32_e32 vcc_lo, 0xc2ce8ed0, v74
	v_fma_f32 v88, 0x3fb8aa3b, v81, -v86
	s_delay_alu instid0(VALU_DEP_3) | instskip(SKIP_2) | instid1(VALU_DEP_4)
	v_add_f32_e32 v80, v77, v82
	v_mul_f32_e32 v82, 0x3fb8aa3b, v32
	v_rndne_f32_e32 v89, v86
	v_dual_cndmask_b32 v79, 0, v79 :: v_dual_fmac_f32 v88, 0x32a5705f, v81
	v_cmp_nlt_f32_e32 vcc_lo, 0x42b17218, v74
	s_delay_alu instid0(VALU_DEP_4) | instskip(SKIP_3) | instid1(VALU_DEP_4)
	v_fma_f32 v83, 0x3fb8aa3b, v32, -v82
	v_rndne_f32_e32 v84, v82
	v_add_f32_e32 v80, v78, v80
	v_cndmask_b32_e32 v74, 0x7f800000, v79, vcc_lo
	v_fmac_f32_e32 v83, 0x32a5705f, v32
	s_delay_alu instid0(VALU_DEP_4)
	v_sub_f32_e32 v82, v82, v84
	v_cvt_i32_f32_e32 v84, v84
	v_cvt_i32_f32_e32 v79, v89
	v_cmp_ngt_f32_e32 vcc_lo, 0xc2ce8ed0, v32
	v_add_f32_e32 v80, v74, v80
	v_add_f32_e32 v82, v82, v83
	v_dual_sub_f32 v83, v86, v89 :: v_dual_sub_f32 v86, v87, v91
	s_delay_alu instid0(VALU_DEP_2) | instskip(NEXT) | instid1(VALU_DEP_1)
	v_exp_f32_e32 v82, v82
	v_add_f32_e32 v83, v83, v88
	s_delay_alu instid0(VALU_DEP_2)
	v_add_f32_e32 v85, v86, v90
	ds_bpermute_b32 v86, v105, v74
	v_exp_f32_e32 v83, v83
	v_exp_f32_e32 v85, v85
	v_ldexp_f32 v82, v82, v84
	v_cvt_i32_f32_e32 v84, v91
	s_delay_alu instid0(VALU_DEP_2)
	v_cndmask_b32_e32 v82, 0, v82, vcc_lo
	s_waitcnt_depctr 0xfff
	v_ldexp_f32 v79, v83, v79
	v_cmp_ngt_f32_e32 vcc_lo, 0xc2ce8ed0, v81
	v_ldexp_f32 v83, v85, v84
	ds_bpermute_b32 v84, v105, v77
	ds_bpermute_b32 v85, v105, v78
	v_cndmask_b32_e32 v79, 0, v79, vcc_lo
	v_cmp_nlt_f32_e32 vcc_lo, 0x42b17218, v32
	v_cndmask_b32_e32 v32, 0x7f800000, v82, vcc_lo
	v_cmp_ngt_f32_e32 vcc_lo, 0xc2ce8ed0, v33
	s_delay_alu instid0(VALU_DEP_2)
	v_add_f32_e32 v80, v32, v80
	v_cndmask_b32_e32 v82, 0, v83, vcc_lo
	v_cmp_nlt_f32_e32 vcc_lo, 0x42b17218, v81
	ds_bpermute_b32 v83, v105, v76
	ds_bpermute_b32 v87, v105, v32
	v_cndmask_b32_e32 v79, 0x7f800000, v79, vcc_lo
	v_cmp_nlt_f32_e32 vcc_lo, 0x42b17218, v33
	v_cndmask_b32_e32 v82, 0x7f800000, v82, vcc_lo
	v_cmp_le_f32_e32 vcc_lo, 0xc1a00000, v81
	s_delay_alu instid0(VALU_DEP_2)
	v_dual_add_f32 v104, v82, v80 :: v_dual_cndmask_b32 v33, 0, v79
	ds_bpermute_b32 v79, v105, v34
	v_cmp_eq_u32_e32 vcc_lo, 0, v144
	v_cvt_f16_f32_e32 v80, v33
	v_fmac_f32_e32 v104, v151, v33
	ds_bpermute_b32 v33, v105, v75
	v_pk_mul_f16 v24, v80, v24 op_sel_hi:[0,1]
	v_pk_mul_f16 v25, v80, v25 op_sel_hi:[0,1]
	;; [unrolled: 1-line block ×11, first 2 shown]
	s_waitcnt lgkmcnt(1)
	v_cndmask_b32_e32 v81, v34, v79, vcc_lo
	v_cndmask_b32_e64 v34, v34, v79, s0
	v_pk_mul_f16 v19, v80, v19 op_sel_hi:[0,1]
	v_pk_mul_f16 v20, v80, v20 op_sel_hi:[0,1]
	;; [unrolled: 1-line block ×3, first 2 shown]
	v_cndmask_b32_e64 v79, v81, v75, s1
	v_cndmask_b32_e64 v75, v34, v75, s2
	v_pk_mul_f16 v22, v80, v22 op_sel_hi:[0,1]
	v_pk_mul_f16 v23, v80, v23 op_sel_hi:[0,1]
	v_pk_mul_f16 v8, v80, v8 op_sel_hi:[0,1]
	s_waitcnt lgkmcnt(0)
	v_cndmask_b32_e32 v79, v79, v33, vcc_lo
	v_cndmask_b32_e64 v33, v75, v33, s0
	v_pk_mul_f16 v9, v80, v9 op_sel_hi:[0,1]
	v_pk_mul_f16 v10, v80, v10 op_sel_hi:[0,1]
	;; [unrolled: 1-line block ×3, first 2 shown]
	v_cndmask_b32_e64 v75, v79, v76, s1
	v_cndmask_b32_e64 v76, v33, v76, s2
	v_pk_mul_f16 v12, v80, v12 op_sel_hi:[0,1]
	v_pk_mul_f16 v13, v80, v13 op_sel_hi:[0,1]
	;; [unrolled: 1-line block ×3, first 2 shown]
	v_cndmask_b32_e32 v75, v75, v83, vcc_lo
	v_cndmask_b32_e64 v76, v76, v83, s0
	v_pk_mul_f16 v15, v80, v15 op_sel_hi:[0,1]
	v_pk_mul_f16 v0, v80, v0 op_sel_hi:[0,1]
	;; [unrolled: 1-line block ×3, first 2 shown]
	v_cndmask_b32_e64 v83, v75, v77, s1
	v_cndmask_b32_e64 v77, v76, v77, s2
	v_pk_mul_f16 v2, v80, v2 op_sel_hi:[0,1]
	v_pk_mul_f16 v3, v80, v3 op_sel_hi:[0,1]
	;; [unrolled: 1-line block ×3, first 2 shown]
	v_cndmask_b32_e32 v83, v83, v84, vcc_lo
	v_cndmask_b32_e64 v77, v77, v84, s0
	v_pk_mul_f16 v5, v80, v5 op_sel_hi:[0,1]
	v_pk_mul_f16 v6, v80, v6 op_sel_hi:[0,1]
	;; [unrolled: 1-line block ×3, first 2 shown]
	v_cndmask_b32_e64 v84, v83, v78, s1
	v_cndmask_b32_e64 v78, v77, v78, s2
	v_cvt_f16_f32_e32 v80, v81
	v_cvt_f16_f32_e32 v34, v34
	;; [unrolled: 1-line block ×3, first 2 shown]
	v_cndmask_b32_e32 v84, v84, v85, vcc_lo
	v_cndmask_b32_e64 v78, v78, v85, s0
	v_cvt_f16_f32_e32 v33, v33
	v_cvt_f16_f32_e32 v75, v75
	;; [unrolled: 1-line block ×3, first 2 shown]
	v_cndmask_b32_e64 v85, v84, v74, s1
	v_cndmask_b32_e64 v74, v78, v74, s2
	v_pack_b32_f16 v33, v79, v33
	v_cvt_f16_f32_e32 v91, v77
	v_cvt_f16_f32_e32 v93, v78
	v_cndmask_b32_e32 v81, v85, v86, vcc_lo
	ds_bpermute_b32 v85, v105, v82
	v_cndmask_b32_e64 v74, v74, v86, s0
	v_cvt_f16_f32_e32 v90, v83
	v_cvt_f16_f32_e32 v92, v84
	v_cndmask_b32_e64 v86, v81, v32, s1
	v_cvt_f16_f32_e32 v94, v81
	v_cndmask_b32_e64 v88, v74, v32, s2
	v_pack_b32_f16 v32, v80, v34
	v_pack_b32_f16 v34, v75, v76
	v_cndmask_b32_e32 v79, v86, v87, vcc_lo
	v_cvt_f16_f32_e32 v95, v74
	v_cndmask_b32_e64 v80, v88, v87, s0
	v_pack_b32_f16 v36, v92, v93
	s_delay_alu instid0(VALU_DEP_4) | instskip(SKIP_1) | instid1(VALU_DEP_4)
	v_cndmask_b32_e64 v75, v79, v82, s1
	v_cvt_f16_f32_e32 v96, v79
	v_cndmask_b32_e64 v76, v80, v82, s2
	v_cvt_f16_f32_e32 v97, v80
	v_pack_b32_f16 v37, v94, v95
	s_waitcnt lgkmcnt(0)
	v_cndmask_b32_e32 v75, v75, v85, vcc_lo
	v_cndmask_b32_e64 v76, v76, v85, s0
	v_pack_b32_f16 v38, v96, v97
	v_cmp_gt_u32_e32 vcc_lo, 16, v236
	s_delay_alu instid0(VALU_DEP_4) | instskip(NEXT) | instid1(VALU_DEP_4)
	v_cvt_f16_f32_e32 v98, v75
	v_cvt_f16_f32_e32 v99, v76
	ds_load_2addr_b32 v[66:67], v111 offset0:16 offset1:32
	ds_load_2addr_b32 v[68:69], v111 offset0:84 offset1:100
	;; [unrolled: 1-line block ×12, first 2 shown]
	v_pack_b32_f16 v35, v90, v91
	v_pack_b32_f16 v39, v98, v99
	ds_load_2addr_b32 v[96:97], v55 offset0:32 offset1:48
	ds_load_2addr_b32 v[98:99], v55 offset0:100 offset1:116
	;; [unrolled: 1-line block ×11, first 2 shown]
	v_add_nc_u32_e32 v53, 0x1000, v55
	ds_load_2addr_b32 v[121:122], v127 offset0:12 offset1:28
	ds_load_2addr_b32 v[123:124], v127 offset0:80 offset1:96
	ds_load_2addr_b32 v[125:126], v127 offset0:148 offset1:164
	ds_load_2addr_b32 v[127:128], v127 offset0:216 offset1:232
	ds_load_2addr_b32 v[129:130], v53 offset0:28 offset1:44
	s_waitcnt lgkmcnt(0)
	s_barrier
	buffer_gl0_inv
	v_perm_b32 v58, v68, v66, 0x5040100
	v_perm_b32 v42, v68, v66, 0x7060302
	;; [unrolled: 1-line block ×7, first 2 shown]
	ds_bpermute_b32 v107, v105, v104
	v_perm_b32 v43, v72, v70, 0x7060302
	v_perm_b32 v61, v80, v78, 0x5040100
	;; [unrolled: 1-line block ×49, first 2 shown]
	s_and_saveexec_b32 s0, vcc_lo
	s_cbranch_execz .LBB25_511
; %bb.510:
	v_or_b32_e32 v108, v238, v236
	s_waitcnt lgkmcnt(0)
	v_add_f32_e32 v104, v104, v107
	s_delay_alu instid0(VALU_DEP_2)
	v_mad_u32_u24 v108, 0x110, v108, 0
	ds_store_2addr_b32 v108, v106, v104 offset0:64 offset1:65
.LBB25_511:
	s_or_b32 exec_lo, exec_lo, s0
	v_wmma_f16_16x16x16_f16 v[24:31], v[56:63], v[32:39], v[24:31]
	v_wmma_f16_16x16x16_f16 v[16:23], v[64:71], v[32:39], v[16:23]
	;; [unrolled: 1-line block ×4, first 2 shown]
	v_cmp_eq_u32_e64 s0, 0, v240
	v_cmp_eq_u32_e64 s1, 1, v240
	s_waitcnt lgkmcnt(0)
	s_barrier
	buffer_gl0_inv
	s_and_saveexec_b32 s2, s1
	s_delay_alu instid0(SALU_CYCLE_1)
	s_xor_b32 s1, exec_lo, s2
	s_cbranch_execz .LBB25_513
; %bb.512:
	s_barrier
	buffer_gl0_inv
                                        ; implicit-def: $vgpr105
                                        ; implicit-def: $vgpr239
.LBB25_513:
	s_or_saveexec_b32 s4, s1
	v_wmma_f16_16x16x16_f16 v[24:31], v[40:47], v[32:39], v[24:31] op_sel:[0,0,1]
	v_wmma_f16_16x16x16_f16 v[16:23], v[48:55], v[32:39], v[16:23] op_sel:[0,0,1]
	;; [unrolled: 1-line block ×4, first 2 shown]
	s_xor_b32 exec_lo, exec_lo, s4
	s_cbranch_execz .LBB25_517
; %bb.514:
	v_add_nc_u32_e32 v32, v238, v236
	s_mov_b32 s3, 0
	s_delay_alu instid0(VALU_DEP_1)
	v_mad_u32_u24 v36, 0x110, v32, 0
	ds_load_b64 v[34:35], v36 offset:256
	s_waitcnt lgkmcnt(0)
	s_barrier
	buffer_gl0_inv
	ds_bpermute_b32 v32, v105, v34
	s_waitcnt lgkmcnt(0)
	v_dual_max_f32 v33, v34, v34 :: v_dual_max_f32 v32, v32, v32
	s_delay_alu instid0(VALU_DEP_1) | instskip(NEXT) | instid1(VALU_DEP_1)
	v_max_f32_e32 v32, v33, v32
	v_sub_f32_e32 v33, v34, v32
	s_delay_alu instid0(VALU_DEP_1) | instskip(SKIP_1) | instid1(VALU_DEP_2)
	v_mul_f32_e32 v34, 0x3fb8aa3b, v33
	v_cmp_ngt_f32_e64 s1, 0xc2ce8ed0, v33
	v_fma_f32 v37, 0x3fb8aa3b, v33, -v34
	v_rndne_f32_e32 v38, v34
	s_delay_alu instid0(VALU_DEP_1) | instskip(NEXT) | instid1(VALU_DEP_1)
	v_dual_fmamk_f32 v37, v33, 0x32a5705f, v37 :: v_dual_sub_f32 v34, v34, v38
	v_add_f32_e32 v34, v34, v37
	v_cvt_i32_f32_e32 v37, v38
	s_delay_alu instid0(VALU_DEP_2) | instskip(SKIP_2) | instid1(VALU_DEP_1)
	v_exp_f32_e32 v34, v34
	s_waitcnt_depctr 0xfff
	v_ldexp_f32 v34, v34, v37
	v_cndmask_b32_e64 v34, 0, v34, s1
	v_cmp_nlt_f32_e64 s1, 0x42b17218, v33
	s_delay_alu instid0(VALU_DEP_1) | instskip(NEXT) | instid1(VALU_DEP_1)
	v_cndmask_b32_e64 v33, 0x7f800000, v34, s1
	v_mul_f32_e32 v34, v35, v33
	ds_bpermute_b32 v34, v105, v34
	s_waitcnt lgkmcnt(0)
	v_fmac_f32_e32 v34, v35, v33
	ds_store_b64 v36, v[33:34] offset:256
	s_and_saveexec_b32 s1, vcc_lo
	s_cbranch_execz .LBB25_516
; %bb.515:
	v_or_b32_e32 v33, v239, v236
	s_add_i32 s2, s14, s15
	s_delay_alu instid0(SALU_CYCLE_1) | instskip(NEXT) | instid1(SALU_CYCLE_1)
	s_lshl_b32 s2, s2, 4
	s_lshl_b64 s[2:3], s[2:3], 3
	s_delay_alu instid0(VALU_DEP_1)
	v_lshlrev_b32_e32 v35, 3, v33
	v_mov_b32_e32 v33, v34
	s_add_u32 s2, s30, s2
	s_addc_u32 s3, s31, s3
	global_store_b64 v35, v[32:33], s[2:3]
.LBB25_516:
	s_or_b32 exec_lo, exec_lo, s1
.LBB25_517:
	s_delay_alu instid0(SALU_CYCLE_1) | instskip(SKIP_2) | instid1(VALU_DEP_1)
	s_or_b32 exec_lo, exec_lo, s4
	v_or_b32_e32 v32, v238, v142
	s_mov_b32 s1, 0
	v_mad_u32_u24 v32, 0x44, v32, v143
	s_delay_alu instid0(VALU_DEP_1)
	v_lshl_add_u32 v32, v32, 2, 0
	ds_store_2addr_b32 v32, v24, v25 offset1:2
	ds_store_2addr_b32 v32, v26, v27 offset0:4 offset1:6
	ds_store_2addr_b32 v32, v28, v29 offset0:8 offset1:10
	;; [unrolled: 1-line block ×15, first 2 shown]
	s_waitcnt lgkmcnt(0)
	s_waitcnt_vscnt null, 0x0
	s_barrier
	buffer_gl0_inv
	s_and_saveexec_b32 s2, s0
	s_cbranch_execz .LBB25_519
; %bb.518:
	v_lshrrev_b32_e32 v0, 1, v237
	v_bfe_u32 v1, v237, 1, 4
	v_lshlrev_b32_e32 v7, 5, v237
	s_lshl_b32 s0, s14, 5
	s_delay_alu instid0(SALU_CYCLE_1)
	s_lshl_b64 s[4:5], s[0:1], 3
	v_add_nc_u32_e32 v13, 1, v0
	v_and_or_b32 v1, 0x3e0, v237, v1
	v_add_nc_u32_e32 v17, 2, v0
	v_add_lshl_u32 v18, v236, v7, 3
	s_add_u32 s3, s30, s4
	v_lshlrev_b32_e32 v2, 1, v13
	v_and_b32_e32 v3, 15, v13
	v_mad_u32_u24 v1, 0x110, v1, 0
	v_lshlrev_b32_e32 v9, 1, v17
	v_and_b32_e32 v10, 15, v17
	v_lshlrev_b32_e32 v20, 6, v13
	v_and_or_b32 v6, 0x7e0, v2, v3
	v_add_nc_u32_e32 v5, v1, v141
	ds_load_2addr_stride64_b32 v[1:2], v1 offset0:1 offset1:18
	ds_load_2addr_b32 v[3:4], v5 offset1:32
	v_mad_u32_u24 v8, 0x110, v6, 0
	v_add_nc_u32_e32 v5, 0x1000, v5
	v_and_or_b32 v12, 0x7e0, v9, v10
	s_addc_u32 s4, s31, s5
	s_lshl_b32 s0, s15, 10
	v_add_nc_u32_e32 v11, v8, v141
	ds_load_2addr_b32 v[5:6], v5 offset0:64 offset1:96
	ds_load_2addr_stride64_b32 v[7:8], v8 offset0:1 offset1:18
	ds_load_2addr_b32 v[9:10], v11 offset1:32
	v_add_nc_u32_e32 v11, 0x1000, v11
	v_mad_u32_u24 v15, 0x110, v12, 0
	s_lshl_b64 s[0:1], s[0:1], 3
	v_add_nc_u32_e32 v19, 3, v0
	s_add_u32 s0, s3, s0
	ds_load_2addr_b32 v[11:12], v11 offset0:64 offset1:96
	ds_load_2addr_stride64_b32 v[13:14], v15 offset0:1 offset1:18
	v_add_nc_u32_e32 v21, v15, v141
	s_addc_u32 s1, s4, s1
	s_waitcnt lgkmcnt(5)
	v_fma_mix_f32 v15, v1, v3, 0 op_sel_hi:[0,1,0]
	v_fma_mix_f32 v16, v1, v3, 0 op_sel:[0,1,0] op_sel_hi:[0,1,0]
	v_fma_mix_f32 v22, v1, v4, 0 op_sel_hi:[0,1,0]
	v_fma_mix_f32 v23, v1, v4, 0 op_sel:[0,1,0] op_sel_hi:[0,1,0]
	ds_load_2addr_b32 v[3:4], v21 offset1:32
	v_add_nc_u32_e32 v21, 0x1000, v21
	v_lshlrev_b32_e32 v17, 6, v17
	s_waitcnt lgkmcnt(5)
	v_fma_mix_f32 v15, v2, v5, v15 op_sel_hi:[0,1,0]
	v_fma_mix_f32 v16, v2, v5, v16 op_sel:[0,1,0] op_sel_hi:[0,1,0]
	v_fma_mix_f32 v1, v2, v6, v22 op_sel_hi:[0,1,0]
	s_waitcnt lgkmcnt(3)
	v_fma_mix_f32 v5, v7, v9, 0 op_sel_hi:[0,1,0]
	v_fma_mix_f32 v2, v2, v6, v23 op_sel:[0,1,0] op_sel_hi:[0,1,0]
	v_fma_mix_f32 v6, v7, v9, 0 op_sel:[0,1,0] op_sel_hi:[0,1,0]
	s_clause 0x1
	global_store_b64 v18, v[15:16], s[0:1]
	global_store_b64 v18, v[1:2], s[0:1] offset:256
	s_waitcnt lgkmcnt(2)
	v_fma_mix_f32 v1, v8, v11, v5 op_sel_hi:[0,1,0]
	v_add_co_u32 v5, s3, v236, v20
	v_fma_mix_f32 v9, v7, v10, 0 op_sel_hi:[0,1,0]
	v_fma_mix_f32 v2, v8, v11, v6 op_sel:[0,1,0] op_sel_hi:[0,1,0]
	v_add_co_ci_u32_e64 v6, null, 0, 0, s3
	v_lshlrev_b32_e32 v11, 1, v19
	v_and_b32_e32 v18, 15, v19
	ds_load_2addr_b32 v[15:16], v21 offset0:64 offset1:96
	v_fma_mix_f32 v10, v7, v10, 0 op_sel:[0,1,0] op_sel_hi:[0,1,0]
	v_lshlrev_b64 v[5:6], 3, v[5:6]
	v_fma_mix_f32 v7, v8, v12, v9 op_sel_hi:[0,1,0]
	v_and_or_b32 v9, 0x7e0, v11, v18
	v_add_lshl_u32 v20, v236, v20, 3
	v_fma_mix_f32 v8, v8, v12, v10 op_sel:[0,1,0] op_sel_hi:[0,1,0]
	v_add_nc_u32_e32 v18, 4, v0
	v_add_co_u32 v5, vcc_lo, s0, v5
	v_mad_u32_u24 v9, 0x110, v9, 0
	v_add_co_ci_u32_e32 v6, vcc_lo, s1, v6, vcc_lo
	global_store_b64 v20, v[1:2], s[0:1]
	s_waitcnt lgkmcnt(1)
	v_fma_mix_f32 v1, v13, v3, 0 op_sel_hi:[0,1,0]
	v_fma_mix_f32 v2, v13, v3, 0 op_sel:[0,1,0] op_sel_hi:[0,1,0]
	v_add_nc_u32_e32 v3, v9, v141
	global_store_b64 v[5:6], v[7:8], off offset:256
	ds_load_2addr_stride64_b32 v[5:6], v9 offset0:1 offset1:18
	ds_load_2addr_b32 v[7:8], v3 offset1:32
	v_add_co_u32 v9, s3, v236, v17
	v_add_nc_u32_e32 v3, 0x1000, v3
	s_waitcnt lgkmcnt(2)
	v_fma_mix_f32 v1, v14, v15, v1 op_sel_hi:[0,1,0]
	v_fma_mix_f32 v2, v14, v15, v2 op_sel:[0,1,0] op_sel_hi:[0,1,0]
	v_fma_mix_f32 v15, v13, v4, 0 op_sel_hi:[0,1,0]
	v_add_co_ci_u32_e64 v10, null, 0, 0, s3
	v_fma_mix_f32 v13, v13, v4, 0 op_sel:[0,1,0] op_sel_hi:[0,1,0]
	v_lshlrev_b32_e32 v20, 1, v18
	v_and_b32_e32 v21, 15, v18
	ds_load_2addr_b32 v[11:12], v3 offset0:64 offset1:96
	v_lshlrev_b64 v[3:4], 3, v[9:10]
	v_fma_mix_f32 v10, v14, v16, v13 op_sel:[0,1,0] op_sel_hi:[0,1,0]
	v_add_lshl_u32 v17, v236, v17, 3
	v_and_or_b32 v13, 0x7e0, v20, v21
	v_fma_mix_f32 v9, v14, v16, v15 op_sel_hi:[0,1,0]
	v_add_co_u32 v3, vcc_lo, s0, v3
	s_delay_alu instid0(VALU_DEP_3)
	v_mad_u32_u24 v13, 0x110, v13, 0
	v_add_co_ci_u32_e32 v4, vcc_lo, s1, v4, vcc_lo
	global_store_b64 v17, v[1:2], s[0:1]
	s_waitcnt lgkmcnt(1)
	v_fma_mix_f32 v1, v5, v7, 0 op_sel_hi:[0,1,0]
	v_fma_mix_f32 v2, v5, v7, 0 op_sel:[0,1,0] op_sel_hi:[0,1,0]
	v_add_nc_u32_e32 v7, v13, v141
	v_lshlrev_b32_e32 v17, 6, v19
	global_store_b64 v[3:4], v[9:10], off offset:256
	ds_load_2addr_stride64_b32 v[3:4], v13 offset0:1 offset1:18
	ds_load_2addr_b32 v[9:10], v7 offset1:32
	v_add_nc_u32_e32 v19, 5, v0
	v_add_co_u32 v13, s3, v236, v17
	s_waitcnt lgkmcnt(2)
	v_fma_mix_f32 v1, v6, v11, v1 op_sel_hi:[0,1,0]
	v_fma_mix_f32 v2, v6, v11, v2 op_sel:[0,1,0] op_sel_hi:[0,1,0]
	v_fma_mix_f32 v11, v5, v8, 0 op_sel_hi:[0,1,0]
	v_add_nc_u32_e32 v7, 0x1000, v7
	v_add_co_ci_u32_e64 v14, null, 0, 0, s3
	v_lshlrev_b32_e32 v21, 1, v19
	v_and_b32_e32 v22, 15, v19
	ds_load_2addr_b32 v[15:16], v7 offset0:64 offset1:96
	v_fma_mix_f32 v20, v5, v8, 0 op_sel:[0,1,0] op_sel_hi:[0,1,0]
	v_lshlrev_b64 v[7:8], 3, v[13:14]
	v_fma_mix_f32 v5, v6, v12, v11 op_sel_hi:[0,1,0]
	v_and_or_b32 v11, 0x7e0, v21, v22
	v_add_lshl_u32 v13, v236, v17, 3
	v_fma_mix_f32 v6, v6, v12, v20 op_sel:[0,1,0] op_sel_hi:[0,1,0]
	v_lshlrev_b32_e32 v17, 6, v18
	v_add_co_u32 v7, vcc_lo, s0, v7
	v_mad_u32_u24 v11, 0x110, v11, 0
	v_add_co_ci_u32_e32 v8, vcc_lo, s1, v8, vcc_lo
	global_store_b64 v13, v[1:2], s[0:1]
	s_waitcnt lgkmcnt(1)
	v_fma_mix_f32 v1, v3, v9, 0 op_sel_hi:[0,1,0]
	v_fma_mix_f32 v2, v3, v9, 0 op_sel:[0,1,0] op_sel_hi:[0,1,0]
	v_add_nc_u32_e32 v9, v11, v141
	global_store_b64 v[7:8], v[5:6], off offset:256
	ds_load_2addr_stride64_b32 v[5:6], v11 offset0:1 offset1:18
	ds_load_2addr_b32 v[7:8], v9 offset1:32
	v_add_nc_u32_e32 v18, 6, v0
	v_add_co_u32 v11, s3, v236, v17
	v_add_nc_u32_e32 v9, 0x1000, v9
	v_add_co_ci_u32_e64 v12, null, 0, 0, s3
	s_delay_alu instid0(VALU_DEP_4)
	v_lshlrev_b32_e32 v21, 1, v18
	v_and_b32_e32 v22, 15, v18
	s_waitcnt lgkmcnt(2)
	v_fma_mix_f32 v1, v4, v15, v1 op_sel_hi:[0,1,0]
	v_fma_mix_f32 v2, v4, v15, v2 op_sel:[0,1,0] op_sel_hi:[0,1,0]
	v_fma_mix_f32 v15, v3, v10, 0 op_sel_hi:[0,1,0]
	ds_load_2addr_b32 v[13:14], v9 offset0:64 offset1:96
	v_fma_mix_f32 v20, v3, v10, 0 op_sel:[0,1,0] op_sel_hi:[0,1,0]
	v_lshlrev_b64 v[9:10], 3, v[11:12]
	v_add_lshl_u32 v11, v236, v17, 3
	v_and_or_b32 v12, 0x7e0, v21, v22
	v_fma_mix_f32 v3, v4, v16, v15 op_sel_hi:[0,1,0]
	v_fma_mix_f32 v4, v4, v16, v20 op_sel:[0,1,0] op_sel_hi:[0,1,0]
	v_lshlrev_b32_e32 v17, 6, v19
	global_store_b64 v11, v[1:2], s[0:1]
	v_mad_u32_u24 v11, 0x110, v12, 0
	v_add_co_u32 v9, vcc_lo, s0, v9
	v_add_co_ci_u32_e32 v10, vcc_lo, s1, v10, vcc_lo
	s_waitcnt lgkmcnt(1)
	v_fma_mix_f32 v1, v5, v7, 0 op_sel_hi:[0,1,0]
	v_fma_mix_f32 v2, v5, v7, 0 op_sel:[0,1,0] op_sel_hi:[0,1,0]
	v_add_nc_u32_e32 v7, v11, v141
	global_store_b64 v[9:10], v[3:4], off offset:256
	ds_load_2addr_stride64_b32 v[3:4], v11 offset0:1 offset1:18
	ds_load_2addr_b32 v[9:10], v7 offset1:32
	v_add_nc_u32_e32 v19, 7, v0
	v_add_co_u32 v11, s3, v236, v17
	v_add_nc_u32_e32 v7, 0x1000, v7
	v_add_co_ci_u32_e64 v12, null, 0, 0, s3
	s_delay_alu instid0(VALU_DEP_4)
	v_lshlrev_b32_e32 v21, 1, v19
	v_and_b32_e32 v22, 15, v19
	s_waitcnt lgkmcnt(2)
	v_fma_mix_f32 v1, v6, v13, v1 op_sel_hi:[0,1,0]
	v_fma_mix_f32 v2, v6, v13, v2 op_sel:[0,1,0] op_sel_hi:[0,1,0]
	v_fma_mix_f32 v13, v5, v8, 0 op_sel_hi:[0,1,0]
	ds_load_2addr_b32 v[15:16], v7 offset0:64 offset1:96
	v_fma_mix_f32 v20, v5, v8, 0 op_sel:[0,1,0] op_sel_hi:[0,1,0]
	v_lshlrev_b64 v[7:8], 3, v[11:12]
	v_add_lshl_u32 v11, v236, v17, 3
	v_and_or_b32 v12, 0x7e0, v21, v22
	v_fma_mix_f32 v5, v6, v14, v13 op_sel_hi:[0,1,0]
	v_fma_mix_f32 v6, v6, v14, v20 op_sel:[0,1,0] op_sel_hi:[0,1,0]
	v_lshlrev_b32_e32 v17, 6, v18
	global_store_b64 v11, v[1:2], s[0:1]
	v_mad_u32_u24 v11, 0x110, v12, 0
	v_add_co_u32 v7, vcc_lo, s0, v7
	v_add_co_ci_u32_e32 v8, vcc_lo, s1, v8, vcc_lo
	;; [unrolled: 30-line block ×5, first 2 shown]
	s_waitcnt lgkmcnt(1)
	v_fma_mix_f32 v1, v5, v7, 0 op_sel_hi:[0,1,0]
	v_fma_mix_f32 v2, v5, v7, 0 op_sel:[0,1,0] op_sel_hi:[0,1,0]
	v_add_nc_u32_e32 v7, v11, v141
	global_store_b64 v[9:10], v[3:4], off offset:256
	ds_load_2addr_stride64_b32 v[3:4], v11 offset0:1 offset1:18
	ds_load_2addr_b32 v[9:10], v7 offset1:32
	v_add_nc_u32_e32 v19, 11, v0
	v_add_co_u32 v11, s3, v236, v17
	v_add_nc_u32_e32 v7, 0x1000, v7
	v_add_co_ci_u32_e64 v12, null, 0, 0, s3
	s_delay_alu instid0(VALU_DEP_4)
	v_lshlrev_b32_e32 v21, 1, v19
	v_and_b32_e32 v22, 15, v19
	s_waitcnt lgkmcnt(2)
	v_fma_mix_f32 v1, v6, v13, v1 op_sel_hi:[0,1,0]
	v_fma_mix_f32 v2, v6, v13, v2 op_sel:[0,1,0] op_sel_hi:[0,1,0]
	v_fma_mix_f32 v13, v5, v8, 0 op_sel_hi:[0,1,0]
	ds_load_2addr_b32 v[15:16], v7 offset0:64 offset1:96
	v_fma_mix_f32 v20, v5, v8, 0 op_sel:[0,1,0] op_sel_hi:[0,1,0]
	v_lshlrev_b64 v[7:8], 3, v[11:12]
	v_and_or_b32 v12, 0x7e0, v21, v22
	v_add_lshl_u32 v11, v236, v17, 3
	v_fma_mix_f32 v5, v6, v14, v13 op_sel_hi:[0,1,0]
	v_fma_mix_f32 v6, v6, v14, v20 op_sel:[0,1,0] op_sel_hi:[0,1,0]
	v_lshlrev_b32_e32 v17, 6, v18
	v_mad_u32_u24 v12, 0x110, v12, 0
	v_add_co_u32 v7, vcc_lo, s0, v7
	v_add_co_ci_u32_e32 v8, vcc_lo, s1, v8, vcc_lo
	global_store_b64 v11, v[1:2], s[0:1]
	s_waitcnt lgkmcnt(1)
	v_fma_mix_f32 v1, v3, v9, 0 op_sel_hi:[0,1,0]
	v_fma_mix_f32 v2, v3, v9, 0 op_sel:[0,1,0] op_sel_hi:[0,1,0]
	v_add_nc_u32_e32 v9, v12, v141
	global_store_b64 v[7:8], v[5:6], off offset:256
	ds_load_2addr_stride64_b32 v[5:6], v12 offset0:1 offset1:18
	ds_load_2addr_b32 v[7:8], v9 offset1:32
	v_add_nc_u32_e32 v9, 0x1000, v9
	v_add_nc_u32_e32 v18, 12, v0
	v_add_co_u32 v11, s3, v236, v17
	s_delay_alu instid0(VALU_DEP_1)
	v_add_co_ci_u32_e64 v12, null, 0, 0, s3
	ds_load_2addr_b32 v[13:14], v9 offset0:64 offset1:96
	v_lshlrev_b32_e32 v21, 1, v18
	v_and_b32_e32 v22, 15, v18
	s_waitcnt lgkmcnt(3)
	v_fma_mix_f32 v1, v4, v15, v1 op_sel_hi:[0,1,0]
	v_fma_mix_f32 v2, v4, v15, v2 op_sel:[0,1,0] op_sel_hi:[0,1,0]
	v_fma_mix_f32 v15, v3, v10, 0 op_sel_hi:[0,1,0]
	v_fma_mix_f32 v20, v3, v10, 0 op_sel:[0,1,0] op_sel_hi:[0,1,0]
	v_lshlrev_b64 v[9:10], 3, v[11:12]
	v_add_lshl_u32 v11, v236, v17, 3
	v_and_or_b32 v12, 0x7e0, v21, v22
	v_fma_mix_f32 v3, v4, v16, v15 op_sel_hi:[0,1,0]
	v_fma_mix_f32 v4, v4, v16, v20 op_sel:[0,1,0] op_sel_hi:[0,1,0]
	global_store_b64 v11, v[1:2], s[0:1]
	s_waitcnt lgkmcnt(1)
	v_fma_mix_f32 v1, v5, v7, 0 op_sel_hi:[0,1,0]
	v_fma_mix_f32 v2, v5, v7, 0 op_sel:[0,1,0] op_sel_hi:[0,1,0]
	v_mad_u32_u24 v11, 0x110, v12, 0
	v_add_co_u32 v9, vcc_lo, s0, v9
	v_add_co_ci_u32_e32 v10, vcc_lo, s1, v10, vcc_lo
	v_lshlrev_b32_e32 v7, 6, v19
	s_waitcnt lgkmcnt(0)
	v_fma_mix_f32 v1, v6, v13, v1 op_sel_hi:[0,1,0]
	v_fma_mix_f32 v2, v6, v13, v2 op_sel:[0,1,0] op_sel_hi:[0,1,0]
	v_add_nc_u32_e32 v13, 13, v0
	v_add_nc_u32_e32 v12, v11, v141
	global_store_b64 v[9:10], v[3:4], off offset:256
	ds_load_2addr_stride64_b32 v[3:4], v11 offset0:1 offset1:18
	ds_load_2addr_b32 v[9:10], v12 offset1:32
	v_lshlrev_b32_e32 v19, 1, v13
	v_and_b32_e32 v20, 15, v13
	v_add_co_u32 v11, s3, v236, v7
	v_add_nc_u32_e32 v15, 0x1000, v12
	v_add_co_ci_u32_e64 v12, null, 0, 0, s3
	s_delay_alu instid0(VALU_DEP_4)
	v_and_or_b32 v19, 0x7e0, v19, v20
	v_add_lshl_u32 v17, v236, v7, 3
	ds_load_2addr_b32 v[15:16], v15 offset0:64 offset1:96
	v_fma_mix_f32 v21, v5, v8, 0 op_sel_hi:[0,1,0]
	v_fma_mix_f32 v5, v5, v8, 0 op_sel:[0,1,0] op_sel_hi:[0,1,0]
	v_lshlrev_b64 v[7:8], 3, v[11:12]
	v_mad_u32_u24 v11, 0x110, v19, 0
	global_store_b64 v17, v[1:2], s[0:1]
	v_fma_mix_f32 v1, v6, v14, v21 op_sel_hi:[0,1,0]
	v_fma_mix_f32 v2, v6, v14, v5 op_sel:[0,1,0] op_sel_hi:[0,1,0]
	v_lshlrev_b32_e32 v17, 6, v18
	v_add_co_u32 v5, vcc_lo, s0, v7
	v_add_co_ci_u32_e32 v6, vcc_lo, s1, v8, vcc_lo
	v_add_nc_u32_e32 v14, v11, v141
	ds_load_2addr_stride64_b32 v[7:8], v11 offset0:1 offset1:18
	ds_load_2addr_b32 v[11:12], v14 offset1:32
	global_store_b64 v[5:6], v[1:2], off offset:256
	v_add_nc_u32_e32 v5, 0x1000, v14
	s_waitcnt lgkmcnt(3)
	v_fma_mix_f32 v18, v3, v9, 0 op_sel_hi:[0,1,0]
	v_fma_mix_f32 v9, v3, v9, 0 op_sel:[0,1,0] op_sel_hi:[0,1,0]
	v_fma_mix_f32 v14, v3, v10, 0 op_sel_hi:[0,1,0]
	v_add_nc_u32_e32 v19, 14, v0
	ds_load_2addr_b32 v[5:6], v5 offset0:64 offset1:96
	s_waitcnt lgkmcnt(3)
	v_fma_mix_f32 v1, v4, v15, v18 op_sel_hi:[0,1,0]
	v_fma_mix_f32 v18, v3, v10, 0 op_sel:[0,1,0] op_sel_hi:[0,1,0]
	v_fma_mix_f32 v2, v4, v15, v9 op_sel:[0,1,0] op_sel_hi:[0,1,0]
	v_add_co_u32 v9, s3, v236, v17
	s_delay_alu instid0(VALU_DEP_1)
	v_add_co_ci_u32_e64 v10, null, 0, 0, s3
	v_fma_mix_f32 v3, v4, v16, v14 op_sel_hi:[0,1,0]
	v_fma_mix_f32 v4, v4, v16, v18 op_sel:[0,1,0] op_sel_hi:[0,1,0]
	v_lshlrev_b32_e32 v14, 1, v19
	v_and_b32_e32 v16, 15, v19
	v_lshlrev_b64 v[9:10], 3, v[9:10]
	v_add_lshl_u32 v15, v236, v17, 3
	v_lshlrev_b32_e32 v17, 6, v13
	s_waitcnt lgkmcnt(1)
	v_fma_mix_f32 v13, v7, v11, 0 op_sel_hi:[0,1,0]
	v_and_or_b32 v14, 0x7e0, v14, v16
	v_fma_mix_f32 v11, v7, v11, 0 op_sel:[0,1,0] op_sel_hi:[0,1,0]
	v_add_co_u32 v9, vcc_lo, s0, v9
	v_add_co_ci_u32_e32 v10, vcc_lo, s1, v10, vcc_lo
	s_delay_alu instid0(VALU_DEP_4)
	v_mad_u32_u24 v16, 0x110, v14, 0
	s_waitcnt lgkmcnt(0)
	v_fma_mix_f32 v13, v8, v5, v13 op_sel_hi:[0,1,0]
	v_fma_mix_f32 v14, v8, v5, v11 op_sel:[0,1,0] op_sel_hi:[0,1,0]
	v_add_lshl_u32 v5, v236, v17, 3
	v_add_nc_u32_e32 v20, 15, v0
	v_add_nc_u32_e32 v11, v16, v141
	s_clause 0x2
	global_store_b64 v15, v[1:2], s[0:1]
	global_store_b64 v[9:10], v[3:4], off offset:256
	global_store_b64 v5, v[13:14], s[0:1]
	ds_load_2addr_stride64_b32 v[0:1], v16 offset0:1 offset1:18
	ds_load_2addr_b32 v[2:3], v11 offset1:32
	v_lshlrev_b32_e32 v9, 1, v20
	v_and_b32_e32 v10, 15, v20
	v_add_nc_u32_e32 v11, 0x1000, v11
	v_fma_mix_f32 v13, v7, v12, 0 op_sel_hi:[0,1,0]
	v_fma_mix_f32 v12, v7, v12, 0 op_sel:[0,1,0] op_sel_hi:[0,1,0]
	v_lshlrev_b32_e32 v19, 6, v19
	v_and_or_b32 v14, 0x7e0, v9, v10
	ds_load_2addr_b32 v[9:10], v11 offset0:64 offset1:96
	v_fma_mix_f32 v7, v8, v6, v13 op_sel_hi:[0,1,0]
	v_fma_mix_f32 v8, v8, v6, v12 op_sel:[0,1,0] op_sel_hi:[0,1,0]
	v_add_co_u32 v4, s3, v236, v17
	v_mad_u32_u24 v6, 0x110, v14, 0
	v_add_co_ci_u32_e64 v5, null, 0, 0, s3
	s_delay_alu instid0(VALU_DEP_2)
	v_add_nc_u32_e32 v15, v6, v141
	ds_load_2addr_stride64_b32 v[11:12], v6 offset0:1 offset1:18
	ds_load_2addr_b32 v[13:14], v15 offset1:32
	s_waitcnt lgkmcnt(3)
	v_fma_mix_f32 v21, v0, v2, 0 op_sel_hi:[0,1,0]
	v_fma_mix_f32 v22, v0, v2, 0 op_sel:[0,1,0] op_sel_hi:[0,1,0]
	v_add_nc_u32_e32 v2, 0x1000, v15
	v_add_co_u32 v15, s3, v236, v19
	s_delay_alu instid0(VALU_DEP_1)
	v_add_co_ci_u32_e64 v16, null, 0, 0, s3
	ds_load_2addr_b32 v[17:18], v2 offset0:64 offset1:96
	v_fma_mix_f32 v6, v0, v3, 0 op_sel_hi:[0,1,0]
	v_lshlrev_b64 v[4:5], 3, v[4:5]
	v_lshlrev_b64 v[15:16], 3, v[15:16]
	s_waitcnt lgkmcnt(3)
	v_fma_mix_f32 v2, v1, v9, v21 op_sel_hi:[0,1,0]
	v_fma_mix_f32 v21, v0, v3, 0 op_sel:[0,1,0] op_sel_hi:[0,1,0]
	v_fma_mix_f32 v0, v1, v10, v6 op_sel_hi:[0,1,0]
	v_lshlrev_b32_e32 v6, 6, v20
	v_add_co_u32 v4, vcc_lo, s0, v4
	v_add_co_ci_u32_e32 v5, vcc_lo, s1, v5, vcc_lo
	v_fma_mix_f32 v3, v1, v9, v22 op_sel:[0,1,0] op_sel_hi:[0,1,0]
	v_add_co_u32 v9, vcc_lo, s0, v15
	v_add_co_u32 v15, s3, v236, v6
	v_fma_mix_f32 v1, v1, v10, v21 op_sel:[0,1,0] op_sel_hi:[0,1,0]
	v_add_co_ci_u32_e32 v10, vcc_lo, s1, v16, vcc_lo
	v_add_co_ci_u32_e64 v16, null, 0, 0, s3
	s_waitcnt lgkmcnt(1)
	v_fma_mix_f32 v20, v11, v13, 0 op_sel_hi:[0,1,0]
	v_fma_mix_f32 v21, v11, v13, 0 op_sel:[0,1,0] op_sel_hi:[0,1,0]
	v_fma_mix_f32 v22, v11, v14, 0 op_sel:[0,1,0] op_sel_hi:[0,1,0]
	v_lshlrev_b64 v[15:16], 3, v[15:16]
	v_add_lshl_u32 v19, v236, v19, 3
	s_waitcnt lgkmcnt(0)
	v_fma_mix_f32 v13, v12, v17, v20 op_sel_hi:[0,1,0]
	v_fma_mix_f32 v20, v11, v14, 0 op_sel_hi:[0,1,0]
	v_fma_mix_f32 v14, v12, v17, v21 op_sel:[0,1,0] op_sel_hi:[0,1,0]
	v_add_lshl_u32 v6, v236, v6, 3
	v_add_co_u32 v15, vcc_lo, s0, v15
	s_delay_alu instid0(VALU_DEP_4)
	v_fma_mix_f32 v11, v12, v18, v20 op_sel_hi:[0,1,0]
	v_fma_mix_f32 v12, v12, v18, v22 op_sel:[0,1,0] op_sel_hi:[0,1,0]
	v_add_co_ci_u32_e32 v16, vcc_lo, s1, v16, vcc_lo
	s_clause 0x4
	global_store_b64 v[4:5], v[7:8], off offset:256
	global_store_b64 v19, v[2:3], s[0:1]
	global_store_b64 v[9:10], v[0:1], off offset:256
	global_store_b64 v6, v[13:14], s[0:1]
	global_store_b64 v[15:16], v[11:12], off offset:256
.LBB25_519:
	s_or_b32 exec_lo, exec_lo, s2
	s_waitcnt_vscnt null, 0x0
	s_barrier
	buffer_gl0_inv
	s_endpgm
	.section	.rodata,"a",@progbits
	.p2align	6, 0x0
	.amdhsa_kernel _ZL18flash_attn_ext_f16ILi128ELi128ELi2ELi8ELb1ELb0EEvPKcS1_S1_S1_S1_PKiPfP15HIP_vector_typeIfLj2EEffffjfiS5_IjLj3EEiiiiiiiiiiiliiliiiiil
		.amdhsa_group_segment_fixed_size 0
		.amdhsa_private_segment_fixed_size 788
		.amdhsa_kernarg_size 464
		.amdhsa_user_sgpr_count 15
		.amdhsa_user_sgpr_dispatch_ptr 0
		.amdhsa_user_sgpr_queue_ptr 0
		.amdhsa_user_sgpr_kernarg_segment_ptr 1
		.amdhsa_user_sgpr_dispatch_id 0
		.amdhsa_user_sgpr_private_segment_size 0
		.amdhsa_wavefront_size32 1
		.amdhsa_uses_dynamic_stack 0
		.amdhsa_enable_private_segment 1
		.amdhsa_system_sgpr_workgroup_id_x 1
		.amdhsa_system_sgpr_workgroup_id_y 0
		.amdhsa_system_sgpr_workgroup_id_z 0
		.amdhsa_system_sgpr_workgroup_info 0
		.amdhsa_system_vgpr_workitem_id 1
		.amdhsa_next_free_vgpr 256
		.amdhsa_next_free_sgpr 105
		.amdhsa_reserve_vcc 1
		.amdhsa_float_round_mode_32 0
		.amdhsa_float_round_mode_16_64 0
		.amdhsa_float_denorm_mode_32 3
		.amdhsa_float_denorm_mode_16_64 3
		.amdhsa_dx10_clamp 1
		.amdhsa_ieee_mode 1
		.amdhsa_fp16_overflow 0
		.amdhsa_workgroup_processor_mode 1
		.amdhsa_memory_ordered 1
		.amdhsa_forward_progress 0
		.amdhsa_shared_vgpr_count 0
		.amdhsa_exception_fp_ieee_invalid_op 0
		.amdhsa_exception_fp_denorm_src 0
		.amdhsa_exception_fp_ieee_div_zero 0
		.amdhsa_exception_fp_ieee_overflow 0
		.amdhsa_exception_fp_ieee_underflow 0
		.amdhsa_exception_fp_ieee_inexact 0
		.amdhsa_exception_int_div_zero 0
	.end_amdhsa_kernel
	.section	.text._ZL18flash_attn_ext_f16ILi128ELi128ELi2ELi8ELb1ELb0EEvPKcS1_S1_S1_S1_PKiPfP15HIP_vector_typeIfLj2EEffffjfiS5_IjLj3EEiiiiiiiiiiiliiliiiiil,"axG",@progbits,_ZL18flash_attn_ext_f16ILi128ELi128ELi2ELi8ELb1ELb0EEvPKcS1_S1_S1_S1_PKiPfP15HIP_vector_typeIfLj2EEffffjfiS5_IjLj3EEiiiiiiiiiiiliiliiiiil,comdat
.Lfunc_end25:
	.size	_ZL18flash_attn_ext_f16ILi128ELi128ELi2ELi8ELb1ELb0EEvPKcS1_S1_S1_S1_PKiPfP15HIP_vector_typeIfLj2EEffffjfiS5_IjLj3EEiiiiiiiiiiiliiliiiiil, .Lfunc_end25-_ZL18flash_attn_ext_f16ILi128ELi128ELi2ELi8ELb1ELb0EEvPKcS1_S1_S1_S1_PKiPfP15HIP_vector_typeIfLj2EEffffjfiS5_IjLj3EEiiiiiiiiiiiliiliiiiil
                                        ; -- End function
	.section	.AMDGPU.csdata,"",@progbits
; Kernel info:
; codeLenInByte = 82808
; NumSgprs: 107
; NumVgprs: 256
; ScratchSize: 788
; MemoryBound: 0
; FloatMode: 240
; IeeeMode: 1
; LDSByteSize: 0 bytes/workgroup (compile time only)
; SGPRBlocks: 13
; VGPRBlocks: 31
; NumSGPRsForWavesPerEU: 107
; NumVGPRsForWavesPerEU: 256
; Occupancy: 5
; WaveLimiterHint : 1
; COMPUTE_PGM_RSRC2:SCRATCH_EN: 1
; COMPUTE_PGM_RSRC2:USER_SGPR: 15
; COMPUTE_PGM_RSRC2:TRAP_HANDLER: 0
; COMPUTE_PGM_RSRC2:TGID_X_EN: 1
; COMPUTE_PGM_RSRC2:TGID_Y_EN: 0
; COMPUTE_PGM_RSRC2:TGID_Z_EN: 0
; COMPUTE_PGM_RSRC2:TIDIG_COMP_CNT: 1
	.section	.text._ZL33flash_attn_stream_k_fixup_uniformILi128ELi2ELi8EEvPfPK15HIP_vector_typeIfLj2EEiiiiiiS1_IjLj3EES5_S5_,"axG",@progbits,_ZL33flash_attn_stream_k_fixup_uniformILi128ELi2ELi8EEvPfPK15HIP_vector_typeIfLj2EEiiiiiiS1_IjLj3EES5_S5_,comdat
	.globl	_ZL33flash_attn_stream_k_fixup_uniformILi128ELi2ELi8EEvPfPK15HIP_vector_typeIfLj2EEiiiiiiS1_IjLj3EES5_S5_ ; -- Begin function _ZL33flash_attn_stream_k_fixup_uniformILi128ELi2ELi8EEvPfPK15HIP_vector_typeIfLj2EEiiiiiiS1_IjLj3EES5_S5_
	.p2align	8
	.type	_ZL33flash_attn_stream_k_fixup_uniformILi128ELi2ELi8EEvPfPK15HIP_vector_typeIfLj2EEiiiiiiS1_IjLj3EES5_S5_,@function
_ZL33flash_attn_stream_k_fixup_uniformILi128ELi2ELi8EEvPfPK15HIP_vector_typeIfLj2EEiiiiiiS1_IjLj3EES5_S5_: ; @_ZL33flash_attn_stream_k_fixup_uniformILi128ELi2ELi8EEvPfPK15HIP_vector_typeIfLj2EEiiiiiiS1_IjLj3EES5_S5_
; %bb.0:
	s_clause 0x1
	s_load_b256 s[4:11], s[0:1], 0x1c
	s_load_b128 s[16:19], s[0:1], 0x3c
	s_waitcnt lgkmcnt(0)
	s_mul_hi_u32 s2, s7, s13
	s_delay_alu instid0(SALU_CYCLE_1) | instskip(NEXT) | instid1(SALU_CYCLE_1)
	s_add_i32 s2, s13, s2
	s_lshr_b32 s2, s2, s8
	s_delay_alu instid0(SALU_CYCLE_1) | instskip(SKIP_2) | instid1(SALU_CYCLE_1)
	s_mul_i32 s3, s2, s9
	s_load_b64 s[8:9], s[0:1], 0x10
	s_sub_i32 s7, s13, s3
	s_mul_hi_u32 s3, s7, s10
	s_delay_alu instid0(SALU_CYCLE_1) | instskip(NEXT) | instid1(SALU_CYCLE_1)
	s_add_i32 s3, s7, s3
	s_lshr_b32 s3, s3, s11
	s_delay_alu instid0(SALU_CYCLE_1) | instskip(NEXT) | instid1(SALU_CYCLE_1)
	s_mul_i32 s10, s3, s16
	s_sub_i32 s7, s7, s10
	s_delay_alu instid0(SALU_CYCLE_1) | instskip(NEXT) | instid1(SALU_CYCLE_1)
	s_mul_hi_u32 s10, s7, s17
	s_add_i32 s10, s7, s10
	s_delay_alu instid0(SALU_CYCLE_1) | instskip(NEXT) | instid1(SALU_CYCLE_1)
	s_lshr_b32 s10, s10, s18
	s_mul_i32 s11, s10, s19
	s_lshl_b32 s10, s10, 3
	s_sub_i32 s7, s7, s11
	s_delay_alu instid0(SALU_CYCLE_1) | instskip(NEXT) | instid1(SALU_CYCLE_1)
	s_lshl_b32 s11, s7, 1
	s_add_i32 s11, s11, s14
	s_waitcnt lgkmcnt(0)
	s_cmp_lt_i32 s11, s8
	s_cselect_b32 s11, -1, 0
	s_add_i32 s12, s10, s15
	s_delay_alu instid0(SALU_CYCLE_1) | instskip(SKIP_1) | instid1(SALU_CYCLE_1)
	s_cmp_lt_i32 s12, s5
	s_cselect_b32 s12, -1, 0
	s_and_b32 s11, s11, s12
	s_delay_alu instid0(SALU_CYCLE_1)
	s_and_not1_b32 vcc_lo, exec_lo, s11
	s_cbranch_vccnz .LBB26_6
; %bb.1:
	s_mul_i32 s2, s2, s8
	s_mul_i32 s5, s3, s5
	s_add_i32 s2, s2, s14
	s_mul_i32 s7, s9, s7
	s_mul_i32 s2, s2, s9
	s_lshl_b32 s7, s7, 8
	s_add_i32 s8, s2, s15
	s_load_b128 s[0:3], s[0:1], 0x0
	s_add_i32 s5, s8, s5
	s_lshl_b32 s9, s14, 3
	s_add_i32 s5, s5, s10
	s_delay_alu instid0(SALU_CYCLE_1) | instskip(NEXT) | instid1(SALU_CYCLE_1)
	s_lshl_b32 s5, s5, 7
	s_add_i32 s7, s7, s5
	s_mul_i32 s5, s13, s6
	v_or_b32_e32 v1, s7, v0
	s_add_i32 s10, s5, s6
	s_delay_alu instid0(VALU_DEP_1) | instskip(NEXT) | instid1(VALU_DEP_1)
	v_ashrrev_i32_e32 v2, 31, v1
	v_lshlrev_b64 v[1:2], 2, v[1:2]
	s_waitcnt lgkmcnt(0)
	s_delay_alu instid0(VALU_DEP_1) | instskip(NEXT) | instid1(VALU_DEP_2)
	v_add_co_u32 v1, vcc_lo, s0, v1
	v_add_co_ci_u32_e32 v2, vcc_lo, s1, v2, vcc_lo
	s_add_i32 s0, s9, s15
	s_lshl_b32 s1, s10, 4
	s_delay_alu instid0(SALU_CYCLE_1) | instskip(SKIP_2) | instid1(SALU_CYCLE_1)
	s_add_i32 s0, s0, s1
	global_load_b32 v5, v[1:2], off
	s_add_i32 s0, s0, -16
	s_ashr_i32 s1, s0, 31
	s_delay_alu instid0(SALU_CYCLE_1) | instskip(NEXT) | instid1(SALU_CYCLE_1)
	s_lshl_b64 s[0:1], s[0:1], 3
	s_add_u32 s0, s2, s0
	s_addc_u32 s1, s3, s1
	s_add_i32 s7, s10, -2
	s_load_b32 s11, s[0:1], 0x4
	s_cmp_lt_i32 s7, s5
	s_cbranch_scc1 .LBB26_4
; %bb.2:
	s_lshl_b32 s16, s4, 6
	s_load_b32 s12, s[0:1], 0x0
	s_ashr_i32 s17, s16, 31
	s_delay_alu instid0(SALU_CYCLE_1) | instskip(NEXT) | instid1(SALU_CYCLE_1)
	s_lshl_b64 s[0:1], s[16:17], 2
	s_add_u32 s7, s2, s0
	s_addc_u32 s8, s3, s1
	s_add_i32 s13, s13, 1
	s_lshl_b32 s0, s14, 10
	s_lshl_b32 s1, s15, 7
	s_mul_i32 s6, s6, s13
	s_add_i32 s0, s1, s0
	s_lshl_b32 s1, s6, 11
	s_delay_alu instid0(SALU_CYCLE_1)
	s_add_i32 s0, s0, s1
	s_lshl_b32 s1, s6, 4
	v_or_b32_e32 v0, s0, v0
	s_lshl_b32 s0, s4, 4
	s_add_i32 s1, s15, s1
	s_waitcnt lgkmcnt(0)
	v_mov_b32_e32 v6, s11
	s_add_i32 s0, s1, s0
	v_dual_mov_b32 v0, s12 :: v_dual_add_nc_u32 v3, 0xfffff000, v0
	s_add_i32 s0, s0, s9
	s_add_i32 s4, s10, -1
	s_sub_i32 s0, s0, 32
.LBB26_3:                               ; =>This Inner Loop Header: Depth=1
	s_delay_alu instid0(VALU_DEP_1) | instskip(SKIP_1) | instid1(SALU_CYCLE_1)
	v_ashrrev_i32_e32 v4, 31, v3
	s_ashr_i32 s1, s0, 31
	s_lshl_b64 s[10:11], s[0:1], 3
	s_delay_alu instid0(SALU_CYCLE_1) | instskip(NEXT) | instid1(VALU_DEP_1)
	s_add_u32 s10, s2, s10
	v_lshlrev_b64 v[7:8], 2, v[3:4]
	s_addc_u32 s11, s3, s11
	s_add_i32 s4, s4, -1
	s_add_i32 s0, s0, -16
	s_cmp_le_i32 s4, s5
	s_load_b64 s[10:11], s[10:11], 0x0
	v_add_co_u32 v7, vcc_lo, s7, v7
	v_add_co_ci_u32_e32 v8, vcc_lo, s8, v8, vcc_lo
	global_load_b32 v4, v[7:8], off
	v_max_f32_e32 v7, v0, v0
	s_waitcnt lgkmcnt(0)
	v_max_f32_e64 v8, s10, s10
	s_delay_alu instid0(VALU_DEP_1) | instskip(NEXT) | instid1(VALU_DEP_1)
	v_max_f32_e32 v7, v7, v8
	v_sub_f32_e32 v8, s10, v7
	s_delay_alu instid0(VALU_DEP_1) | instskip(NEXT) | instid1(VALU_DEP_1)
	v_dual_sub_f32 v0, v0, v7 :: v_dual_mul_f32 v9, 0x3fb8aa3b, v8
	v_fma_f32 v10, 0x3fb8aa3b, v8, -v9
	v_rndne_f32_e32 v11, v9
	s_delay_alu instid0(VALU_DEP_3) | instskip(NEXT) | instid1(VALU_DEP_2)
	v_mul_f32_e32 v12, 0x3fb8aa3b, v0
	v_dual_fmac_f32 v10, 0x32a5705f, v8 :: v_dual_sub_f32 v9, v9, v11
	v_cvt_i32_f32_e32 v11, v11
	s_delay_alu instid0(VALU_DEP_3) | instskip(SKIP_1) | instid1(VALU_DEP_4)
	v_fma_f32 v13, 0x3fb8aa3b, v0, -v12
	v_rndne_f32_e32 v14, v12
	v_add_f32_e32 v9, v9, v10
	v_cmp_ngt_f32_e32 vcc_lo, 0xc2ce8ed0, v8
	s_delay_alu instid0(VALU_DEP_3) | instskip(NEXT) | instid1(VALU_DEP_3)
	v_sub_f32_e32 v10, v12, v14
	v_exp_f32_e32 v9, v9
	s_waitcnt_depctr 0xfff
	v_ldexp_f32 v9, v9, v11
	v_cvt_i32_f32_e32 v11, v14
	s_delay_alu instid0(VALU_DEP_2) | instskip(SKIP_1) | instid1(VALU_DEP_2)
	v_cndmask_b32_e32 v9, 0, v9, vcc_lo
	v_cmp_nlt_f32_e32 vcc_lo, 0x42b17218, v8
	v_cndmask_b32_e32 v9, 0x7f800000, v9, vcc_lo
	v_cmp_ngt_f32_e32 vcc_lo, 0xc2ce8ed0, v0
	v_fmac_f32_e32 v13, 0x32a5705f, v0
	s_delay_alu instid0(VALU_DEP_1) | instskip(NEXT) | instid1(VALU_DEP_1)
	v_add_f32_e32 v10, v10, v13
	v_exp_f32_e32 v10, v10
	s_waitcnt_depctr 0xfff
	v_ldexp_f32 v10, v10, v11
	s_delay_alu instid0(VALU_DEP_1)
	v_dual_mov_b32 v11, v6 :: v_dual_cndmask_b32 v10, 0, v10
	v_cmp_le_f32_e32 vcc_lo, 0xc1a00000, v8
	s_waitcnt vmcnt(1)
	v_dual_cndmask_b32 v8, 0, v9 :: v_dual_mov_b32 v9, v5
	v_cmp_nlt_f32_e32 vcc_lo, 0x42b17218, v0
	v_cndmask_b32_e32 v5, 0x7f800000, v10, vcc_lo
	s_delay_alu instid0(VALU_DEP_3) | instskip(SKIP_2) | instid1(VALU_DEP_3)
	v_mul_f32_e32 v10, s11, v8
	v_cmp_le_f32_e32 vcc_lo, 0xc1a00000, v0
	v_mov_b32_e32 v0, v7
	v_mov_b32_e32 v6, v10
	s_waitcnt vmcnt(0)
	v_dual_cndmask_b32 v12, 0, v5 :: v_dual_mul_f32 v5, v4, v8
	s_delay_alu instid0(VALU_DEP_1) | instskip(NEXT) | instid1(VALU_DEP_2)
	v_dual_fmac_f32 v6, v11, v12 :: v_dual_add_nc_u32 v3, 0xfffff800, v3
	v_fmac_f32_e32 v5, v9, v12
	s_cbranch_scc0 .LBB26_3
	s_branch .LBB26_5
.LBB26_4:
	s_waitcnt lgkmcnt(0)
	v_mov_b32_e32 v6, s11
.LBB26_5:
	s_waitcnt vmcnt(0)
	s_delay_alu instid0(VALU_DEP_1) | instskip(NEXT) | instid1(VALU_DEP_1)
	v_div_scale_f32 v0, null, v6, v6, v5
	v_rcp_f32_e32 v3, v0
	s_waitcnt_depctr 0xfff
	v_fma_f32 v4, -v0, v3, 1.0
	s_delay_alu instid0(VALU_DEP_1) | instskip(SKIP_1) | instid1(VALU_DEP_1)
	v_fmac_f32_e32 v3, v4, v3
	v_div_scale_f32 v4, vcc_lo, v5, v6, v5
	v_mul_f32_e32 v7, v4, v3
	s_delay_alu instid0(VALU_DEP_1) | instskip(NEXT) | instid1(VALU_DEP_1)
	v_fma_f32 v8, -v0, v7, v4
	v_fmac_f32_e32 v7, v8, v3
	s_delay_alu instid0(VALU_DEP_1) | instskip(NEXT) | instid1(VALU_DEP_1)
	v_fma_f32 v0, -v0, v7, v4
	v_div_fmas_f32 v0, v0, v3, v7
	s_delay_alu instid0(VALU_DEP_1)
	v_div_fixup_f32 v0, v0, v6, v5
	global_store_b32 v[1:2], v0, off
.LBB26_6:
	s_nop 0
	s_sendmsg sendmsg(MSG_DEALLOC_VGPRS)
	s_endpgm
	.section	.rodata,"a",@progbits
	.p2align	6, 0x0
	.amdhsa_kernel _ZL33flash_attn_stream_k_fixup_uniformILi128ELi2ELi8EEvPfPK15HIP_vector_typeIfLj2EEiiiiiiS1_IjLj3EES5_S5_
		.amdhsa_group_segment_fixed_size 0
		.amdhsa_private_segment_fixed_size 0
		.amdhsa_kernarg_size 76
		.amdhsa_user_sgpr_count 13
		.amdhsa_user_sgpr_dispatch_ptr 0
		.amdhsa_user_sgpr_queue_ptr 0
		.amdhsa_user_sgpr_kernarg_segment_ptr 1
		.amdhsa_user_sgpr_dispatch_id 0
		.amdhsa_user_sgpr_private_segment_size 0
		.amdhsa_wavefront_size32 1
		.amdhsa_uses_dynamic_stack 0
		.amdhsa_enable_private_segment 0
		.amdhsa_system_sgpr_workgroup_id_x 1
		.amdhsa_system_sgpr_workgroup_id_y 1
		.amdhsa_system_sgpr_workgroup_id_z 1
		.amdhsa_system_sgpr_workgroup_info 0
		.amdhsa_system_vgpr_workitem_id 0
		.amdhsa_next_free_vgpr 15
		.amdhsa_next_free_sgpr 20
		.amdhsa_reserve_vcc 1
		.amdhsa_float_round_mode_32 0
		.amdhsa_float_round_mode_16_64 0
		.amdhsa_float_denorm_mode_32 3
		.amdhsa_float_denorm_mode_16_64 3
		.amdhsa_dx10_clamp 1
		.amdhsa_ieee_mode 1
		.amdhsa_fp16_overflow 0
		.amdhsa_workgroup_processor_mode 1
		.amdhsa_memory_ordered 1
		.amdhsa_forward_progress 0
		.amdhsa_shared_vgpr_count 0
		.amdhsa_exception_fp_ieee_invalid_op 0
		.amdhsa_exception_fp_denorm_src 0
		.amdhsa_exception_fp_ieee_div_zero 0
		.amdhsa_exception_fp_ieee_overflow 0
		.amdhsa_exception_fp_ieee_underflow 0
		.amdhsa_exception_fp_ieee_inexact 0
		.amdhsa_exception_int_div_zero 0
	.end_amdhsa_kernel
	.section	.text._ZL33flash_attn_stream_k_fixup_uniformILi128ELi2ELi8EEvPfPK15HIP_vector_typeIfLj2EEiiiiiiS1_IjLj3EES5_S5_,"axG",@progbits,_ZL33flash_attn_stream_k_fixup_uniformILi128ELi2ELi8EEvPfPK15HIP_vector_typeIfLj2EEiiiiiiS1_IjLj3EES5_S5_,comdat
.Lfunc_end26:
	.size	_ZL33flash_attn_stream_k_fixup_uniformILi128ELi2ELi8EEvPfPK15HIP_vector_typeIfLj2EEiiiiiiS1_IjLj3EES5_S5_, .Lfunc_end26-_ZL33flash_attn_stream_k_fixup_uniformILi128ELi2ELi8EEvPfPK15HIP_vector_typeIfLj2EEiiiiiiS1_IjLj3EES5_S5_
                                        ; -- End function
	.section	.AMDGPU.csdata,"",@progbits
; Kernel info:
; codeLenInByte = 996
; NumSgprs: 22
; NumVgprs: 15
; ScratchSize: 0
; MemoryBound: 0
; FloatMode: 240
; IeeeMode: 1
; LDSByteSize: 0 bytes/workgroup (compile time only)
; SGPRBlocks: 2
; VGPRBlocks: 1
; NumSGPRsForWavesPerEU: 22
; NumVGPRsForWavesPerEU: 15
; Occupancy: 16
; WaveLimiterHint : 0
; COMPUTE_PGM_RSRC2:SCRATCH_EN: 0
; COMPUTE_PGM_RSRC2:USER_SGPR: 13
; COMPUTE_PGM_RSRC2:TRAP_HANDLER: 0
; COMPUTE_PGM_RSRC2:TGID_X_EN: 1
; COMPUTE_PGM_RSRC2:TGID_Y_EN: 1
; COMPUTE_PGM_RSRC2:TGID_Z_EN: 1
; COMPUTE_PGM_RSRC2:TIDIG_COMP_CNT: 0
	.section	.text._ZL33flash_attn_stream_k_fixup_generalILi128ELi2ELi8EEvPfPK15HIP_vector_typeIfLj2EEiiiiS1_IjLj3EES5_S5_S5_,"axG",@progbits,_ZL33flash_attn_stream_k_fixup_generalILi128ELi2ELi8EEvPfPK15HIP_vector_typeIfLj2EEiiiiS1_IjLj3EES5_S5_S5_,comdat
	.globl	_ZL33flash_attn_stream_k_fixup_generalILi128ELi2ELi8EEvPfPK15HIP_vector_typeIfLj2EEiiiiS1_IjLj3EES5_S5_S5_ ; -- Begin function _ZL33flash_attn_stream_k_fixup_generalILi128ELi2ELi8EEvPfPK15HIP_vector_typeIfLj2EEiiiiS1_IjLj3EES5_S5_S5_
	.p2align	8
	.type	_ZL33flash_attn_stream_k_fixup_generalILi128ELi2ELi8EEvPfPK15HIP_vector_typeIfLj2EEiiiiS1_IjLj3EES5_S5_S5_,@function
_ZL33flash_attn_stream_k_fixup_generalILi128ELi2ELi8EEvPfPK15HIP_vector_typeIfLj2EEiiiiS1_IjLj3EES5_S5_S5_: ; @_ZL33flash_attn_stream_k_fixup_generalILi128ELi2ELi8EEvPfPK15HIP_vector_typeIfLj2EEiiiiS1_IjLj3EES5_S5_S5_
; %bb.0:
	s_clause 0x1
	s_load_b128 s[4:7], s[0:1], 0x10
	s_load_b32 s20, s[0:1], 0x50
	s_mov_b32 s2, 0
	s_waitcnt lgkmcnt(0)
	s_mul_hi_i32 s3, s7, s13
	s_mul_i32 s12, s7, s13
	s_cmp_lg_u64 s[2:3], 0
	s_cbranch_scc0 .LBB27_21
; %bb.1:
	v_cvt_f32_ubyte0_e32 v1, 0
	v_cvt_f32_u32_e32 v2, s20
	s_sub_u32 s10, 0, s20
	s_subb_u32 s11, 0, 0
	s_delay_alu instid0(VALU_DEP_1) | instskip(NEXT) | instid1(VALU_DEP_1)
	v_fmamk_f32 v1, v1, 0x4f800000, v2
	v_rcp_f32_e32 v1, v1
	s_waitcnt_depctr 0xfff
	v_mul_f32_e32 v1, 0x5f7ffffc, v1
	s_delay_alu instid0(VALU_DEP_1) | instskip(NEXT) | instid1(VALU_DEP_1)
	v_mul_f32_e32 v2, 0x2f800000, v1
	v_trunc_f32_e32 v2, v2
	s_delay_alu instid0(VALU_DEP_1) | instskip(SKIP_1) | instid1(VALU_DEP_2)
	v_fmamk_f32 v1, v2, 0xcf800000, v1
	v_cvt_u32_f32_e32 v2, v2
	v_cvt_u32_f32_e32 v1, v1
	s_delay_alu instid0(VALU_DEP_2) | instskip(NEXT) | instid1(VALU_DEP_2)
	v_readfirstlane_b32 s8, v2
	v_readfirstlane_b32 s9, v1
	s_delay_alu instid0(VALU_DEP_2) | instskip(NEXT) | instid1(VALU_DEP_1)
	s_mul_i32 s16, s10, s8
	s_mul_hi_u32 s18, s10, s9
	s_mul_i32 s17, s11, s9
	s_add_i32 s16, s18, s16
	s_mul_i32 s19, s10, s9
	s_add_i32 s16, s16, s17
	s_mul_hi_u32 s18, s9, s19
	s_mul_hi_u32 s21, s8, s19
	s_mul_i32 s17, s8, s19
	s_mul_hi_u32 s19, s9, s16
	s_mul_i32 s9, s9, s16
	s_mul_hi_u32 s22, s8, s16
	s_add_u32 s9, s18, s9
	s_addc_u32 s18, 0, s19
	s_add_u32 s9, s9, s17
	s_mul_i32 s16, s8, s16
	s_addc_u32 s9, s18, s21
	s_addc_u32 s17, s22, 0
	s_add_u32 s9, s9, s16
	s_addc_u32 s16, 0, s17
	v_add_co_u32 v1, s9, v1, s9
	s_delay_alu instid0(VALU_DEP_1) | instskip(SKIP_1) | instid1(VALU_DEP_1)
	s_cmp_lg_u32 s9, 0
	s_addc_u32 s8, s8, s16
	v_readfirstlane_b32 s9, v1
	s_mul_i32 s16, s10, s8
	s_delay_alu instid0(VALU_DEP_1)
	s_mul_hi_u32 s17, s10, s9
	s_mul_i32 s11, s11, s9
	s_add_i32 s16, s17, s16
	s_mul_i32 s10, s10, s9
	s_add_i32 s16, s16, s11
	s_mul_hi_u32 s17, s8, s10
	s_mul_i32 s18, s8, s10
	s_mul_hi_u32 s10, s9, s10
	s_mul_hi_u32 s19, s9, s16
	s_mul_i32 s9, s9, s16
	s_mul_hi_u32 s11, s8, s16
	s_add_u32 s9, s10, s9
	s_addc_u32 s10, 0, s19
	s_add_u32 s9, s9, s18
	s_mul_i32 s16, s8, s16
	s_addc_u32 s9, s10, s17
	s_addc_u32 s10, s11, 0
	s_add_u32 s9, s9, s16
	s_addc_u32 s10, 0, s10
	v_add_co_u32 v1, s9, v1, s9
	s_delay_alu instid0(VALU_DEP_1) | instskip(SKIP_2) | instid1(SALU_CYCLE_1)
	s_cmp_lg_u32 s9, 0
	s_addc_u32 s16, s8, s10
	s_ashr_i32 s8, s3, 31
	s_add_u32 s10, s12, s8
	s_addc_u32 s11, s3, s8
	v_readfirstlane_b32 s3, v1
	s_mov_b32 s9, s8
	s_delay_alu instid0(SALU_CYCLE_1) | instskip(NEXT) | instid1(SALU_CYCLE_1)
	s_xor_b64 s[10:11], s[10:11], s[8:9]
	s_mul_i32 s18, s10, s16
	s_delay_alu instid0(VALU_DEP_1)
	s_mul_hi_u32 s19, s10, s3
	s_mul_hi_u32 s17, s10, s16
	;; [unrolled: 1-line block ×3, first 2 shown]
	s_mul_i32 s3, s11, s3
	s_add_u32 s18, s19, s18
	s_addc_u32 s17, 0, s17
	s_mul_hi_u32 s21, s11, s16
	s_add_u32 s3, s18, s3
	s_mul_i32 s16, s11, s16
	s_addc_u32 s3, s17, s22
	s_addc_u32 s17, s21, 0
	s_add_u32 s3, s3, s16
	s_addc_u32 s16, 0, s17
	s_mul_i32 s18, s20, s3
	s_add_u32 s17, s3, 1
	v_sub_co_u32 v1, s10, s10, s18
	s_mul_hi_u32 s18, s20, s3
	s_addc_u32 s19, s16, 0
	s_mul_i32 s21, s20, s16
	s_delay_alu instid0(VALU_DEP_1)
	v_sub_co_u32 v2, s22, v1, s20
	s_add_u32 s23, s3, 2
	s_addc_u32 s24, s16, 0
	s_add_i32 s18, s18, s21
	s_cmp_lg_u32 s10, 0
	v_readfirstlane_b32 s10, v2
	s_subb_u32 s11, s11, s18
	s_cmp_lg_u32 s22, 0
	s_subb_u32 s18, s11, 0
	s_delay_alu instid0(VALU_DEP_1) | instskip(SKIP_4) | instid1(SALU_CYCLE_1)
	s_cmp_ge_u32 s10, s20
	s_cselect_b32 s10, -1, 0
	s_cmp_eq_u32 s18, 0
	v_readfirstlane_b32 s18, v1
	s_cselect_b32 s10, s10, -1
	s_cmp_lg_u32 s10, 0
	s_cselect_b32 s10, s23, s17
	s_cselect_b32 s17, s24, s19
	s_cmp_ge_u32 s18, s20
	s_cselect_b32 s18, -1, 0
	s_cmp_eq_u32 s11, 0
	s_cselect_b32 s11, s18, -1
	s_delay_alu instid0(SALU_CYCLE_1) | instskip(SKIP_2) | instid1(SALU_CYCLE_1)
	s_cmp_lg_u32 s11, 0
	s_cselect_b32 s11, s17, s16
	s_cselect_b32 s10, s10, s3
	s_xor_b64 s[10:11], s[10:11], s[8:9]
	s_delay_alu instid0(SALU_CYCLE_1)
	s_sub_u32 s16, s10, s8
	s_load_b128 s[8:11], s[0:1], 0x44
	s_and_not1_b32 vcc_lo, exec_lo, s2
	s_cbranch_vccnz .LBB27_3
.LBB27_2:
	v_cvt_f32_u32_e32 v1, s20
	s_sub_i32 s3, 0, s20
	s_delay_alu instid0(VALU_DEP_1) | instskip(SKIP_2) | instid1(VALU_DEP_1)
	v_rcp_iflag_f32_e32 v1, v1
	s_waitcnt_depctr 0xfff
	v_mul_f32_e32 v1, 0x4f7ffffe, v1
	v_cvt_u32_f32_e32 v1, v1
	s_delay_alu instid0(VALU_DEP_1) | instskip(NEXT) | instid1(VALU_DEP_1)
	v_readfirstlane_b32 s2, v1
	s_mul_i32 s3, s3, s2
	s_delay_alu instid0(SALU_CYCLE_1) | instskip(NEXT) | instid1(SALU_CYCLE_1)
	s_mul_hi_u32 s3, s2, s3
	s_add_i32 s2, s2, s3
	s_delay_alu instid0(SALU_CYCLE_1) | instskip(NEXT) | instid1(SALU_CYCLE_1)
	s_mul_hi_u32 s2, s12, s2
	s_mul_i32 s3, s2, s20
	s_waitcnt lgkmcnt(0)
	s_add_i32 s11, s2, 1
	s_sub_i32 s3, s12, s3
	s_delay_alu instid0(SALU_CYCLE_1)
	s_sub_i32 s12, s3, s20
	s_cmp_ge_u32 s3, s20
	s_cselect_b32 s2, s11, s2
	s_cselect_b32 s3, s12, s3
	s_add_i32 s11, s2, 1
	s_cmp_ge_u32 s3, s20
	s_cselect_b32 s16, s11, s2
.LBB27_3:
	s_waitcnt lgkmcnt(0)
	s_add_i32 s11, s13, 1
	s_mov_b32 s2, 0
	s_mul_hi_i32 s3, s7, s11
	s_mul_i32 s11, s7, s11
	s_cmp_lg_u64 s[2:3], 0
	s_cbranch_scc0 .LBB27_22
; %bb.4:
	v_cvt_f32_ubyte0_e32 v1, 0
	v_cvt_f32_u32_e32 v2, s20
	s_sub_u32 s18, 0, s20
	s_subb_u32 s19, 0, 0
	s_delay_alu instid0(VALU_DEP_1) | instskip(NEXT) | instid1(VALU_DEP_1)
	v_fmamk_f32 v1, v1, 0x4f800000, v2
	v_rcp_f32_e32 v1, v1
	s_waitcnt_depctr 0xfff
	v_mul_f32_e32 v1, 0x5f7ffffc, v1
	s_delay_alu instid0(VALU_DEP_1) | instskip(NEXT) | instid1(VALU_DEP_1)
	v_mul_f32_e32 v2, 0x2f800000, v1
	v_trunc_f32_e32 v2, v2
	s_delay_alu instid0(VALU_DEP_1) | instskip(SKIP_1) | instid1(VALU_DEP_2)
	v_fmamk_f32 v1, v2, 0xcf800000, v1
	v_cvt_u32_f32_e32 v2, v2
	v_cvt_u32_f32_e32 v1, v1
	s_delay_alu instid0(VALU_DEP_2) | instskip(NEXT) | instid1(VALU_DEP_2)
	v_readfirstlane_b32 s12, v2
	v_readfirstlane_b32 s17, v1
	s_delay_alu instid0(VALU_DEP_2) | instskip(NEXT) | instid1(VALU_DEP_1)
	s_mul_i32 s21, s18, s12
	s_mul_hi_u32 s23, s18, s17
	s_mul_i32 s22, s19, s17
	s_add_i32 s21, s23, s21
	s_mul_i32 s24, s18, s17
	s_add_i32 s21, s21, s22
	s_mul_hi_u32 s23, s17, s24
	s_mul_hi_u32 s25, s12, s24
	s_mul_i32 s22, s12, s24
	s_mul_hi_u32 s24, s17, s21
	s_mul_i32 s17, s17, s21
	s_mul_hi_u32 s26, s12, s21
	s_add_u32 s17, s23, s17
	s_addc_u32 s23, 0, s24
	s_add_u32 s17, s17, s22
	s_mul_i32 s21, s12, s21
	s_addc_u32 s17, s23, s25
	s_addc_u32 s22, s26, 0
	s_add_u32 s17, s17, s21
	s_addc_u32 s21, 0, s22
	v_add_co_u32 v1, s17, v1, s17
	s_delay_alu instid0(VALU_DEP_1) | instskip(SKIP_1) | instid1(VALU_DEP_1)
	s_cmp_lg_u32 s17, 0
	s_addc_u32 s12, s12, s21
	v_readfirstlane_b32 s17, v1
	s_mul_i32 s21, s18, s12
	s_delay_alu instid0(VALU_DEP_1)
	s_mul_hi_u32 s22, s18, s17
	s_mul_i32 s19, s19, s17
	s_add_i32 s21, s22, s21
	s_mul_i32 s18, s18, s17
	s_add_i32 s21, s21, s19
	s_mul_hi_u32 s22, s12, s18
	s_mul_i32 s23, s12, s18
	s_mul_hi_u32 s18, s17, s18
	s_mul_hi_u32 s24, s17, s21
	s_mul_i32 s17, s17, s21
	s_mul_hi_u32 s19, s12, s21
	s_add_u32 s17, s18, s17
	s_addc_u32 s18, 0, s24
	s_add_u32 s17, s17, s23
	s_mul_i32 s21, s12, s21
	s_addc_u32 s17, s18, s22
	s_addc_u32 s18, s19, 0
	s_add_u32 s17, s17, s21
	s_addc_u32 s18, 0, s18
	v_add_co_u32 v1, s17, v1, s17
	s_delay_alu instid0(VALU_DEP_1) | instskip(SKIP_2) | instid1(SALU_CYCLE_1)
	s_cmp_lg_u32 s17, 0
	s_addc_u32 s12, s12, s18
	s_ashr_i32 s18, s3, 31
	s_add_u32 s22, s11, s18
	s_addc_u32 s23, s3, s18
	v_readfirstlane_b32 s3, v1
	s_mov_b32 s19, s18
	s_delay_alu instid0(SALU_CYCLE_1) | instskip(NEXT) | instid1(SALU_CYCLE_1)
	s_xor_b64 s[22:23], s[22:23], s[18:19]
	s_mul_i32 s21, s22, s12
	s_delay_alu instid0(VALU_DEP_1)
	s_mul_hi_u32 s24, s22, s3
	s_mul_hi_u32 s17, s22, s12
	;; [unrolled: 1-line block ×3, first 2 shown]
	s_mul_i32 s3, s23, s3
	s_add_u32 s21, s24, s21
	s_addc_u32 s17, 0, s17
	s_mul_hi_u32 s25, s23, s12
	s_add_u32 s3, s21, s3
	s_mul_i32 s12, s23, s12
	s_addc_u32 s3, s17, s26
	s_addc_u32 s17, s25, 0
	s_add_u32 s3, s3, s12
	s_addc_u32 s12, 0, s17
	s_mul_i32 s21, s20, s3
	s_add_u32 s17, s3, 1
	v_sub_co_u32 v1, s21, s22, s21
	s_mul_hi_u32 s22, s20, s3
	s_addc_u32 s24, s12, 0
	s_mul_i32 s25, s20, s12
	s_delay_alu instid0(VALU_DEP_1)
	v_sub_co_u32 v2, s26, v1, s20
	s_add_u32 s27, s3, 2
	s_addc_u32 s28, s12, 0
	s_add_i32 s22, s22, s25
	s_cmp_lg_u32 s21, 0
	v_readfirstlane_b32 s21, v2
	s_subb_u32 s22, s23, s22
	s_cmp_lg_u32 s26, 0
	s_subb_u32 s23, s22, 0
	s_delay_alu instid0(VALU_DEP_1) | instskip(SKIP_4) | instid1(SALU_CYCLE_1)
	s_cmp_ge_u32 s21, s20
	s_cselect_b32 s21, -1, 0
	s_cmp_eq_u32 s23, 0
	v_readfirstlane_b32 s23, v1
	s_cselect_b32 s21, s21, -1
	s_cmp_lg_u32 s21, 0
	s_cselect_b32 s17, s27, s17
	s_cselect_b32 s21, s28, s24
	s_cmp_ge_u32 s23, s20
	s_cselect_b32 s23, -1, 0
	s_cmp_eq_u32 s22, 0
	s_cselect_b32 s22, s23, -1
	s_delay_alu instid0(SALU_CYCLE_1) | instskip(SKIP_2) | instid1(SALU_CYCLE_1)
	s_cmp_lg_u32 s22, 0
	s_cselect_b32 s23, s21, s12
	s_cselect_b32 s22, s17, s3
	s_xor_b64 s[22:23], s[22:23], s[18:19]
	s_delay_alu instid0(SALU_CYCLE_1)
	s_sub_u32 s18, s22, s18
	s_and_not1_b32 vcc_lo, exec_lo, s2
	s_cbranch_vccnz .LBB27_6
.LBB27_5:
	v_cvt_f32_u32_e32 v1, s20
	s_sub_i32 s3, 0, s20
	s_delay_alu instid0(VALU_DEP_1) | instskip(SKIP_2) | instid1(VALU_DEP_1)
	v_rcp_iflag_f32_e32 v1, v1
	s_waitcnt_depctr 0xfff
	v_mul_f32_e32 v1, 0x4f7ffffe, v1
	v_cvt_u32_f32_e32 v1, v1
	s_delay_alu instid0(VALU_DEP_1) | instskip(NEXT) | instid1(VALU_DEP_1)
	v_readfirstlane_b32 s2, v1
	s_mul_i32 s3, s3, s2
	s_delay_alu instid0(SALU_CYCLE_1) | instskip(NEXT) | instid1(SALU_CYCLE_1)
	s_mul_hi_u32 s3, s2, s3
	s_add_i32 s2, s2, s3
	s_delay_alu instid0(SALU_CYCLE_1) | instskip(NEXT) | instid1(SALU_CYCLE_1)
	s_mul_hi_u32 s2, s11, s2
	s_mul_i32 s3, s2, s20
	s_delay_alu instid0(SALU_CYCLE_1)
	s_sub_i32 s3, s11, s3
	s_add_i32 s11, s2, 1
	s_sub_i32 s12, s3, s20
	s_cmp_ge_u32 s3, s20
	s_cselect_b32 s2, s11, s2
	s_cselect_b32 s3, s12, s3
	s_add_i32 s11, s2, 1
	s_cmp_ge_u32 s3, s20
	s_cselect_b32 s18, s11, s2
.LBB27_6:
	s_delay_alu instid0(SALU_CYCLE_1) | instskip(SKIP_3) | instid1(SALU_CYCLE_1)
	s_cmp_eq_u32 s16, s18
	s_mul_hi_u32 s2, s16, s8
	s_cselect_b32 s3, -1, 0
	s_add_i32 s2, s2, s16
	s_lshr_b32 s11, s2, s9
	s_delay_alu instid0(SALU_CYCLE_1) | instskip(NEXT) | instid1(SALU_CYCLE_1)
	s_mul_i32 s2, s11, s10
	s_cmp_eq_u32 s2, s16
	s_mul_hi_u32 s2, s18, s8
	s_cselect_b32 s12, -1, 0
	s_add_i32 s2, s2, s18
	s_delay_alu instid0(SALU_CYCLE_1) | instskip(NEXT) | instid1(SALU_CYCLE_1)
	s_lshr_b32 s2, s2, s9
	s_cmp_eq_u32 s11, s2
	s_mul_i32 s2, s2, s10
	s_cselect_b32 s17, -1, 0
	s_cmp_lg_u32 s2, s18
	s_cselect_b32 s2, -1, 0
	s_or_b32 s3, s3, s12
	s_and_b32 s2, s17, s2
	s_delay_alu instid0(SALU_CYCLE_1) | instskip(NEXT) | instid1(SALU_CYCLE_1)
	s_or_b32 s2, s3, s2
	s_and_b32 vcc_lo, exec_lo, s2
	s_cbranch_vccnz .LBB27_24
; %bb.7:
	s_load_b256 s[24:31], s[0:1], 0x20
	s_waitcnt lgkmcnt(0)
	s_mul_hi_u32 s2, s16, s24
	s_delay_alu instid0(SALU_CYCLE_1) | instskip(NEXT) | instid1(SALU_CYCLE_1)
	s_add_i32 s2, s2, s16
	s_lshr_b32 s17, s2, s25
	s_load_b32 s2, s[0:1], 0x40
	s_mul_i32 s3, s17, s26
	s_delay_alu instid0(SALU_CYCLE_1) | instskip(NEXT) | instid1(SALU_CYCLE_1)
	s_sub_i32 s3, s16, s3
	s_mul_hi_u32 s12, s3, s27
	s_delay_alu instid0(SALU_CYCLE_1) | instskip(NEXT) | instid1(SALU_CYCLE_1)
	s_add_i32 s12, s3, s12
	s_lshr_b32 s21, s12, s28
	s_delay_alu instid0(SALU_CYCLE_1) | instskip(NEXT) | instid1(SALU_CYCLE_1)
	s_mul_i32 s12, s21, s29
	s_sub_i32 s3, s3, s12
	s_delay_alu instid0(SALU_CYCLE_1) | instskip(NEXT) | instid1(SALU_CYCLE_1)
	s_mul_hi_u32 s12, s3, s30
	s_add_i32 s12, s3, s12
	s_delay_alu instid0(SALU_CYCLE_1)
	s_lshr_b32 s12, s12, s31
	s_waitcnt lgkmcnt(0)
	s_mul_i32 s2, s12, s2
	s_lshl_b32 s23, s12, 3
	s_sub_i32 s2, s3, s2
	s_mov_b32 s12, 0
	s_mul_hi_u32 s3, s2, s8
	s_delay_alu instid0(SALU_CYCLE_1) | instskip(NEXT) | instid1(SALU_CYCLE_1)
	s_add_i32 s2, s2, s3
	s_lshr_b32 s22, s2, s9
	s_delay_alu instid0(SALU_CYCLE_1) | instskip(NEXT) | instid1(SALU_CYCLE_1)
	s_lshl_b32 s2, s22, 1
	s_add_i32 s2, s2, s14
	s_delay_alu instid0(SALU_CYCLE_1) | instskip(SKIP_2) | instid1(SALU_CYCLE_1)
	s_cmp_lt_i32 s2, s4
	s_cselect_b32 s2, -1, 0
	s_add_i32 s3, s23, s15
	s_cmp_lt_i32 s3, s6
	s_cselect_b32 s3, -1, 0
	s_delay_alu instid0(SALU_CYCLE_1) | instskip(NEXT) | instid1(SALU_CYCLE_1)
	s_and_b32 s2, s2, s3
	s_and_not1_b32 vcc_lo, exec_lo, s2
	s_cbranch_vccnz .LBB27_24
; %bb.8:
	s_load_b128 s[0:3], s[0:1], 0x0
	s_lshl_b32 s18, s20, 6
	s_mov_b32 s19, s12
	s_lshl_b32 s24, s14, 3
	s_lshl_b64 s[18:19], s[18:19], 2
	s_mul_i32 s4, s17, s4
	s_add_i32 s17, s24, s15
	s_mul_i32 s21, s21, s6
	v_cvt_f32_ubyte0_e32 v4, 0
	v_cvt_f32_u32_e32 v5, s20
	s_waitcnt lgkmcnt(0)
	s_add_u32 s18, s2, s18
	s_addc_u32 s19, s3, s19
	s_add_i32 s4, s4, s14
	s_delay_alu instid0(SALU_CYCLE_1) | instskip(SKIP_4) | instid1(SALU_CYCLE_1)
	s_mul_i32 s4, s4, s5
	s_mul_i32 s5, s5, s22
	s_add_i32 s4, s4, s15
	s_lshl_b32 s5, s5, 8
	s_add_i32 s4, s4, s21
	s_add_i32 s4, s4, s23
	s_delay_alu instid0(SALU_CYCLE_1) | instskip(NEXT) | instid1(SALU_CYCLE_1)
	s_lshl_b32 s4, s4, 7
	s_add_i32 s5, s5, s4
	s_delay_alu instid0(SALU_CYCLE_1) | instskip(SKIP_1) | instid1(VALU_DEP_2)
	v_or_b32_e32 v1, s5, v0
	v_lshl_or_b32 v0, s17, 7, v0
	v_ashrrev_i32_e32 v2, 31, v1
	s_delay_alu instid0(VALU_DEP_1) | instskip(NEXT) | instid1(VALU_DEP_1)
	v_lshlrev_b64 v[1:2], 2, v[1:2]
	v_add_co_u32 v1, vcc_lo, s0, v1
	s_delay_alu instid0(VALU_DEP_2) | instskip(SKIP_1) | instid1(SALU_CYCLE_1)
	v_add_co_ci_u32_e32 v2, vcc_lo, s1, v2, vcc_lo
	s_lshl_b32 s0, s13, 4
	s_add_i32 s0, s17, s0
	global_load_b32 v3, v[1:2], off
	s_ashr_i32 s1, s0, 31
	s_delay_alu instid0(SALU_CYCLE_1) | instskip(NEXT) | instid1(SALU_CYCLE_1)
	s_lshl_b64 s[0:1], s[0:1], 3
	s_add_u32 s0, s2, s0
	s_addc_u32 s1, s3, s1
	s_add_i32 s14, s13, -1
	s_load_b64 s[0:1], s[0:1], 0x0
	v_fmac_f32_e32 v5, 0x4f800000, v4
	s_sub_i32 s6, 0, s20
	s_waitcnt lgkmcnt(0)
	v_mov_b32_e32 v8, s0
	s_delay_alu instid0(VALU_DEP_2) | instskip(SKIP_2) | instid1(VALU_DEP_2)
	v_rcp_f32_e32 v4, v5
	v_cvt_f32_u32_e32 v5, s20
	v_mov_b32_e32 v7, s1
	v_rcp_iflag_f32_e32 v5, v5
	s_waitcnt_depctr 0xfff
	v_mul_f32_e32 v4, 0x5f7ffffc, v4
	s_delay_alu instid0(VALU_DEP_1) | instskip(SKIP_1) | instid1(VALU_DEP_2)
	v_mul_f32_e32 v6, 0x2f800000, v4
	v_mul_f32_e32 v9, 0x4f7ffffe, v5
	v_trunc_f32_e32 v6, v6
	s_delay_alu instid0(VALU_DEP_1) | instskip(SKIP_1) | instid1(VALU_DEP_4)
	v_fmac_f32_e32 v4, 0xcf800000, v6
	v_cvt_u32_f32_e32 v5, v6
	v_cvt_u32_f32_e32 v6, v9
	s_delay_alu instid0(VALU_DEP_3)
	v_cvt_u32_f32_e32 v4, v4
.LBB27_9:                               ; =>This Inner Loop Header: Depth=1
	s_mul_hi_i32 s13, s14, s7
	s_mul_i32 s4, s14, s7
	s_cmp_lg_u64 s[12:13], 0
	s_mov_b32 s5, -1
                                        ; implicit-def: $sgpr0_sgpr1
	s_cbranch_scc0 .LBB27_11
; %bb.10:                               ;   in Loop: Header=BB27_9 Depth=1
	v_readfirstlane_b32 s0, v4
	v_readfirstlane_b32 s1, v5
	s_sub_u32 s5, 0, s20
	s_subb_u32 s15, 0, 0
	s_delay_alu instid0(VALU_DEP_2) | instskip(NEXT) | instid1(VALU_DEP_1)
	s_mul_hi_u32 s21, s5, s0
	s_mul_i32 s22, s5, s1
	s_mul_i32 s23, s15, s0
	s_add_i32 s21, s21, s22
	s_mul_i32 s22, s5, s0
	s_add_i32 s21, s21, s23
	s_mul_hi_u32 s23, s0, s22
	s_mul_i32 s24, s0, s21
	s_mul_hi_u32 s0, s0, s21
	s_add_u32 s23, s23, s24
	s_mul_i32 s25, s1, s22
	s_addc_u32 s0, 0, s0
	s_mul_hi_u32 s22, s1, s22
	s_mul_hi_u32 s24, s1, s21
	s_add_u32 s23, s23, s25
	s_addc_u32 s0, s0, s22
	s_mul_i32 s21, s1, s21
	s_addc_u32 s22, s24, 0
	s_add_u32 s0, s0, s21
	s_addc_u32 s21, 0, s22
	v_add_co_u32 v9, s0, v4, s0
	s_delay_alu instid0(VALU_DEP_1) | instskip(SKIP_1) | instid1(VALU_DEP_1)
	s_cmp_lg_u32 s0, 0
	s_addc_u32 s1, s1, s21
	v_readfirstlane_b32 s0, v9
	s_mul_i32 s21, s5, s1
	s_delay_alu instid0(VALU_DEP_1)
	s_mul_hi_u32 s22, s5, s0
	s_mul_i32 s15, s15, s0
	s_add_i32 s21, s22, s21
	s_mul_i32 s5, s5, s0
	s_add_i32 s21, s21, s15
	s_mul_hi_u32 s15, s1, s5
	s_mul_i32 s23, s1, s5
	s_mul_i32 s24, s0, s21
	s_mul_hi_u32 s5, s0, s5
	s_mul_hi_u32 s0, s0, s21
	s_add_u32 s5, s5, s24
	s_addc_u32 s0, 0, s0
	s_mul_hi_u32 s22, s1, s21
	s_add_u32 s5, s5, s23
	s_addc_u32 s0, s0, s15
	s_mul_i32 s5, s1, s21
	s_addc_u32 s15, s22, 0
	s_add_u32 s0, s0, s5
	s_addc_u32 s5, 0, s15
	v_add_co_u32 v9, s0, v9, s0
	s_delay_alu instid0(VALU_DEP_1) | instskip(SKIP_2) | instid1(SALU_CYCLE_1)
	s_cmp_lg_u32 s0, 0
	s_addc_u32 s5, s1, s5
	s_ashr_i32 s0, s13, 31
	s_add_u32 s22, s4, s0
	s_addc_u32 s23, s13, s0
	v_readfirstlane_b32 s13, v9
	s_mov_b32 s1, s0
	s_delay_alu instid0(SALU_CYCLE_1) | instskip(NEXT) | instid1(SALU_CYCLE_1)
	s_xor_b64 s[22:23], s[22:23], s[0:1]
	s_mul_i32 s15, s22, s5
	s_delay_alu instid0(VALU_DEP_1)
	s_mul_hi_u32 s21, s22, s13
	s_mul_hi_u32 s24, s22, s5
	s_add_u32 s15, s21, s15
	s_mul_i32 s25, s23, s13
	s_addc_u32 s21, 0, s24
	s_mul_hi_u32 s13, s23, s13
	s_mul_hi_u32 s24, s23, s5
	s_add_u32 s15, s15, s25
	s_addc_u32 s13, s21, s13
	s_mul_i32 s5, s23, s5
	s_addc_u32 s15, s24, 0
	s_add_u32 s5, s13, s5
	s_addc_u32 s13, 0, s15
	s_mul_i32 s21, s20, s5
	s_add_u32 s15, s5, 1
	v_sub_co_u32 v9, s21, s22, s21
	s_addc_u32 s22, s13, 0
	s_mul_i32 s25, s20, s13
	s_mul_hi_u32 s27, s20, s5
	s_delay_alu instid0(VALU_DEP_1)
	v_sub_co_u32 v10, s26, v9, s20
	s_add_u32 s24, s5, 2
	s_addc_u32 s28, s13, 0
	s_add_i32 s27, s27, s25
	s_cmp_lg_u32 s21, 0
	v_readfirstlane_b32 s21, v10
	s_subb_u32 s23, s23, s27
	s_cmp_lg_u32 s26, 0
	s_subb_u32 s25, s23, 0
	s_delay_alu instid0(VALU_DEP_1) | instskip(SKIP_4) | instid1(SALU_CYCLE_1)
	s_cmp_ge_u32 s21, s20
	s_cselect_b32 s21, -1, 0
	s_cmp_eq_u32 s25, 0
	v_readfirstlane_b32 s25, v9
	s_cselect_b32 s21, s21, -1
	s_cmp_lg_u32 s21, 0
	s_cselect_b32 s15, s24, s15
	s_cselect_b32 s21, s28, s22
	s_cmp_ge_u32 s25, s20
	s_cselect_b32 s22, -1, 0
	s_cmp_eq_u32 s23, 0
	s_cselect_b32 s22, s22, -1
	s_delay_alu instid0(SALU_CYCLE_1) | instskip(SKIP_4) | instid1(SALU_CYCLE_1)
	s_cmp_lg_u32 s22, 0
	s_cselect_b32 s23, s21, s13
	s_cselect_b32 s22, s15, s5
	s_mov_b32 s5, 0
	s_xor_b64 s[22:23], s[22:23], s[0:1]
	s_sub_u32 s0, s22, s0
.LBB27_11:                              ;   in Loop: Header=BB27_9 Depth=1
	s_and_not1_b32 vcc_lo, exec_lo, s5
	s_cbranch_vccnz .LBB27_13
; %bb.12:                               ;   in Loop: Header=BB27_9 Depth=1
	v_readfirstlane_b32 s0, v6
	s_delay_alu instid0(VALU_DEP_1) | instskip(NEXT) | instid1(SALU_CYCLE_1)
	s_mul_i32 s1, s6, s0
	s_mul_hi_u32 s1, s0, s1
	s_delay_alu instid0(SALU_CYCLE_1) | instskip(NEXT) | instid1(SALU_CYCLE_1)
	s_add_i32 s0, s0, s1
	s_mul_hi_u32 s0, s4, s0
	s_delay_alu instid0(SALU_CYCLE_1) | instskip(NEXT) | instid1(SALU_CYCLE_1)
	s_mul_i32 s1, s0, s20
	s_sub_i32 s1, s4, s1
	s_add_i32 s4, s0, 1
	s_sub_i32 s5, s1, s20
	s_cmp_ge_u32 s1, s20
	s_cselect_b32 s0, s4, s0
	s_cselect_b32 s1, s5, s1
	s_add_i32 s4, s0, 1
	s_cmp_ge_u32 s1, s20
	s_cselect_b32 s0, s4, s0
.LBB27_13:                              ;   in Loop: Header=BB27_9 Depth=1
	s_delay_alu instid0(SALU_CYCLE_1)
	s_cmp_lg_u32 s16, s0
	s_cbranch_scc0 .LBB27_17
; %bb.14:                               ;   in Loop: Header=BB27_9 Depth=1
	s_add_i32 s1, s14, s20
	s_mov_b32 s5, s12
	s_lshl_b32 s1, s1, 4
	s_mov_b32 s15, s16
	s_add_i32 s4, s1, s17
	s_mul_hi_u32 s1, s0, s8
	s_lshl_b64 s[4:5], s[4:5], 3
	s_delay_alu instid0(SALU_CYCLE_1) | instskip(SKIP_2) | instid1(SALU_CYCLE_1)
	s_add_u32 s4, s2, s4
	s_addc_u32 s5, s3, s5
	s_add_i32 s1, s1, s0
	s_lshr_b32 s1, s1, s9
	s_delay_alu instid0(SALU_CYCLE_1) | instskip(NEXT) | instid1(SALU_CYCLE_1)
	s_mul_i32 s13, s1, s10
	s_cmp_eq_u32 s13, s0
	s_cselect_b32 s13, -1, 0
	s_cmp_lt_u32 s1, s11
	s_cselect_b32 s1, -1, 0
	s_delay_alu instid0(SALU_CYCLE_1)
	s_or_b32 s1, s1, s13
	s_mov_b32 s13, -1
	s_and_b32 vcc_lo, exec_lo, s1
	s_mov_b32 s1, s14
	s_cbranch_vccnz .LBB27_16
; %bb.15:                               ;   in Loop: Header=BB27_9 Depth=1
	s_add_i32 s1, s14, -1
	s_mov_b32 s13, 0
	s_mov_b32 s15, s0
.LBB27_16:                              ;   in Loop: Header=BB27_9 Depth=1
	v_lshl_add_u32 v9, s14, 11, v0
	s_load_b64 s[4:5], s[4:5], 0x0
	s_delay_alu instid0(VALU_DEP_1) | instskip(NEXT) | instid1(VALU_DEP_1)
	v_ashrrev_i32_e32 v10, 31, v9
	v_lshlrev_b64 v[9:10], 2, v[9:10]
	s_delay_alu instid0(VALU_DEP_1) | instskip(NEXT) | instid1(VALU_DEP_2)
	v_add_co_u32 v9, vcc_lo, s18, v9
	v_add_co_ci_u32_e32 v10, vcc_lo, s19, v10, vcc_lo
	s_waitcnt lgkmcnt(0)
	v_max_f32_e64 v11, s4, s4
	global_load_b32 v10, v[9:10], off
	v_max_f32_e32 v9, v8, v8
	s_delay_alu instid0(VALU_DEP_1) | instskip(NEXT) | instid1(VALU_DEP_1)
	v_max_f32_e32 v9, v9, v11
	v_sub_f32_e32 v12, v8, v9
	s_delay_alu instid0(VALU_DEP_1) | instskip(NEXT) | instid1(VALU_DEP_1)
	v_dual_mul_f32 v14, 0x3fb8aa3b, v12 :: v_dual_sub_f32 v11, s4, v9
	v_rndne_f32_e32 v18, v14
	s_delay_alu instid0(VALU_DEP_2) | instskip(SKIP_2) | instid1(VALU_DEP_4)
	v_mul_f32_e32 v13, 0x3fb8aa3b, v11
	v_fma_f32 v17, 0x3fb8aa3b, v12, -v14
	v_cmp_ngt_f32_e32 vcc_lo, 0xc2ce8ed0, v11
	v_sub_f32_e32 v14, v14, v18
	s_delay_alu instid0(VALU_DEP_4) | instskip(SKIP_2) | instid1(VALU_DEP_3)
	v_fma_f32 v15, 0x3fb8aa3b, v11, -v13
	v_rndne_f32_e32 v16, v13
	v_fmac_f32_e32 v17, 0x32a5705f, v12
	v_fmac_f32_e32 v15, 0x32a5705f, v11
	s_delay_alu instid0(VALU_DEP_2) | instskip(NEXT) | instid1(VALU_DEP_1)
	v_dual_sub_f32 v13, v13, v16 :: v_dual_add_f32 v14, v14, v17
	v_add_f32_e32 v13, v13, v15
	s_delay_alu instid0(VALU_DEP_2) | instskip(SKIP_2) | instid1(VALU_DEP_3)
	v_exp_f32_e32 v14, v14
	v_cvt_i32_f32_e32 v15, v16
	v_cvt_i32_f32_e32 v16, v18
	v_exp_f32_e32 v13, v13
	s_waitcnt_depctr 0xfff
	v_ldexp_f32 v14, v14, v16
	v_ldexp_f32 v13, v13, v15
	s_delay_alu instid0(VALU_DEP_1) | instskip(SKIP_1) | instid1(VALU_DEP_4)
	v_cndmask_b32_e32 v13, 0, v13, vcc_lo
	v_cmp_ngt_f32_e32 vcc_lo, 0xc2ce8ed0, v12
	v_cndmask_b32_e32 v14, 0, v14, vcc_lo
	v_cmp_nlt_f32_e32 vcc_lo, 0x42b17218, v11
	s_delay_alu instid0(VALU_DEP_4) | instskip(SKIP_1) | instid1(VALU_DEP_4)
	v_cndmask_b32_e32 v13, 0x7f800000, v13, vcc_lo
	v_cmp_nlt_f32_e32 vcc_lo, 0x42b17218, v12
	v_cndmask_b32_e32 v14, 0x7f800000, v14, vcc_lo
	v_cmp_le_f32_e32 vcc_lo, 0xc1a00000, v11
	s_delay_alu instid0(VALU_DEP_4) | instskip(SKIP_1) | instid1(VALU_DEP_4)
	v_cndmask_b32_e32 v11, 0, v13, vcc_lo
	v_cmp_le_f32_e32 vcc_lo, 0xc1a00000, v12
	v_cndmask_b32_e32 v12, 0, v14, vcc_lo
	s_waitcnt vmcnt(0)
	s_delay_alu instid0(VALU_DEP_3) | instskip(NEXT) | instid1(VALU_DEP_1)
	v_mul_f32_e32 v10, v10, v11
	v_dual_mul_f32 v11, s5, v11 :: v_dual_fmac_f32 v10, v3, v12
	s_delay_alu instid0(VALU_DEP_1)
	v_fmac_f32_e32 v11, v7, v12
	s_cbranch_execz .LBB27_18
	s_branch .LBB27_19
.LBB27_17:                              ;   in Loop: Header=BB27_9 Depth=1
                                        ; implicit-def: $sgpr13
                                        ; implicit-def: $vgpr10
                                        ; implicit-def: $vgpr9
                                        ; implicit-def: $vgpr11
                                        ; implicit-def: $sgpr1
                                        ; implicit-def: $sgpr15
.LBB27_18:                              ;   in Loop: Header=BB27_9 Depth=1
	v_mov_b32_e32 v11, v7
	s_waitcnt vmcnt(0)
	v_dual_mov_b32 v9, v8 :: v_dual_mov_b32 v10, v3
	s_add_i32 s1, s14, -1
	s_mov_b32 s13, 0
	s_mov_b32 s15, s16
.LBB27_19:                              ;   in Loop: Header=BB27_9 Depth=1
	s_and_not1_b32 vcc_lo, exec_lo, s13
	s_cbranch_vccz .LBB27_23
; %bb.20:                               ;   in Loop: Header=BB27_9 Depth=1
	v_dual_mov_b32 v7, v11 :: v_dual_mov_b32 v8, v9
	s_waitcnt vmcnt(0)
	v_mov_b32_e32 v3, v10
	s_mov_b32 s16, s15
	s_mov_b32 s14, s1
	s_branch .LBB27_9
.LBB27_21:
                                        ; implicit-def: $sgpr16_sgpr17
	s_load_b128 s[8:11], s[0:1], 0x44
	s_branch .LBB27_2
.LBB27_22:
                                        ; implicit-def: $sgpr18_sgpr19
	s_branch .LBB27_5
.LBB27_23:
	v_div_scale_f32 v0, null, v11, v11, v10
	s_waitcnt vmcnt(0)
	s_delay_alu instid0(VALU_DEP_1) | instskip(SKIP_2) | instid1(VALU_DEP_1)
	v_rcp_f32_e32 v3, v0
	s_waitcnt_depctr 0xfff
	v_fma_f32 v4, -v0, v3, 1.0
	v_fmac_f32_e32 v3, v4, v3
	v_div_scale_f32 v4, vcc_lo, v10, v11, v10
	s_delay_alu instid0(VALU_DEP_1) | instskip(NEXT) | instid1(VALU_DEP_1)
	v_mul_f32_e32 v5, v4, v3
	v_fma_f32 v6, -v0, v5, v4
	s_delay_alu instid0(VALU_DEP_1) | instskip(NEXT) | instid1(VALU_DEP_1)
	v_fmac_f32_e32 v5, v6, v3
	v_fma_f32 v0, -v0, v5, v4
	s_delay_alu instid0(VALU_DEP_1) | instskip(NEXT) | instid1(VALU_DEP_1)
	v_div_fmas_f32 v0, v0, v3, v5
	v_div_fixup_f32 v0, v0, v11, v10
	global_store_b32 v[1:2], v0, off
.LBB27_24:
	s_nop 0
	s_sendmsg sendmsg(MSG_DEALLOC_VGPRS)
	s_endpgm
	.section	.rodata,"a",@progbits
	.p2align	6, 0x0
	.amdhsa_kernel _ZL33flash_attn_stream_k_fixup_generalILi128ELi2ELi8EEvPfPK15HIP_vector_typeIfLj2EEiiiiS1_IjLj3EES5_S5_S5_
		.amdhsa_group_segment_fixed_size 0
		.amdhsa_private_segment_fixed_size 0
		.amdhsa_kernarg_size 336
		.amdhsa_user_sgpr_count 13
		.amdhsa_user_sgpr_dispatch_ptr 0
		.amdhsa_user_sgpr_queue_ptr 0
		.amdhsa_user_sgpr_kernarg_segment_ptr 1
		.amdhsa_user_sgpr_dispatch_id 0
		.amdhsa_user_sgpr_private_segment_size 0
		.amdhsa_wavefront_size32 1
		.amdhsa_uses_dynamic_stack 0
		.amdhsa_enable_private_segment 0
		.amdhsa_system_sgpr_workgroup_id_x 1
		.amdhsa_system_sgpr_workgroup_id_y 1
		.amdhsa_system_sgpr_workgroup_id_z 1
		.amdhsa_system_sgpr_workgroup_info 0
		.amdhsa_system_vgpr_workitem_id 0
		.amdhsa_next_free_vgpr 19
		.amdhsa_next_free_sgpr 32
		.amdhsa_reserve_vcc 1
		.amdhsa_float_round_mode_32 0
		.amdhsa_float_round_mode_16_64 0
		.amdhsa_float_denorm_mode_32 3
		.amdhsa_float_denorm_mode_16_64 3
		.amdhsa_dx10_clamp 1
		.amdhsa_ieee_mode 1
		.amdhsa_fp16_overflow 0
		.amdhsa_workgroup_processor_mode 1
		.amdhsa_memory_ordered 1
		.amdhsa_forward_progress 0
		.amdhsa_shared_vgpr_count 0
		.amdhsa_exception_fp_ieee_invalid_op 0
		.amdhsa_exception_fp_denorm_src 0
		.amdhsa_exception_fp_ieee_div_zero 0
		.amdhsa_exception_fp_ieee_overflow 0
		.amdhsa_exception_fp_ieee_underflow 0
		.amdhsa_exception_fp_ieee_inexact 0
		.amdhsa_exception_int_div_zero 0
	.end_amdhsa_kernel
	.section	.text._ZL33flash_attn_stream_k_fixup_generalILi128ELi2ELi8EEvPfPK15HIP_vector_typeIfLj2EEiiiiS1_IjLj3EES5_S5_S5_,"axG",@progbits,_ZL33flash_attn_stream_k_fixup_generalILi128ELi2ELi8EEvPfPK15HIP_vector_typeIfLj2EEiiiiS1_IjLj3EES5_S5_S5_,comdat
.Lfunc_end27:
	.size	_ZL33flash_attn_stream_k_fixup_generalILi128ELi2ELi8EEvPfPK15HIP_vector_typeIfLj2EEiiiiS1_IjLj3EES5_S5_S5_, .Lfunc_end27-_ZL33flash_attn_stream_k_fixup_generalILi128ELi2ELi8EEvPfPK15HIP_vector_typeIfLj2EEiiiiS1_IjLj3EES5_S5_S5_
                                        ; -- End function
	.section	.AMDGPU.csdata,"",@progbits
; Kernel info:
; codeLenInByte = 3224
; NumSgprs: 34
; NumVgprs: 19
; ScratchSize: 0
; MemoryBound: 0
; FloatMode: 240
; IeeeMode: 1
; LDSByteSize: 0 bytes/workgroup (compile time only)
; SGPRBlocks: 4
; VGPRBlocks: 2
; NumSGPRsForWavesPerEU: 34
; NumVGPRsForWavesPerEU: 19
; Occupancy: 16
; WaveLimiterHint : 0
; COMPUTE_PGM_RSRC2:SCRATCH_EN: 0
; COMPUTE_PGM_RSRC2:USER_SGPR: 13
; COMPUTE_PGM_RSRC2:TRAP_HANDLER: 0
; COMPUTE_PGM_RSRC2:TGID_X_EN: 1
; COMPUTE_PGM_RSRC2:TGID_Y_EN: 1
; COMPUTE_PGM_RSRC2:TGID_Z_EN: 1
; COMPUTE_PGM_RSRC2:TIDIG_COMP_CNT: 0
	.section	.text._ZL26flash_attn_combine_resultsILi128EEvPKfPK15HIP_vector_typeIfLj2EEPfi,"axG",@progbits,_ZL26flash_attn_combine_resultsILi128EEvPKfPK15HIP_vector_typeIfLj2EEPfi,comdat
	.globl	_ZL26flash_attn_combine_resultsILi128EEvPKfPK15HIP_vector_typeIfLj2EEPfi ; -- Begin function _ZL26flash_attn_combine_resultsILi128EEvPKfPK15HIP_vector_typeIfLj2EEPfi
	.p2align	8
	.type	_ZL26flash_attn_combine_resultsILi128EEvPKfPK15HIP_vector_typeIfLj2EEPfi,@function
_ZL26flash_attn_combine_resultsILi128EEvPKfPK15HIP_vector_typeIfLj2EEPfi: ; @_ZL26flash_attn_combine_resultsILi128EEvPKfPK15HIP_vector_typeIfLj2EEPfi
; %bb.0:
	s_clause 0x3
	s_load_b64 s[2:3], s[0:1], 0x20
	s_load_b32 s11, s[0:1], 0x18
	s_load_b128 s[4:7], s[0:1], 0x0
	s_load_b64 s[8:9], s[0:1], 0x10
	v_lshlrev_b32_e32 v5, 2, v0
	s_mov_b32 s12, exec_lo
	s_waitcnt lgkmcnt(0)
	s_mul_i32 s0, s2, s15
	s_lshl_b32 s1, s11, 1
	s_add_i32 s0, s0, s13
	s_delay_alu instid0(SALU_CYCLE_1) | instskip(NEXT) | instid1(SALU_CYCLE_1)
	s_mul_i32 s10, s0, s3
	s_add_i32 s10, s10, s14
	s_delay_alu instid0(SALU_CYCLE_1)
	s_mul_i32 s2, s10, s11
	v_cmpx_gt_i32_e64 s1, v0
	s_cbranch_execz .LBB28_3
; %bb.1:
	s_ashr_i32 s3, s2, 31
	v_dual_mov_b32 v4, v0 :: v_dual_add_nc_u32 v3, 0, v5
	s_lshl_b64 s[14:15], s[2:3], 3
	s_delay_alu instid0(SALU_CYCLE_1) | instskip(SKIP_2) | instid1(VALU_DEP_1)
	s_add_u32 s0, s6, s14
	s_addc_u32 s3, s7, s15
	v_add_co_u32 v1, s0, s0, v5
	v_add_co_ci_u32_e64 v2, null, s3, 0, s0
	s_mov_b32 s3, 0
	.p2align	6
.LBB28_2:                               ; =>This Inner Loop Header: Depth=1
	global_load_b32 v6, v[1:2], off
	v_add_nc_u32_e32 v4, 0x80, v4
	v_add_co_u32 v1, vcc_lo, 0x200, v1
	v_add_co_ci_u32_e32 v2, vcc_lo, 0, v2, vcc_lo
	s_delay_alu instid0(VALU_DEP_3) | instskip(NEXT) | instid1(VALU_DEP_1)
	v_cmp_le_i32_e64 s0, s1, v4
	s_or_b32 s3, s0, s3
	s_waitcnt vmcnt(0)
	ds_store_b32 v3, v6
	v_add_nc_u32_e32 v3, 0x200, v3
	s_and_not1_b32 exec_lo, exec_lo, s3
	s_cbranch_execnz .LBB28_2
.LBB28_3:
	s_or_b32 exec_lo, exec_lo, s12
	v_mov_b32_e32 v1, 0
	s_waitcnt lgkmcnt(0)
	s_barrier
	buffer_gl0_inv
	s_cmp_lt_i32 s11, 2
	ds_load_b32 v6, v1
	s_cbranch_scc1 .LBB28_11
; %bb.4:
	s_add_i32 s1, s11, -2
	s_add_i32 s0, s11, -1
	s_cmp_lt_u32 s1, 7
	s_cbranch_scc1 .LBB28_8
; %bb.5:
	s_mov_b32 s3, 0
	s_add_i32 s1, 0, 8
	s_and_b32 s6, s0, -8
	.p2align	6
.LBB28_6:                               ; =>This Inner Loop Header: Depth=1
	v_mov_b32_e32 v9, s1
	s_mov_b32 s7, s3
	s_add_i32 s3, s3, 8
	s_add_i32 s1, s1, 64
	s_cmp_eq_u32 s6, s3
	ds_load_2addr_b32 v[1:2], v9 offset1:2
	ds_load_2addr_b32 v[3:4], v9 offset0:4 offset1:6
	ds_load_2addr_b32 v[7:8], v9 offset0:8 offset1:10
	;; [unrolled: 1-line block ×3, first 2 shown]
	s_waitcnt lgkmcnt(3)
	v_max3_f32 v1, v6, v1, v2
	s_waitcnt lgkmcnt(2)
	s_delay_alu instid0(VALU_DEP_1) | instskip(SKIP_1) | instid1(VALU_DEP_1)
	v_max3_f32 v1, v1, v3, v4
	s_waitcnt lgkmcnt(1)
	v_max3_f32 v1, v1, v7, v8
	s_waitcnt lgkmcnt(0)
	s_delay_alu instid0(VALU_DEP_1)
	v_max3_f32 v6, v1, v9, v10
	s_cbranch_scc0 .LBB28_6
; %bb.7:
	s_add_i32 s1, s7, 9
	s_and_b32 s0, s0, 7
	s_delay_alu instid0(SALU_CYCLE_1)
	s_cmp_eq_u32 s0, 0
	s_cbranch_scc0 .LBB28_9
	s_branch .LBB28_11
.LBB28_8:
	s_mov_b32 s1, 1
	s_and_b32 s0, s0, 7
	s_delay_alu instid0(SALU_CYCLE_1)
	s_cmp_eq_u32 s0, 0
	s_cbranch_scc1 .LBB28_11
.LBB28_9:
	s_lshl_b32 s1, s1, 3
	s_delay_alu instid0(SALU_CYCLE_1)
	s_add_i32 s1, s1, 0
.LBB28_10:                              ; =>This Inner Loop Header: Depth=1
	s_waitcnt lgkmcnt(0)
	s_delay_alu instid0(VALU_DEP_1)
	v_dual_mov_b32 v1, s1 :: v_dual_max_f32 v2, v6, v6
	s_add_i32 s0, s0, -1
	s_add_i32 s1, s1, 8
	s_cmp_lg_u32 s0, 0
	ds_load_b32 v1, v1
	s_waitcnt lgkmcnt(0)
	v_max_f32_e32 v1, v1, v1
	s_delay_alu instid0(VALU_DEP_1)
	v_max_f32_e32 v6, v2, v1
	s_cbranch_scc1 .LBB28_10
.LBB28_11:
	s_cmp_lt_i32 s11, 1
	s_cbranch_scc1 .LBB28_16
; %bb.12:
	s_lshl_b32 s0, s2, 7
	v_mov_b32_e32 v7, 0
	s_ashr_i32 s1, s0, 31
	s_mov_b32 s13, 0
	s_lshl_b64 s[0:1], s[0:1], 2
	s_delay_alu instid0(SALU_CYCLE_1)
	s_add_u32 s6, s4, s0
	s_addc_u32 s7, s5, s1
	s_cmp_lt_u32 s11, 8
	s_cbranch_scc1 .LBB28_17
; %bb.13:
	v_or_b32_e32 v1, 0x380, v0
	v_dual_mov_b32 v4, 0 :: v_dual_mov_b32 v7, 0
	v_mov_b32_e32 v8, 0
	s_and_b32 s12, s11, 0x7ffffff8
	s_mov_b32 s14, 0
.LBB28_14:                              ; =>This Inner Loop Header: Depth=1
	s_delay_alu instid0(VALU_DEP_2) | instskip(SKIP_3) | instid1(VALU_DEP_2)
	v_dual_mov_b32 v2, v4 :: v_dual_add_nc_u32 v3, 0xfffffc80, v1
	v_mov_b32_e32 v21, s13
	s_add_i32 s14, s14, 8
	s_add_i32 s13, s13, 64
	v_lshlrev_b64 v[9:10], 2, v[3:4]
	v_add_nc_u32_e32 v3, 0xfffffd00, v1
	v_lshlrev_b64 v[11:12], 2, v[1:2]
	s_cmp_eq_u32 s12, s14
	s_delay_alu instid0(VALU_DEP_2) | instskip(NEXT) | instid1(VALU_DEP_4)
	v_lshlrev_b64 v[13:14], 2, v[3:4]
	v_add_co_u32 v9, vcc_lo, s6, v9
	v_add_co_ci_u32_e32 v10, vcc_lo, s7, v10, vcc_lo
	v_add_nc_u32_e32 v3, 0xfffffd80, v1
	s_delay_alu instid0(VALU_DEP_4)
	v_add_co_u32 v13, vcc_lo, s6, v13
	global_load_b32 v25, v[9:10], off
	v_add_co_ci_u32_e32 v14, vcc_lo, s7, v14, vcc_lo
	v_lshlrev_b64 v[15:16], 2, v[3:4]
	v_add_nc_u32_e32 v3, 0xfffffe00, v1
	global_load_b32 v26, v[13:14], off
	v_add_co_u32 v13, vcc_lo, s6, v15
	v_add_co_ci_u32_e32 v14, vcc_lo, s7, v16, vcc_lo
	v_lshlrev_b64 v[9:10], 2, v[3:4]
	v_add_nc_u32_e32 v3, 0xfffffe80, v1
	global_load_b32 v27, v[13:14], off
	v_add_co_u32 v9, vcc_lo, s6, v9
	v_lshlrev_b64 v[15:16], 2, v[3:4]
	v_add_nc_u32_e32 v3, 0xffffff00, v1
	v_add_co_ci_u32_e32 v10, vcc_lo, s7, v10, vcc_lo
	global_load_b32 v28, v[9:10], off
	v_lshlrev_b64 v[13:14], 2, v[3:4]
	v_add_nc_u32_e32 v3, 0xffffff80, v1
	v_add_co_u32 v9, vcc_lo, s6, v15
	v_add_co_ci_u32_e32 v10, vcc_lo, s7, v16, vcc_lo
	s_delay_alu instid0(VALU_DEP_4) | instskip(NEXT) | instid1(VALU_DEP_4)
	v_add_co_u32 v13, vcc_lo, s6, v13
	v_lshlrev_b64 v[2:3], 2, v[3:4]
	v_add_co_ci_u32_e32 v14, vcc_lo, s7, v14, vcc_lo
	s_clause 0x1
	global_load_b32 v29, v[9:10], off
	global_load_b32 v30, v[13:14], off
	v_add_co_u32 v2, vcc_lo, s6, v2
	v_add_co_ci_u32_e32 v3, vcc_lo, s7, v3, vcc_lo
	v_add_co_u32 v9, vcc_lo, s6, v11
	v_add_co_ci_u32_e32 v10, vcc_lo, s7, v12, vcc_lo
	s_clause 0x1
	global_load_b32 v2, v[2:3], off
	global_load_b32 v3, v[9:10], off
	ds_load_2addr_b64 v[9:12], v21 offset1:1
	ds_load_2addr_b64 v[13:16], v21 offset0:2 offset1:3
	ds_load_2addr_b64 v[17:20], v21 offset0:4 offset1:5
	;; [unrolled: 1-line block ×3, first 2 shown]
	v_add_nc_u32_e32 v1, 0x400, v1
	s_waitcnt lgkmcnt(1)
	v_sub_f32_e32 v19, v19, v6
	v_sub_f32_e32 v11, v11, v6
	s_waitcnt lgkmcnt(0)
	v_sub_f32_e32 v23, v23, v6
	s_delay_alu instid0(VALU_DEP_3) | instskip(NEXT) | instid1(VALU_DEP_3)
	v_dual_sub_f32 v13, v13, v6 :: v_dual_mul_f32 v36, 0x3fb8aa3b, v19
	v_mul_f32_e32 v32, 0x3fb8aa3b, v11
	s_delay_alu instid0(VALU_DEP_2) | instskip(SKIP_1) | instid1(VALU_DEP_4)
	v_dual_mul_f32 v38, 0x3fb8aa3b, v23 :: v_dual_mul_f32 v33, 0x3fb8aa3b, v13
	v_cmp_ngt_f32_e32 vcc_lo, 0xc2ce8ed0, v13
	v_fma_f32 v49, 0x3fb8aa3b, v19, -v36
	s_delay_alu instid0(VALU_DEP_4) | instskip(SKIP_4) | instid1(VALU_DEP_4)
	v_fma_f32 v41, 0x3fb8aa3b, v11, -v32
	v_rndne_f32_e32 v42, v32
	v_fma_f32 v43, 0x3fb8aa3b, v13, -v33
	v_rndne_f32_e32 v44, v33
	v_rndne_f32_e32 v50, v36
	v_dual_fmac_f32 v41, 0x32a5705f, v11 :: v_dual_sub_f32 v32, v32, v42
	v_sub_f32_e32 v15, v15, v6
	v_fmac_f32_e32 v43, 0x32a5705f, v13
	v_sub_f32_e32 v33, v33, v44
	v_cvt_i32_f32_e32 v42, v42
	v_dual_add_f32 v32, v32, v41 :: v_dual_sub_f32 v9, v9, v6
	v_mul_f32_e32 v34, 0x3fb8aa3b, v15
	s_delay_alu instid0(VALU_DEP_4) | instskip(SKIP_1) | instid1(VALU_DEP_4)
	v_add_f32_e32 v33, v33, v43
	v_cvt_i32_f32_e32 v44, v44
	v_exp_f32_e32 v32, v32
	v_mul_f32_e32 v31, 0x3fb8aa3b, v9
	v_fma_f32 v45, 0x3fb8aa3b, v15, -v34
	v_rndne_f32_e32 v46, v34
	v_exp_f32_e32 v33, v33
	v_cmp_ngt_f32_e64 s5, 0xc2ce8ed0, v9
	v_fma_f32 v39, 0x3fb8aa3b, v9, -v31
	v_rndne_f32_e32 v40, v31
	v_dual_fmac_f32 v45, 0x32a5705f, v15 :: v_dual_sub_f32 v34, v34, v46
	v_sub_f32_e32 v17, v17, v6
	s_delay_alu instid0(VALU_DEP_4) | instskip(NEXT) | instid1(VALU_DEP_4)
	v_fmac_f32_e32 v39, 0x32a5705f, v9
	v_sub_f32_e32 v31, v31, v40
	v_cvt_i32_f32_e32 v40, v40
	v_add_f32_e32 v34, v34, v45
	v_ldexp_f32 v32, v32, v42
	v_ldexp_f32 v33, v33, v44
	v_add_f32_e32 v31, v31, v39
	v_cvt_i32_f32_e32 v46, v46
	v_exp_f32_e32 v34, v34
	v_cmp_ngt_f32_e64 s0, 0xc2ce8ed0, v15
	v_fmac_f32_e32 v49, 0x32a5705f, v19
	v_exp_f32_e32 v31, v31
	v_sub_f32_e32 v36, v36, v50
	v_cvt_i32_f32_e32 v50, v50
	v_cmp_ngt_f32_e64 s1, 0xc2ce8ed0, v17
	v_rndne_f32_e32 v54, v38
	s_delay_alu instid0(VALU_DEP_4) | instskip(NEXT) | instid1(TRANS32_DEP_2)
	v_add_f32_e32 v36, v36, v49
	v_ldexp_f32 v34, v34, v46
	v_cmp_ngt_f32_e64 s2, 0xc2ce8ed0, v19
	s_delay_alu instid0(TRANS32_DEP_1) | instskip(NEXT) | instid1(VALU_DEP_4)
	v_ldexp_f32 v31, v31, v40
	v_exp_f32_e32 v36, v36
	s_delay_alu instid0(VALU_DEP_1) | instskip(SKIP_1) | instid1(VALU_DEP_1)
	v_cndmask_b32_e64 v31, 0, v31, s5
	v_cmp_ngt_f32_e64 s5, 0xc2ce8ed0, v11
	v_cndmask_b32_e64 v32, 0, v32, s5
	v_cmp_nlt_f32_e64 s5, 0x42b17218, v9
	s_waitcnt_depctr 0xfff
	v_ldexp_f32 v36, v36, v50
	v_cndmask_b32_e64 v9, 0x7f800000, v31, s5
	v_cndmask_b32_e32 v31, 0, v33, vcc_lo
	v_cmp_nlt_f32_e32 vcc_lo, 0x42b17218, v11
	s_delay_alu instid0(VALU_DEP_3) | instskip(SKIP_1) | instid1(VALU_DEP_2)
	v_dual_fmac_f32 v8, v9, v10 :: v_dual_cndmask_b32 v11, 0x7f800000, v32
	v_cmp_nlt_f32_e32 vcc_lo, 0x42b17218, v13
	v_fmac_f32_e32 v8, v11, v12
	v_cndmask_b32_e32 v10, 0x7f800000, v31, vcc_lo
	v_cmp_nlt_f32_e32 vcc_lo, 0x42b17218, v15
	v_fma_f32 v53, 0x3fb8aa3b, v23, -v38
	v_sub_f32_e32 v38, v38, v54
	v_cvt_i32_f32_e32 v54, v54
	v_fmac_f32_e32 v8, v10, v14
	v_cmp_ngt_f32_e64 s4, 0xc2ce8ed0, v23
	v_fmac_f32_e32 v53, 0x32a5705f, v23
	s_delay_alu instid0(VALU_DEP_1) | instskip(NEXT) | instid1(VALU_DEP_1)
	v_dual_sub_f32 v21, v21, v6 :: v_dual_add_f32 v38, v38, v53
	v_cmp_ngt_f32_e64 s3, 0xc2ce8ed0, v21
	s_delay_alu instid0(VALU_DEP_2)
	v_exp_f32_e32 v38, v38
	s_waitcnt_depctr 0xfff
	v_ldexp_f32 v38, v38, v54
	s_waitcnt vmcnt(7)
	v_fmac_f32_e32 v7, v25, v9
	v_cndmask_b32_e64 v9, 0, v34, s0
	s_delay_alu instid0(VALU_DEP_1) | instskip(SKIP_1) | instid1(VALU_DEP_3)
	v_cndmask_b32_e32 v9, 0x7f800000, v9, vcc_lo
	s_waitcnt vmcnt(6)
	v_fmac_f32_e32 v7, v26, v11
	v_cmp_nlt_f32_e32 vcc_lo, 0x42b17218, v17
	s_delay_alu instid0(VALU_DEP_3) | instskip(SKIP_1) | instid1(VALU_DEP_3)
	v_dual_fmac_f32 v8, v9, v16 :: v_dual_mul_f32 v35, 0x3fb8aa3b, v17
	s_waitcnt vmcnt(5)
	v_fmac_f32_e32 v7, v27, v10
	s_delay_alu instid0(VALU_DEP_2) | instskip(SKIP_2) | instid1(VALU_DEP_3)
	v_fma_f32 v47, 0x3fb8aa3b, v17, -v35
	v_rndne_f32_e32 v48, v35
	v_cndmask_b32_e64 v10, 0, v36, s2
	v_fmac_f32_e32 v47, 0x32a5705f, v17
	s_delay_alu instid0(VALU_DEP_3) | instskip(SKIP_1) | instid1(VALU_DEP_2)
	v_sub_f32_e32 v35, v35, v48
	v_cvt_i32_f32_e32 v48, v48
	v_add_f32_e32 v35, v35, v47
	s_waitcnt vmcnt(4)
	v_fmac_f32_e32 v7, v28, v9
	s_delay_alu instid0(VALU_DEP_2) | instskip(SKIP_2) | instid1(VALU_DEP_1)
	v_exp_f32_e32 v35, v35
	s_waitcnt_depctr 0xfff
	v_ldexp_f32 v35, v35, v48
	v_cndmask_b32_e64 v11, 0, v35, s1
	s_delay_alu instid0(VALU_DEP_1) | instskip(SKIP_1) | instid1(VALU_DEP_2)
	v_cndmask_b32_e32 v11, 0x7f800000, v11, vcc_lo
	v_cmp_nlt_f32_e32 vcc_lo, 0x42b17218, v19
	v_fmac_f32_e32 v8, v11, v18
	v_cndmask_b32_e32 v10, 0x7f800000, v10, vcc_lo
	v_mul_f32_e32 v37, 0x3fb8aa3b, v21
	s_waitcnt vmcnt(3)
	v_fmac_f32_e32 v7, v29, v11
	v_cmp_nlt_f32_e32 vcc_lo, 0x42b17218, v21
	v_cndmask_b32_e64 v11, 0, v38, s4
	v_fmac_f32_e32 v8, v10, v20
	v_fma_f32 v51, 0x3fb8aa3b, v21, -v37
	v_rndne_f32_e32 v52, v37
	s_waitcnt vmcnt(2)
	v_fmac_f32_e32 v7, v30, v10
	s_delay_alu instid0(VALU_DEP_3) | instskip(NEXT) | instid1(VALU_DEP_3)
	v_fmac_f32_e32 v51, 0x32a5705f, v21
	v_sub_f32_e32 v37, v37, v52
	v_cvt_i32_f32_e32 v52, v52
	s_delay_alu instid0(VALU_DEP_2) | instskip(NEXT) | instid1(VALU_DEP_1)
	v_add_f32_e32 v37, v37, v51
	v_exp_f32_e32 v37, v37
	s_waitcnt_depctr 0xfff
	v_ldexp_f32 v37, v37, v52
	s_delay_alu instid0(VALU_DEP_1) | instskip(NEXT) | instid1(VALU_DEP_1)
	v_cndmask_b32_e64 v9, 0, v37, s3
	v_cndmask_b32_e32 v9, 0x7f800000, v9, vcc_lo
	v_cmp_nlt_f32_e32 vcc_lo, 0x42b17218, v23
	s_delay_alu instid0(VALU_DEP_2) | instskip(SKIP_3) | instid1(VALU_DEP_1)
	v_fmac_f32_e32 v8, v9, v22
	s_waitcnt vmcnt(1)
	v_dual_cndmask_b32 v10, 0x7f800000, v11 :: v_dual_fmac_f32 v7, v2, v9
	s_waitcnt vmcnt(0)
	v_dual_fmac_f32 v8, v10, v24 :: v_dual_fmac_f32 v7, v3, v10
	s_cbranch_scc0 .LBB28_14
; %bb.15:
	s_and_b32 s0, s11, 7
	s_delay_alu instid0(SALU_CYCLE_1)
	s_cmp_eq_u32 s0, 0
	s_cbranch_scc0 .LBB28_18
	s_branch .LBB28_20
.LBB28_16:
	v_mov_b32_e32 v0, 0x7fc00000
	s_branch .LBB28_21
.LBB28_17:
	v_mov_b32_e32 v8, 0
	s_mov_b32 s12, 0
	s_and_b32 s0, s11, 7
	s_delay_alu instid0(SALU_CYCLE_1)
	s_cmp_eq_u32 s0, 0
	s_cbranch_scc1 .LBB28_20
.LBB28_18:
	v_lshl_or_b32 v0, s12, 7, v0
	v_mov_b32_e32 v1, 0
	s_lshl_b32 s1, s12, 3
	s_delay_alu instid0(SALU_CYCLE_1)
	s_add_i32 s1, s1, 0
	s_set_inst_prefetch_distance 0x1
	.p2align	6
.LBB28_19:                              ; =>This Inner Loop Header: Depth=1
	s_delay_alu instid0(VALU_DEP_1) | instskip(SKIP_2) | instid1(VALU_DEP_2)
	v_lshlrev_b64 v[2:3], 2, v[0:1]
	s_add_i32 s0, s0, -1
	v_add_nc_u32_e32 v0, 0x80, v0
	v_add_co_u32 v2, vcc_lo, s6, v2
	s_delay_alu instid0(VALU_DEP_3)
	v_add_co_ci_u32_e32 v3, vcc_lo, s7, v3, vcc_lo
	global_load_b32 v4, v[2:3], off
	v_mov_b32_e32 v2, s1
	s_add_i32 s1, s1, 8
	s_cmp_lg_u32 s0, 0
	ds_load_b64 v[2:3], v2
	s_waitcnt lgkmcnt(0)
	v_sub_f32_e32 v2, v2, v6
	s_delay_alu instid0(VALU_DEP_1) | instskip(SKIP_1) | instid1(VALU_DEP_2)
	v_mul_f32_e32 v9, 0x3fb8aa3b, v2
	v_cmp_ngt_f32_e32 vcc_lo, 0xc2ce8ed0, v2
	v_fma_f32 v10, 0x3fb8aa3b, v2, -v9
	v_rndne_f32_e32 v11, v9
	s_delay_alu instid0(VALU_DEP_1) | instskip(NEXT) | instid1(VALU_DEP_1)
	v_dual_fmac_f32 v10, 0x32a5705f, v2 :: v_dual_sub_f32 v9, v9, v11
	v_add_f32_e32 v9, v9, v10
	v_cvt_i32_f32_e32 v10, v11
	s_delay_alu instid0(VALU_DEP_2) | instskip(SKIP_2) | instid1(VALU_DEP_1)
	v_exp_f32_e32 v9, v9
	s_waitcnt_depctr 0xfff
	v_ldexp_f32 v9, v9, v10
	v_cndmask_b32_e32 v9, 0, v9, vcc_lo
	v_cmp_nlt_f32_e32 vcc_lo, 0x42b17218, v2
	s_delay_alu instid0(VALU_DEP_2) | instskip(SKIP_1) | instid1(VALU_DEP_1)
	v_cndmask_b32_e32 v2, 0x7f800000, v9, vcc_lo
	s_waitcnt vmcnt(0)
	v_dual_fmac_f32 v8, v2, v3 :: v_dual_fmac_f32 v7, v4, v2
	s_cbranch_scc1 .LBB28_19
.LBB28_20:
	s_set_inst_prefetch_distance 0x2
	s_delay_alu instid0(VALU_DEP_1) | instskip(NEXT) | instid1(VALU_DEP_1)
	v_div_scale_f32 v0, null, v8, v8, v7
	v_rcp_f32_e32 v1, v0
	s_waitcnt_depctr 0xfff
	v_fma_f32 v2, -v0, v1, 1.0
	s_delay_alu instid0(VALU_DEP_1) | instskip(SKIP_1) | instid1(VALU_DEP_1)
	v_fmac_f32_e32 v1, v2, v1
	v_div_scale_f32 v2, vcc_lo, v7, v8, v7
	v_mul_f32_e32 v3, v2, v1
	s_delay_alu instid0(VALU_DEP_1) | instskip(NEXT) | instid1(VALU_DEP_1)
	v_fma_f32 v4, -v0, v3, v2
	v_fmac_f32_e32 v3, v4, v1
	s_delay_alu instid0(VALU_DEP_1) | instskip(NEXT) | instid1(VALU_DEP_1)
	v_fma_f32 v0, -v0, v3, v2
	v_div_fmas_f32 v0, v0, v1, v3
	s_delay_alu instid0(VALU_DEP_1)
	v_div_fixup_f32 v0, v0, v8, v7
.LBB28_21:
	s_lshl_b32 s0, s10, 7
	s_delay_alu instid0(SALU_CYCLE_1) | instskip(NEXT) | instid1(SALU_CYCLE_1)
	s_ashr_i32 s1, s0, 31
	s_lshl_b64 s[0:1], s[0:1], 2
	s_delay_alu instid0(SALU_CYCLE_1)
	s_add_u32 s0, s8, s0
	s_addc_u32 s1, s9, s1
	global_store_b32 v5, v0, s[0:1]
	s_nop 0
	s_sendmsg sendmsg(MSG_DEALLOC_VGPRS)
	s_endpgm
	.section	.rodata,"a",@progbits
	.p2align	6, 0x0
	.amdhsa_kernel _ZL26flash_attn_combine_resultsILi128EEvPKfPK15HIP_vector_typeIfLj2EEPfi
		.amdhsa_group_segment_fixed_size 0
		.amdhsa_private_segment_fixed_size 0
		.amdhsa_kernarg_size 288
		.amdhsa_user_sgpr_count 13
		.amdhsa_user_sgpr_dispatch_ptr 0
		.amdhsa_user_sgpr_queue_ptr 0
		.amdhsa_user_sgpr_kernarg_segment_ptr 1
		.amdhsa_user_sgpr_dispatch_id 0
		.amdhsa_user_sgpr_private_segment_size 0
		.amdhsa_wavefront_size32 1
		.amdhsa_uses_dynamic_stack 0
		.amdhsa_enable_private_segment 0
		.amdhsa_system_sgpr_workgroup_id_x 1
		.amdhsa_system_sgpr_workgroup_id_y 1
		.amdhsa_system_sgpr_workgroup_id_z 1
		.amdhsa_system_sgpr_workgroup_info 0
		.amdhsa_system_vgpr_workitem_id 0
		.amdhsa_next_free_vgpr 55
		.amdhsa_next_free_sgpr 16
		.amdhsa_reserve_vcc 1
		.amdhsa_float_round_mode_32 0
		.amdhsa_float_round_mode_16_64 0
		.amdhsa_float_denorm_mode_32 3
		.amdhsa_float_denorm_mode_16_64 3
		.amdhsa_dx10_clamp 1
		.amdhsa_ieee_mode 1
		.amdhsa_fp16_overflow 0
		.amdhsa_workgroup_processor_mode 1
		.amdhsa_memory_ordered 1
		.amdhsa_forward_progress 0
		.amdhsa_shared_vgpr_count 0
		.amdhsa_exception_fp_ieee_invalid_op 0
		.amdhsa_exception_fp_denorm_src 0
		.amdhsa_exception_fp_ieee_div_zero 0
		.amdhsa_exception_fp_ieee_overflow 0
		.amdhsa_exception_fp_ieee_underflow 0
		.amdhsa_exception_fp_ieee_inexact 0
		.amdhsa_exception_int_div_zero 0
	.end_amdhsa_kernel
	.section	.text._ZL26flash_attn_combine_resultsILi128EEvPKfPK15HIP_vector_typeIfLj2EEPfi,"axG",@progbits,_ZL26flash_attn_combine_resultsILi128EEvPKfPK15HIP_vector_typeIfLj2EEPfi,comdat
.Lfunc_end28:
	.size	_ZL26flash_attn_combine_resultsILi128EEvPKfPK15HIP_vector_typeIfLj2EEPfi, .Lfunc_end28-_ZL26flash_attn_combine_resultsILi128EEvPKfPK15HIP_vector_typeIfLj2EEPfi
                                        ; -- End function
	.section	.AMDGPU.csdata,"",@progbits
; Kernel info:
; codeLenInByte = 2352
; NumSgprs: 18
; NumVgprs: 55
; ScratchSize: 0
; MemoryBound: 0
; FloatMode: 240
; IeeeMode: 1
; LDSByteSize: 0 bytes/workgroup (compile time only)
; SGPRBlocks: 2
; VGPRBlocks: 6
; NumSGPRsForWavesPerEU: 18
; NumVGPRsForWavesPerEU: 55
; Occupancy: 16
; WaveLimiterHint : 0
; COMPUTE_PGM_RSRC2:SCRATCH_EN: 0
; COMPUTE_PGM_RSRC2:USER_SGPR: 13
; COMPUTE_PGM_RSRC2:TRAP_HANDLER: 0
; COMPUTE_PGM_RSRC2:TGID_X_EN: 1
; COMPUTE_PGM_RSRC2:TGID_Y_EN: 1
; COMPUTE_PGM_RSRC2:TGID_Z_EN: 1
; COMPUTE_PGM_RSRC2:TIDIG_COMP_CNT: 0
	.section	.text._ZL18flash_attn_ext_f16ILi192ELi128ELi2ELi8ELb0ELb0EEvPKcS1_S1_S1_S1_PKiPfP15HIP_vector_typeIfLj2EEffffjfiS5_IjLj3EEiiiiiiiiiiiliiliiiiil,"axG",@progbits,_ZL18flash_attn_ext_f16ILi192ELi128ELi2ELi8ELb0ELb0EEvPKcS1_S1_S1_S1_PKiPfP15HIP_vector_typeIfLj2EEffffjfiS5_IjLj3EEiiiiiiiiiiiliiliiiiil,comdat
	.globl	_ZL18flash_attn_ext_f16ILi192ELi128ELi2ELi8ELb0ELb0EEvPKcS1_S1_S1_S1_PKiPfP15HIP_vector_typeIfLj2EEffffjfiS5_IjLj3EEiiiiiiiiiiiliiliiiiil ; -- Begin function _ZL18flash_attn_ext_f16ILi192ELi128ELi2ELi8ELb0ELb0EEvPKcS1_S1_S1_S1_PKiPfP15HIP_vector_typeIfLj2EEffffjfiS5_IjLj3EEiiiiiiiiiiiliiliiiiil
	.p2align	8
	.type	_ZL18flash_attn_ext_f16ILi192ELi128ELi2ELi8ELb0ELb0EEvPKcS1_S1_S1_S1_PKiPfP15HIP_vector_typeIfLj2EEffffjfiS5_IjLj3EEiiiiiiiiiiiliiliiiiil,@function
_ZL18flash_attn_ext_f16ILi192ELi128ELi2ELi8ELb0ELb0EEvPKcS1_S1_S1_S1_PKiPfP15HIP_vector_typeIfLj2EEffffjfiS5_IjLj3EEiiiiiiiiiiiliiliiiiil: ; @_ZL18flash_attn_ext_f16ILi192ELi128ELi2ELi8ELb0ELb0EEvPKcS1_S1_S1_S1_PKiPfP15HIP_vector_typeIfLj2EEffffjfiS5_IjLj3EEiiiiiiiiiiiliiliiiiil
; %bb.0:
	v_mov_b32_e32 v0, 0x6e3
	s_add_u32 s8, s0, 0xd0
	s_addc_u32 s9, s1, 0
	s_mov_b32 s32, 0
	s_getpc_b64 s[0:1]
	s_add_u32 s0, s0, _ZL14no_device_codePKciS0_iS0_@rel32@lo+4
	s_addc_u32 s1, s1, _ZL14no_device_codePKciS0_iS0_@rel32@hi+12
	s_delay_alu instid0(SALU_CYCLE_1)
	s_swappc_b64 s[30:31], s[0:1]
	.section	.rodata,"a",@progbits
	.p2align	6, 0x0
	.amdhsa_kernel _ZL18flash_attn_ext_f16ILi192ELi128ELi2ELi8ELb0ELb0EEvPKcS1_S1_S1_S1_PKiPfP15HIP_vector_typeIfLj2EEffffjfiS5_IjLj3EEiiiiiiiiiiiliiliiiiil
		.amdhsa_group_segment_fixed_size 0
		.amdhsa_private_segment_fixed_size 16
		.amdhsa_kernarg_size 464
		.amdhsa_user_sgpr_count 15
		.amdhsa_user_sgpr_dispatch_ptr 0
		.amdhsa_user_sgpr_queue_ptr 0
		.amdhsa_user_sgpr_kernarg_segment_ptr 1
		.amdhsa_user_sgpr_dispatch_id 0
		.amdhsa_user_sgpr_private_segment_size 0
		.amdhsa_wavefront_size32 1
		.amdhsa_uses_dynamic_stack 0
		.amdhsa_enable_private_segment 1
		.amdhsa_system_sgpr_workgroup_id_x 1
		.amdhsa_system_sgpr_workgroup_id_y 0
		.amdhsa_system_sgpr_workgroup_id_z 0
		.amdhsa_system_sgpr_workgroup_info 0
		.amdhsa_system_vgpr_workitem_id 0
		.amdhsa_next_free_vgpr 37
		.amdhsa_next_free_sgpr 34
		.amdhsa_reserve_vcc 1
		.amdhsa_float_round_mode_32 0
		.amdhsa_float_round_mode_16_64 0
		.amdhsa_float_denorm_mode_32 3
		.amdhsa_float_denorm_mode_16_64 3
		.amdhsa_dx10_clamp 1
		.amdhsa_ieee_mode 1
		.amdhsa_fp16_overflow 0
		.amdhsa_workgroup_processor_mode 1
		.amdhsa_memory_ordered 1
		.amdhsa_forward_progress 0
		.amdhsa_shared_vgpr_count 0
		.amdhsa_exception_fp_ieee_invalid_op 0
		.amdhsa_exception_fp_denorm_src 0
		.amdhsa_exception_fp_ieee_div_zero 0
		.amdhsa_exception_fp_ieee_overflow 0
		.amdhsa_exception_fp_ieee_underflow 0
		.amdhsa_exception_fp_ieee_inexact 0
		.amdhsa_exception_int_div_zero 0
	.end_amdhsa_kernel
	.section	.text._ZL18flash_attn_ext_f16ILi192ELi128ELi2ELi8ELb0ELb0EEvPKcS1_S1_S1_S1_PKiPfP15HIP_vector_typeIfLj2EEffffjfiS5_IjLj3EEiiiiiiiiiiiliiliiiiil,"axG",@progbits,_ZL18flash_attn_ext_f16ILi192ELi128ELi2ELi8ELb0ELb0EEvPKcS1_S1_S1_S1_PKiPfP15HIP_vector_typeIfLj2EEffffjfiS5_IjLj3EEiiiiiiiiiiiliiliiiiil,comdat
.Lfunc_end29:
	.size	_ZL18flash_attn_ext_f16ILi192ELi128ELi2ELi8ELb0ELb0EEvPKcS1_S1_S1_S1_PKiPfP15HIP_vector_typeIfLj2EEffffjfiS5_IjLj3EEiiiiiiiiiiiliiliiiiil, .Lfunc_end29-_ZL18flash_attn_ext_f16ILi192ELi128ELi2ELi8ELb0ELb0EEvPKcS1_S1_S1_S1_PKiPfP15HIP_vector_typeIfLj2EEffffjfiS5_IjLj3EEiiiiiiiiiiiliiliiiiil
                                        ; -- End function
	.section	.AMDGPU.csdata,"",@progbits
; Kernel info:
; codeLenInByte = 52
; NumSgprs: 36
; NumVgprs: 37
; ScratchSize: 16
; MemoryBound: 0
; FloatMode: 240
; IeeeMode: 1
; LDSByteSize: 0 bytes/workgroup (compile time only)
; SGPRBlocks: 4
; VGPRBlocks: 4
; NumSGPRsForWavesPerEU: 36
; NumVGPRsForWavesPerEU: 37
; Occupancy: 16
; WaveLimiterHint : 1
; COMPUTE_PGM_RSRC2:SCRATCH_EN: 1
; COMPUTE_PGM_RSRC2:USER_SGPR: 15
; COMPUTE_PGM_RSRC2:TRAP_HANDLER: 0
; COMPUTE_PGM_RSRC2:TGID_X_EN: 1
; COMPUTE_PGM_RSRC2:TGID_Y_EN: 0
; COMPUTE_PGM_RSRC2:TGID_Z_EN: 0
; COMPUTE_PGM_RSRC2:TIDIG_COMP_CNT: 0
	.section	.text._ZL18flash_attn_ext_f16ILi192ELi128ELi2ELi8ELb1ELb0EEvPKcS1_S1_S1_S1_PKiPfP15HIP_vector_typeIfLj2EEffffjfiS5_IjLj3EEiiiiiiiiiiiliiliiiiil,"axG",@progbits,_ZL18flash_attn_ext_f16ILi192ELi128ELi2ELi8ELb1ELb0EEvPKcS1_S1_S1_S1_PKiPfP15HIP_vector_typeIfLj2EEffffjfiS5_IjLj3EEiiiiiiiiiiiliiliiiiil,comdat
	.globl	_ZL18flash_attn_ext_f16ILi192ELi128ELi2ELi8ELb1ELb0EEvPKcS1_S1_S1_S1_PKiPfP15HIP_vector_typeIfLj2EEffffjfiS5_IjLj3EEiiiiiiiiiiiliiliiiiil ; -- Begin function _ZL18flash_attn_ext_f16ILi192ELi128ELi2ELi8ELb1ELb0EEvPKcS1_S1_S1_S1_PKiPfP15HIP_vector_typeIfLj2EEffffjfiS5_IjLj3EEiiiiiiiiiiiliiliiiiil
	.p2align	8
	.type	_ZL18flash_attn_ext_f16ILi192ELi128ELi2ELi8ELb1ELb0EEvPKcS1_S1_S1_S1_PKiPfP15HIP_vector_typeIfLj2EEffffjfiS5_IjLj3EEiiiiiiiiiiiliiliiiiil,@function
_ZL18flash_attn_ext_f16ILi192ELi128ELi2ELi8ELb1ELb0EEvPKcS1_S1_S1_S1_PKiPfP15HIP_vector_typeIfLj2EEffffjfiS5_IjLj3EEiiiiiiiiiiiliiliiiiil: ; @_ZL18flash_attn_ext_f16ILi192ELi128ELi2ELi8ELb1ELb0EEvPKcS1_S1_S1_S1_PKiPfP15HIP_vector_typeIfLj2EEffffjfiS5_IjLj3EEiiiiiiiiiiiliiliiiiil
; %bb.0:
	v_mov_b32_e32 v0, 0x6cc
	s_add_u32 s8, s0, 0xd0
	s_addc_u32 s9, s1, 0
	s_mov_b32 s32, 0
	s_getpc_b64 s[0:1]
	s_add_u32 s0, s0, _ZL14no_device_codePKciS0_iS0_@rel32@lo+4
	s_addc_u32 s1, s1, _ZL14no_device_codePKciS0_iS0_@rel32@hi+12
	s_delay_alu instid0(SALU_CYCLE_1)
	s_swappc_b64 s[30:31], s[0:1]
	.section	.rodata,"a",@progbits
	.p2align	6, 0x0
	.amdhsa_kernel _ZL18flash_attn_ext_f16ILi192ELi128ELi2ELi8ELb1ELb0EEvPKcS1_S1_S1_S1_PKiPfP15HIP_vector_typeIfLj2EEffffjfiS5_IjLj3EEiiiiiiiiiiiliiliiiiil
		.amdhsa_group_segment_fixed_size 0
		.amdhsa_private_segment_fixed_size 16
		.amdhsa_kernarg_size 464
		.amdhsa_user_sgpr_count 15
		.amdhsa_user_sgpr_dispatch_ptr 0
		.amdhsa_user_sgpr_queue_ptr 0
		.amdhsa_user_sgpr_kernarg_segment_ptr 1
		.amdhsa_user_sgpr_dispatch_id 0
		.amdhsa_user_sgpr_private_segment_size 0
		.amdhsa_wavefront_size32 1
		.amdhsa_uses_dynamic_stack 0
		.amdhsa_enable_private_segment 1
		.amdhsa_system_sgpr_workgroup_id_x 1
		.amdhsa_system_sgpr_workgroup_id_y 0
		.amdhsa_system_sgpr_workgroup_id_z 0
		.amdhsa_system_sgpr_workgroup_info 0
		.amdhsa_system_vgpr_workitem_id 0
		.amdhsa_next_free_vgpr 37
		.amdhsa_next_free_sgpr 34
		.amdhsa_reserve_vcc 1
		.amdhsa_float_round_mode_32 0
		.amdhsa_float_round_mode_16_64 0
		.amdhsa_float_denorm_mode_32 3
		.amdhsa_float_denorm_mode_16_64 3
		.amdhsa_dx10_clamp 1
		.amdhsa_ieee_mode 1
		.amdhsa_fp16_overflow 0
		.amdhsa_workgroup_processor_mode 1
		.amdhsa_memory_ordered 1
		.amdhsa_forward_progress 0
		.amdhsa_shared_vgpr_count 0
		.amdhsa_exception_fp_ieee_invalid_op 0
		.amdhsa_exception_fp_denorm_src 0
		.amdhsa_exception_fp_ieee_div_zero 0
		.amdhsa_exception_fp_ieee_overflow 0
		.amdhsa_exception_fp_ieee_underflow 0
		.amdhsa_exception_fp_ieee_inexact 0
		.amdhsa_exception_int_div_zero 0
	.end_amdhsa_kernel
	.section	.text._ZL18flash_attn_ext_f16ILi192ELi128ELi2ELi8ELb1ELb0EEvPKcS1_S1_S1_S1_PKiPfP15HIP_vector_typeIfLj2EEffffjfiS5_IjLj3EEiiiiiiiiiiiliiliiiiil,"axG",@progbits,_ZL18flash_attn_ext_f16ILi192ELi128ELi2ELi8ELb1ELb0EEvPKcS1_S1_S1_S1_PKiPfP15HIP_vector_typeIfLj2EEffffjfiS5_IjLj3EEiiiiiiiiiiiliiliiiiil,comdat
.Lfunc_end30:
	.size	_ZL18flash_attn_ext_f16ILi192ELi128ELi2ELi8ELb1ELb0EEvPKcS1_S1_S1_S1_PKiPfP15HIP_vector_typeIfLj2EEffffjfiS5_IjLj3EEiiiiiiiiiiiliiliiiiil, .Lfunc_end30-_ZL18flash_attn_ext_f16ILi192ELi128ELi2ELi8ELb1ELb0EEvPKcS1_S1_S1_S1_PKiPfP15HIP_vector_typeIfLj2EEffffjfiS5_IjLj3EEiiiiiiiiiiiliiliiiiil
                                        ; -- End function
	.section	.AMDGPU.csdata,"",@progbits
; Kernel info:
; codeLenInByte = 52
; NumSgprs: 36
; NumVgprs: 37
; ScratchSize: 16
; MemoryBound: 0
; FloatMode: 240
; IeeeMode: 1
; LDSByteSize: 0 bytes/workgroup (compile time only)
; SGPRBlocks: 4
; VGPRBlocks: 4
; NumSGPRsForWavesPerEU: 36
; NumVGPRsForWavesPerEU: 37
; Occupancy: 16
; WaveLimiterHint : 1
; COMPUTE_PGM_RSRC2:SCRATCH_EN: 1
; COMPUTE_PGM_RSRC2:USER_SGPR: 15
; COMPUTE_PGM_RSRC2:TRAP_HANDLER: 0
; COMPUTE_PGM_RSRC2:TGID_X_EN: 1
; COMPUTE_PGM_RSRC2:TGID_Y_EN: 0
; COMPUTE_PGM_RSRC2:TGID_Z_EN: 0
; COMPUTE_PGM_RSRC2:TIDIG_COMP_CNT: 0
	.section	.text._ZL18flash_attn_ext_f16ILi256ELi256ELi2ELi8ELb0ELb0EEvPKcS1_S1_S1_S1_PKiPfP15HIP_vector_typeIfLj2EEffffjfiS5_IjLj3EEiiiiiiiiiiiliiliiiiil,"axG",@progbits,_ZL18flash_attn_ext_f16ILi256ELi256ELi2ELi8ELb0ELb0EEvPKcS1_S1_S1_S1_PKiPfP15HIP_vector_typeIfLj2EEffffjfiS5_IjLj3EEiiiiiiiiiiiliiliiiiil,comdat
	.globl	_ZL18flash_attn_ext_f16ILi256ELi256ELi2ELi8ELb0ELb0EEvPKcS1_S1_S1_S1_PKiPfP15HIP_vector_typeIfLj2EEffffjfiS5_IjLj3EEiiiiiiiiiiiliiliiiiil ; -- Begin function _ZL18flash_attn_ext_f16ILi256ELi256ELi2ELi8ELb0ELb0EEvPKcS1_S1_S1_S1_PKiPfP15HIP_vector_typeIfLj2EEffffjfiS5_IjLj3EEiiiiiiiiiiiliiliiiiil
	.p2align	8
	.type	_ZL18flash_attn_ext_f16ILi256ELi256ELi2ELi8ELb0ELb0EEvPKcS1_S1_S1_S1_PKiPfP15HIP_vector_typeIfLj2EEffffjfiS5_IjLj3EEiiiiiiiiiiiliiliiiiil,@function
_ZL18flash_attn_ext_f16ILi256ELi256ELi2ELi8ELb0ELb0EEvPKcS1_S1_S1_S1_PKiPfP15HIP_vector_typeIfLj2EEffffjfiS5_IjLj3EEiiiiiiiiiiiliiliiiiil: ; @_ZL18flash_attn_ext_f16ILi256ELi256ELi2ELi8ELb0ELb0EEvPKcS1_S1_S1_S1_PKiPfP15HIP_vector_typeIfLj2EEffffjfiS5_IjLj3EEiiiiiiiiiiiliiliiiiil
; %bb.0:
	v_mov_b32_e32 v0, 0x6e3
	s_add_u32 s8, s0, 0xd0
	s_addc_u32 s9, s1, 0
	s_mov_b32 s32, 0
	s_getpc_b64 s[0:1]
	s_add_u32 s0, s0, _ZL14no_device_codePKciS0_iS0_@rel32@lo+4
	s_addc_u32 s1, s1, _ZL14no_device_codePKciS0_iS0_@rel32@hi+12
	s_delay_alu instid0(SALU_CYCLE_1)
	s_swappc_b64 s[30:31], s[0:1]
	.section	.rodata,"a",@progbits
	.p2align	6, 0x0
	.amdhsa_kernel _ZL18flash_attn_ext_f16ILi256ELi256ELi2ELi8ELb0ELb0EEvPKcS1_S1_S1_S1_PKiPfP15HIP_vector_typeIfLj2EEffffjfiS5_IjLj3EEiiiiiiiiiiiliiliiiiil
		.amdhsa_group_segment_fixed_size 0
		.amdhsa_private_segment_fixed_size 16
		.amdhsa_kernarg_size 464
		.amdhsa_user_sgpr_count 15
		.amdhsa_user_sgpr_dispatch_ptr 0
		.amdhsa_user_sgpr_queue_ptr 0
		.amdhsa_user_sgpr_kernarg_segment_ptr 1
		.amdhsa_user_sgpr_dispatch_id 0
		.amdhsa_user_sgpr_private_segment_size 0
		.amdhsa_wavefront_size32 1
		.amdhsa_uses_dynamic_stack 0
		.amdhsa_enable_private_segment 1
		.amdhsa_system_sgpr_workgroup_id_x 1
		.amdhsa_system_sgpr_workgroup_id_y 0
		.amdhsa_system_sgpr_workgroup_id_z 0
		.amdhsa_system_sgpr_workgroup_info 0
		.amdhsa_system_vgpr_workitem_id 0
		.amdhsa_next_free_vgpr 37
		.amdhsa_next_free_sgpr 34
		.amdhsa_reserve_vcc 1
		.amdhsa_float_round_mode_32 0
		.amdhsa_float_round_mode_16_64 0
		.amdhsa_float_denorm_mode_32 3
		.amdhsa_float_denorm_mode_16_64 3
		.amdhsa_dx10_clamp 1
		.amdhsa_ieee_mode 1
		.amdhsa_fp16_overflow 0
		.amdhsa_workgroup_processor_mode 1
		.amdhsa_memory_ordered 1
		.amdhsa_forward_progress 0
		.amdhsa_shared_vgpr_count 0
		.amdhsa_exception_fp_ieee_invalid_op 0
		.amdhsa_exception_fp_denorm_src 0
		.amdhsa_exception_fp_ieee_div_zero 0
		.amdhsa_exception_fp_ieee_overflow 0
		.amdhsa_exception_fp_ieee_underflow 0
		.amdhsa_exception_fp_ieee_inexact 0
		.amdhsa_exception_int_div_zero 0
	.end_amdhsa_kernel
	.section	.text._ZL18flash_attn_ext_f16ILi256ELi256ELi2ELi8ELb0ELb0EEvPKcS1_S1_S1_S1_PKiPfP15HIP_vector_typeIfLj2EEffffjfiS5_IjLj3EEiiiiiiiiiiiliiliiiiil,"axG",@progbits,_ZL18flash_attn_ext_f16ILi256ELi256ELi2ELi8ELb0ELb0EEvPKcS1_S1_S1_S1_PKiPfP15HIP_vector_typeIfLj2EEffffjfiS5_IjLj3EEiiiiiiiiiiiliiliiiiil,comdat
.Lfunc_end31:
	.size	_ZL18flash_attn_ext_f16ILi256ELi256ELi2ELi8ELb0ELb0EEvPKcS1_S1_S1_S1_PKiPfP15HIP_vector_typeIfLj2EEffffjfiS5_IjLj3EEiiiiiiiiiiiliiliiiiil, .Lfunc_end31-_ZL18flash_attn_ext_f16ILi256ELi256ELi2ELi8ELb0ELb0EEvPKcS1_S1_S1_S1_PKiPfP15HIP_vector_typeIfLj2EEffffjfiS5_IjLj3EEiiiiiiiiiiiliiliiiiil
                                        ; -- End function
	.section	.AMDGPU.csdata,"",@progbits
; Kernel info:
; codeLenInByte = 52
; NumSgprs: 36
; NumVgprs: 37
; ScratchSize: 16
; MemoryBound: 0
; FloatMode: 240
; IeeeMode: 1
; LDSByteSize: 0 bytes/workgroup (compile time only)
; SGPRBlocks: 4
; VGPRBlocks: 4
; NumSGPRsForWavesPerEU: 36
; NumVGPRsForWavesPerEU: 37
; Occupancy: 16
; WaveLimiterHint : 1
; COMPUTE_PGM_RSRC2:SCRATCH_EN: 1
; COMPUTE_PGM_RSRC2:USER_SGPR: 15
; COMPUTE_PGM_RSRC2:TRAP_HANDLER: 0
; COMPUTE_PGM_RSRC2:TGID_X_EN: 1
; COMPUTE_PGM_RSRC2:TGID_Y_EN: 0
; COMPUTE_PGM_RSRC2:TGID_Z_EN: 0
; COMPUTE_PGM_RSRC2:TIDIG_COMP_CNT: 0
	.section	.text._ZL18flash_attn_ext_f16ILi256ELi256ELi2ELi8ELb1ELb0EEvPKcS1_S1_S1_S1_PKiPfP15HIP_vector_typeIfLj2EEffffjfiS5_IjLj3EEiiiiiiiiiiiliiliiiiil,"axG",@progbits,_ZL18flash_attn_ext_f16ILi256ELi256ELi2ELi8ELb1ELb0EEvPKcS1_S1_S1_S1_PKiPfP15HIP_vector_typeIfLj2EEffffjfiS5_IjLj3EEiiiiiiiiiiiliiliiiiil,comdat
	.globl	_ZL18flash_attn_ext_f16ILi256ELi256ELi2ELi8ELb1ELb0EEvPKcS1_S1_S1_S1_PKiPfP15HIP_vector_typeIfLj2EEffffjfiS5_IjLj3EEiiiiiiiiiiiliiliiiiil ; -- Begin function _ZL18flash_attn_ext_f16ILi256ELi256ELi2ELi8ELb1ELb0EEvPKcS1_S1_S1_S1_PKiPfP15HIP_vector_typeIfLj2EEffffjfiS5_IjLj3EEiiiiiiiiiiiliiliiiiil
	.p2align	8
	.type	_ZL18flash_attn_ext_f16ILi256ELi256ELi2ELi8ELb1ELb0EEvPKcS1_S1_S1_S1_PKiPfP15HIP_vector_typeIfLj2EEffffjfiS5_IjLj3EEiiiiiiiiiiiliiliiiiil,@function
_ZL18flash_attn_ext_f16ILi256ELi256ELi2ELi8ELb1ELb0EEvPKcS1_S1_S1_S1_PKiPfP15HIP_vector_typeIfLj2EEffffjfiS5_IjLj3EEiiiiiiiiiiiliiliiiiil: ; @_ZL18flash_attn_ext_f16ILi256ELi256ELi2ELi8ELb1ELb0EEvPKcS1_S1_S1_S1_PKiPfP15HIP_vector_typeIfLj2EEffffjfiS5_IjLj3EEiiiiiiiiiiiliiliiiiil
; %bb.0:
	v_mov_b32_e32 v0, 0x6e3
	s_add_u32 s8, s0, 0xd0
	s_addc_u32 s9, s1, 0
	s_mov_b32 s32, 0
	s_getpc_b64 s[0:1]
	s_add_u32 s0, s0, _ZL14no_device_codePKciS0_iS0_@rel32@lo+4
	s_addc_u32 s1, s1, _ZL14no_device_codePKciS0_iS0_@rel32@hi+12
	s_delay_alu instid0(SALU_CYCLE_1)
	s_swappc_b64 s[30:31], s[0:1]
	.section	.rodata,"a",@progbits
	.p2align	6, 0x0
	.amdhsa_kernel _ZL18flash_attn_ext_f16ILi256ELi256ELi2ELi8ELb1ELb0EEvPKcS1_S1_S1_S1_PKiPfP15HIP_vector_typeIfLj2EEffffjfiS5_IjLj3EEiiiiiiiiiiiliiliiiiil
		.amdhsa_group_segment_fixed_size 0
		.amdhsa_private_segment_fixed_size 16
		.amdhsa_kernarg_size 464
		.amdhsa_user_sgpr_count 15
		.amdhsa_user_sgpr_dispatch_ptr 0
		.amdhsa_user_sgpr_queue_ptr 0
		.amdhsa_user_sgpr_kernarg_segment_ptr 1
		.amdhsa_user_sgpr_dispatch_id 0
		.amdhsa_user_sgpr_private_segment_size 0
		.amdhsa_wavefront_size32 1
		.amdhsa_uses_dynamic_stack 0
		.amdhsa_enable_private_segment 1
		.amdhsa_system_sgpr_workgroup_id_x 1
		.amdhsa_system_sgpr_workgroup_id_y 0
		.amdhsa_system_sgpr_workgroup_id_z 0
		.amdhsa_system_sgpr_workgroup_info 0
		.amdhsa_system_vgpr_workitem_id 0
		.amdhsa_next_free_vgpr 37
		.amdhsa_next_free_sgpr 34
		.amdhsa_reserve_vcc 1
		.amdhsa_float_round_mode_32 0
		.amdhsa_float_round_mode_16_64 0
		.amdhsa_float_denorm_mode_32 3
		.amdhsa_float_denorm_mode_16_64 3
		.amdhsa_dx10_clamp 1
		.amdhsa_ieee_mode 1
		.amdhsa_fp16_overflow 0
		.amdhsa_workgroup_processor_mode 1
		.amdhsa_memory_ordered 1
		.amdhsa_forward_progress 0
		.amdhsa_shared_vgpr_count 0
		.amdhsa_exception_fp_ieee_invalid_op 0
		.amdhsa_exception_fp_denorm_src 0
		.amdhsa_exception_fp_ieee_div_zero 0
		.amdhsa_exception_fp_ieee_overflow 0
		.amdhsa_exception_fp_ieee_underflow 0
		.amdhsa_exception_fp_ieee_inexact 0
		.amdhsa_exception_int_div_zero 0
	.end_amdhsa_kernel
	.section	.text._ZL18flash_attn_ext_f16ILi256ELi256ELi2ELi8ELb1ELb0EEvPKcS1_S1_S1_S1_PKiPfP15HIP_vector_typeIfLj2EEffffjfiS5_IjLj3EEiiiiiiiiiiiliiliiiiil,"axG",@progbits,_ZL18flash_attn_ext_f16ILi256ELi256ELi2ELi8ELb1ELb0EEvPKcS1_S1_S1_S1_PKiPfP15HIP_vector_typeIfLj2EEffffjfiS5_IjLj3EEiiiiiiiiiiiliiliiiiil,comdat
.Lfunc_end32:
	.size	_ZL18flash_attn_ext_f16ILi256ELi256ELi2ELi8ELb1ELb0EEvPKcS1_S1_S1_S1_PKiPfP15HIP_vector_typeIfLj2EEffffjfiS5_IjLj3EEiiiiiiiiiiiliiliiiiil, .Lfunc_end32-_ZL18flash_attn_ext_f16ILi256ELi256ELi2ELi8ELb1ELb0EEvPKcS1_S1_S1_S1_PKiPfP15HIP_vector_typeIfLj2EEffffjfiS5_IjLj3EEiiiiiiiiiiiliiliiiiil
                                        ; -- End function
	.section	.AMDGPU.csdata,"",@progbits
; Kernel info:
; codeLenInByte = 52
; NumSgprs: 36
; NumVgprs: 37
; ScratchSize: 16
; MemoryBound: 0
; FloatMode: 240
; IeeeMode: 1
; LDSByteSize: 0 bytes/workgroup (compile time only)
; SGPRBlocks: 4
; VGPRBlocks: 4
; NumSGPRsForWavesPerEU: 36
; NumVGPRsForWavesPerEU: 37
; Occupancy: 16
; WaveLimiterHint : 1
; COMPUTE_PGM_RSRC2:SCRATCH_EN: 1
; COMPUTE_PGM_RSRC2:USER_SGPR: 15
; COMPUTE_PGM_RSRC2:TRAP_HANDLER: 0
; COMPUTE_PGM_RSRC2:TGID_X_EN: 1
; COMPUTE_PGM_RSRC2:TGID_Y_EN: 0
; COMPUTE_PGM_RSRC2:TGID_Z_EN: 0
; COMPUTE_PGM_RSRC2:TIDIG_COMP_CNT: 0
	.section	.text._ZL33flash_attn_stream_k_fixup_uniformILi256ELi2ELi8EEvPfPK15HIP_vector_typeIfLj2EEiiiiiiS1_IjLj3EES5_S5_,"axG",@progbits,_ZL33flash_attn_stream_k_fixup_uniformILi256ELi2ELi8EEvPfPK15HIP_vector_typeIfLj2EEiiiiiiS1_IjLj3EES5_S5_,comdat
	.globl	_ZL33flash_attn_stream_k_fixup_uniformILi256ELi2ELi8EEvPfPK15HIP_vector_typeIfLj2EEiiiiiiS1_IjLj3EES5_S5_ ; -- Begin function _ZL33flash_attn_stream_k_fixup_uniformILi256ELi2ELi8EEvPfPK15HIP_vector_typeIfLj2EEiiiiiiS1_IjLj3EES5_S5_
	.p2align	8
	.type	_ZL33flash_attn_stream_k_fixup_uniformILi256ELi2ELi8EEvPfPK15HIP_vector_typeIfLj2EEiiiiiiS1_IjLj3EES5_S5_,@function
_ZL33flash_attn_stream_k_fixup_uniformILi256ELi2ELi8EEvPfPK15HIP_vector_typeIfLj2EEiiiiiiS1_IjLj3EES5_S5_: ; @_ZL33flash_attn_stream_k_fixup_uniformILi256ELi2ELi8EEvPfPK15HIP_vector_typeIfLj2EEiiiiiiS1_IjLj3EES5_S5_
; %bb.0:
	s_clause 0x1
	s_load_b256 s[4:11], s[0:1], 0x1c
	s_load_b128 s[16:19], s[0:1], 0x3c
	s_waitcnt lgkmcnt(0)
	s_mul_hi_u32 s2, s7, s13
	s_delay_alu instid0(SALU_CYCLE_1) | instskip(NEXT) | instid1(SALU_CYCLE_1)
	s_add_i32 s2, s13, s2
	s_lshr_b32 s2, s2, s8
	s_delay_alu instid0(SALU_CYCLE_1) | instskip(SKIP_2) | instid1(SALU_CYCLE_1)
	s_mul_i32 s3, s2, s9
	s_load_b64 s[8:9], s[0:1], 0x10
	s_sub_i32 s7, s13, s3
	s_mul_hi_u32 s3, s7, s10
	s_delay_alu instid0(SALU_CYCLE_1) | instskip(NEXT) | instid1(SALU_CYCLE_1)
	s_add_i32 s3, s7, s3
	s_lshr_b32 s3, s3, s11
	s_delay_alu instid0(SALU_CYCLE_1) | instskip(NEXT) | instid1(SALU_CYCLE_1)
	s_mul_i32 s10, s3, s16
	s_sub_i32 s7, s7, s10
	s_delay_alu instid0(SALU_CYCLE_1) | instskip(NEXT) | instid1(SALU_CYCLE_1)
	s_mul_hi_u32 s10, s7, s17
	s_add_i32 s10, s7, s10
	s_delay_alu instid0(SALU_CYCLE_1) | instskip(NEXT) | instid1(SALU_CYCLE_1)
	s_lshr_b32 s10, s10, s18
	s_mul_i32 s11, s10, s19
	s_lshl_b32 s10, s10, 3
	s_sub_i32 s7, s7, s11
	s_delay_alu instid0(SALU_CYCLE_1) | instskip(NEXT) | instid1(SALU_CYCLE_1)
	s_lshl_b32 s11, s7, 1
	s_add_i32 s11, s11, s14
	s_waitcnt lgkmcnt(0)
	s_cmp_lt_i32 s11, s8
	s_cselect_b32 s11, -1, 0
	s_add_i32 s12, s10, s15
	s_delay_alu instid0(SALU_CYCLE_1) | instskip(SKIP_1) | instid1(SALU_CYCLE_1)
	s_cmp_lt_i32 s12, s5
	s_cselect_b32 s12, -1, 0
	s_and_b32 s11, s11, s12
	s_delay_alu instid0(SALU_CYCLE_1)
	s_and_not1_b32 vcc_lo, exec_lo, s11
	s_cbranch_vccnz .LBB33_6
; %bb.1:
	s_mul_i32 s2, s2, s8
	s_mul_i32 s5, s3, s5
	s_add_i32 s2, s2, s14
	s_mul_i32 s7, s9, s7
	s_mul_i32 s2, s2, s9
	s_lshl_b32 s7, s7, 9
	s_add_i32 s8, s2, s15
	s_load_b128 s[0:3], s[0:1], 0x0
	s_add_i32 s5, s8, s5
	s_lshl_b32 s9, s14, 3
	s_add_i32 s5, s5, s10
	s_delay_alu instid0(SALU_CYCLE_1) | instskip(NEXT) | instid1(SALU_CYCLE_1)
	s_lshl_b32 s5, s5, 8
	s_add_i32 s7, s7, s5
	s_mul_i32 s5, s13, s6
	v_or_b32_e32 v1, s7, v0
	s_add_i32 s10, s5, s6
	s_delay_alu instid0(VALU_DEP_1) | instskip(NEXT) | instid1(VALU_DEP_1)
	v_ashrrev_i32_e32 v2, 31, v1
	v_lshlrev_b64 v[1:2], 2, v[1:2]
	s_waitcnt lgkmcnt(0)
	s_delay_alu instid0(VALU_DEP_1) | instskip(NEXT) | instid1(VALU_DEP_2)
	v_add_co_u32 v1, vcc_lo, s0, v1
	v_add_co_ci_u32_e32 v2, vcc_lo, s1, v2, vcc_lo
	s_add_i32 s0, s9, s15
	s_lshl_b32 s1, s10, 4
	s_delay_alu instid0(SALU_CYCLE_1) | instskip(SKIP_2) | instid1(SALU_CYCLE_1)
	s_add_i32 s0, s0, s1
	global_load_b32 v5, v[1:2], off
	s_add_i32 s0, s0, -16
	s_ashr_i32 s1, s0, 31
	s_delay_alu instid0(SALU_CYCLE_1) | instskip(NEXT) | instid1(SALU_CYCLE_1)
	s_lshl_b64 s[0:1], s[0:1], 3
	s_add_u32 s0, s2, s0
	s_addc_u32 s1, s3, s1
	s_add_i32 s7, s10, -2
	s_load_b32 s11, s[0:1], 0x4
	s_cmp_lt_i32 s7, s5
	s_cbranch_scc1 .LBB33_4
; %bb.2:
	s_lshl_b32 s16, s4, 6
	s_load_b32 s12, s[0:1], 0x0
	s_ashr_i32 s17, s16, 31
	s_delay_alu instid0(SALU_CYCLE_1) | instskip(NEXT) | instid1(SALU_CYCLE_1)
	s_lshl_b64 s[0:1], s[16:17], 2
	s_add_u32 s7, s2, s0
	s_addc_u32 s8, s3, s1
	s_add_i32 s13, s13, 1
	s_lshl_b32 s0, s14, 11
	s_lshl_b32 s1, s15, 8
	s_mul_i32 s6, s6, s13
	s_add_i32 s0, s1, s0
	s_lshl_b32 s1, s6, 12
	s_delay_alu instid0(SALU_CYCLE_1)
	s_add_i32 s0, s0, s1
	s_lshl_b32 s1, s6, 4
	v_or_b32_e32 v0, s0, v0
	s_lshl_b32 s0, s4, 4
	s_add_i32 s1, s15, s1
	s_waitcnt lgkmcnt(0)
	v_mov_b32_e32 v6, s11
	s_add_i32 s0, s1, s0
	v_dual_mov_b32 v0, s12 :: v_dual_add_nc_u32 v3, 0xffffe000, v0
	s_add_i32 s0, s0, s9
	s_add_i32 s4, s10, -1
	s_sub_i32 s0, s0, 32
.LBB33_3:                               ; =>This Inner Loop Header: Depth=1
	s_delay_alu instid0(VALU_DEP_1) | instskip(SKIP_1) | instid1(SALU_CYCLE_1)
	v_ashrrev_i32_e32 v4, 31, v3
	s_ashr_i32 s1, s0, 31
	s_lshl_b64 s[10:11], s[0:1], 3
	s_delay_alu instid0(SALU_CYCLE_1) | instskip(NEXT) | instid1(VALU_DEP_1)
	s_add_u32 s10, s2, s10
	v_lshlrev_b64 v[7:8], 2, v[3:4]
	s_addc_u32 s11, s3, s11
	s_add_i32 s4, s4, -1
	s_add_i32 s0, s0, -16
	s_cmp_le_i32 s4, s5
	s_load_b64 s[10:11], s[10:11], 0x0
	v_add_co_u32 v7, vcc_lo, s7, v7
	v_add_co_ci_u32_e32 v8, vcc_lo, s8, v8, vcc_lo
	global_load_b32 v4, v[7:8], off
	v_max_f32_e32 v7, v0, v0
	s_waitcnt lgkmcnt(0)
	v_max_f32_e64 v8, s10, s10
	s_delay_alu instid0(VALU_DEP_1) | instskip(NEXT) | instid1(VALU_DEP_1)
	v_max_f32_e32 v7, v7, v8
	v_sub_f32_e32 v8, s10, v7
	s_delay_alu instid0(VALU_DEP_1) | instskip(NEXT) | instid1(VALU_DEP_1)
	v_dual_sub_f32 v0, v0, v7 :: v_dual_mul_f32 v9, 0x3fb8aa3b, v8
	v_fma_f32 v10, 0x3fb8aa3b, v8, -v9
	v_rndne_f32_e32 v11, v9
	s_delay_alu instid0(VALU_DEP_3) | instskip(NEXT) | instid1(VALU_DEP_2)
	v_mul_f32_e32 v12, 0x3fb8aa3b, v0
	v_dual_fmac_f32 v10, 0x32a5705f, v8 :: v_dual_sub_f32 v9, v9, v11
	v_cvt_i32_f32_e32 v11, v11
	s_delay_alu instid0(VALU_DEP_3) | instskip(SKIP_1) | instid1(VALU_DEP_4)
	v_fma_f32 v13, 0x3fb8aa3b, v0, -v12
	v_rndne_f32_e32 v14, v12
	v_add_f32_e32 v9, v9, v10
	v_cmp_ngt_f32_e32 vcc_lo, 0xc2ce8ed0, v8
	s_delay_alu instid0(VALU_DEP_3) | instskip(NEXT) | instid1(VALU_DEP_3)
	v_sub_f32_e32 v10, v12, v14
	v_exp_f32_e32 v9, v9
	s_waitcnt_depctr 0xfff
	v_ldexp_f32 v9, v9, v11
	v_cvt_i32_f32_e32 v11, v14
	s_delay_alu instid0(VALU_DEP_2) | instskip(SKIP_1) | instid1(VALU_DEP_2)
	v_cndmask_b32_e32 v9, 0, v9, vcc_lo
	v_cmp_nlt_f32_e32 vcc_lo, 0x42b17218, v8
	v_cndmask_b32_e32 v9, 0x7f800000, v9, vcc_lo
	v_cmp_ngt_f32_e32 vcc_lo, 0xc2ce8ed0, v0
	v_fmac_f32_e32 v13, 0x32a5705f, v0
	s_delay_alu instid0(VALU_DEP_1) | instskip(NEXT) | instid1(VALU_DEP_1)
	v_add_f32_e32 v10, v10, v13
	v_exp_f32_e32 v10, v10
	s_waitcnt_depctr 0xfff
	v_ldexp_f32 v10, v10, v11
	s_delay_alu instid0(VALU_DEP_1)
	v_dual_mov_b32 v11, v6 :: v_dual_cndmask_b32 v10, 0, v10
	v_cmp_le_f32_e32 vcc_lo, 0xc1a00000, v8
	s_waitcnt vmcnt(1)
	v_dual_cndmask_b32 v8, 0, v9 :: v_dual_mov_b32 v9, v5
	v_cmp_nlt_f32_e32 vcc_lo, 0x42b17218, v0
	v_cndmask_b32_e32 v5, 0x7f800000, v10, vcc_lo
	s_delay_alu instid0(VALU_DEP_3) | instskip(SKIP_2) | instid1(VALU_DEP_3)
	v_mul_f32_e32 v10, s11, v8
	v_cmp_le_f32_e32 vcc_lo, 0xc1a00000, v0
	v_mov_b32_e32 v0, v7
	v_mov_b32_e32 v6, v10
	s_waitcnt vmcnt(0)
	v_dual_cndmask_b32 v12, 0, v5 :: v_dual_mul_f32 v5, v4, v8
	s_delay_alu instid0(VALU_DEP_1) | instskip(NEXT) | instid1(VALU_DEP_2)
	v_dual_fmac_f32 v6, v11, v12 :: v_dual_add_nc_u32 v3, 0xfffff000, v3
	v_fmac_f32_e32 v5, v9, v12
	s_cbranch_scc0 .LBB33_3
	s_branch .LBB33_5
.LBB33_4:
	s_waitcnt lgkmcnt(0)
	v_mov_b32_e32 v6, s11
.LBB33_5:
	s_waitcnt vmcnt(0)
	s_delay_alu instid0(VALU_DEP_1) | instskip(NEXT) | instid1(VALU_DEP_1)
	v_div_scale_f32 v0, null, v6, v6, v5
	v_rcp_f32_e32 v3, v0
	s_waitcnt_depctr 0xfff
	v_fma_f32 v4, -v0, v3, 1.0
	s_delay_alu instid0(VALU_DEP_1) | instskip(SKIP_1) | instid1(VALU_DEP_1)
	v_fmac_f32_e32 v3, v4, v3
	v_div_scale_f32 v4, vcc_lo, v5, v6, v5
	v_mul_f32_e32 v7, v4, v3
	s_delay_alu instid0(VALU_DEP_1) | instskip(NEXT) | instid1(VALU_DEP_1)
	v_fma_f32 v8, -v0, v7, v4
	v_fmac_f32_e32 v7, v8, v3
	s_delay_alu instid0(VALU_DEP_1) | instskip(NEXT) | instid1(VALU_DEP_1)
	v_fma_f32 v0, -v0, v7, v4
	v_div_fmas_f32 v0, v0, v3, v7
	s_delay_alu instid0(VALU_DEP_1)
	v_div_fixup_f32 v0, v0, v6, v5
	global_store_b32 v[1:2], v0, off
.LBB33_6:
	s_nop 0
	s_sendmsg sendmsg(MSG_DEALLOC_VGPRS)
	s_endpgm
	.section	.rodata,"a",@progbits
	.p2align	6, 0x0
	.amdhsa_kernel _ZL33flash_attn_stream_k_fixup_uniformILi256ELi2ELi8EEvPfPK15HIP_vector_typeIfLj2EEiiiiiiS1_IjLj3EES5_S5_
		.amdhsa_group_segment_fixed_size 0
		.amdhsa_private_segment_fixed_size 0
		.amdhsa_kernarg_size 76
		.amdhsa_user_sgpr_count 13
		.amdhsa_user_sgpr_dispatch_ptr 0
		.amdhsa_user_sgpr_queue_ptr 0
		.amdhsa_user_sgpr_kernarg_segment_ptr 1
		.amdhsa_user_sgpr_dispatch_id 0
		.amdhsa_user_sgpr_private_segment_size 0
		.amdhsa_wavefront_size32 1
		.amdhsa_uses_dynamic_stack 0
		.amdhsa_enable_private_segment 0
		.amdhsa_system_sgpr_workgroup_id_x 1
		.amdhsa_system_sgpr_workgroup_id_y 1
		.amdhsa_system_sgpr_workgroup_id_z 1
		.amdhsa_system_sgpr_workgroup_info 0
		.amdhsa_system_vgpr_workitem_id 0
		.amdhsa_next_free_vgpr 15
		.amdhsa_next_free_sgpr 20
		.amdhsa_reserve_vcc 1
		.amdhsa_float_round_mode_32 0
		.amdhsa_float_round_mode_16_64 0
		.amdhsa_float_denorm_mode_32 3
		.amdhsa_float_denorm_mode_16_64 3
		.amdhsa_dx10_clamp 1
		.amdhsa_ieee_mode 1
		.amdhsa_fp16_overflow 0
		.amdhsa_workgroup_processor_mode 1
		.amdhsa_memory_ordered 1
		.amdhsa_forward_progress 0
		.amdhsa_shared_vgpr_count 0
		.amdhsa_exception_fp_ieee_invalid_op 0
		.amdhsa_exception_fp_denorm_src 0
		.amdhsa_exception_fp_ieee_div_zero 0
		.amdhsa_exception_fp_ieee_overflow 0
		.amdhsa_exception_fp_ieee_underflow 0
		.amdhsa_exception_fp_ieee_inexact 0
		.amdhsa_exception_int_div_zero 0
	.end_amdhsa_kernel
	.section	.text._ZL33flash_attn_stream_k_fixup_uniformILi256ELi2ELi8EEvPfPK15HIP_vector_typeIfLj2EEiiiiiiS1_IjLj3EES5_S5_,"axG",@progbits,_ZL33flash_attn_stream_k_fixup_uniformILi256ELi2ELi8EEvPfPK15HIP_vector_typeIfLj2EEiiiiiiS1_IjLj3EES5_S5_,comdat
.Lfunc_end33:
	.size	_ZL33flash_attn_stream_k_fixup_uniformILi256ELi2ELi8EEvPfPK15HIP_vector_typeIfLj2EEiiiiiiS1_IjLj3EES5_S5_, .Lfunc_end33-_ZL33flash_attn_stream_k_fixup_uniformILi256ELi2ELi8EEvPfPK15HIP_vector_typeIfLj2EEiiiiiiS1_IjLj3EES5_S5_
                                        ; -- End function
	.section	.AMDGPU.csdata,"",@progbits
; Kernel info:
; codeLenInByte = 996
; NumSgprs: 22
; NumVgprs: 15
; ScratchSize: 0
; MemoryBound: 0
; FloatMode: 240
; IeeeMode: 1
; LDSByteSize: 0 bytes/workgroup (compile time only)
; SGPRBlocks: 2
; VGPRBlocks: 1
; NumSGPRsForWavesPerEU: 22
; NumVGPRsForWavesPerEU: 15
; Occupancy: 16
; WaveLimiterHint : 0
; COMPUTE_PGM_RSRC2:SCRATCH_EN: 0
; COMPUTE_PGM_RSRC2:USER_SGPR: 13
; COMPUTE_PGM_RSRC2:TRAP_HANDLER: 0
; COMPUTE_PGM_RSRC2:TGID_X_EN: 1
; COMPUTE_PGM_RSRC2:TGID_Y_EN: 1
; COMPUTE_PGM_RSRC2:TGID_Z_EN: 1
; COMPUTE_PGM_RSRC2:TIDIG_COMP_CNT: 0
	.section	.text._ZL33flash_attn_stream_k_fixup_generalILi256ELi2ELi8EEvPfPK15HIP_vector_typeIfLj2EEiiiiS1_IjLj3EES5_S5_S5_,"axG",@progbits,_ZL33flash_attn_stream_k_fixup_generalILi256ELi2ELi8EEvPfPK15HIP_vector_typeIfLj2EEiiiiS1_IjLj3EES5_S5_S5_,comdat
	.globl	_ZL33flash_attn_stream_k_fixup_generalILi256ELi2ELi8EEvPfPK15HIP_vector_typeIfLj2EEiiiiS1_IjLj3EES5_S5_S5_ ; -- Begin function _ZL33flash_attn_stream_k_fixup_generalILi256ELi2ELi8EEvPfPK15HIP_vector_typeIfLj2EEiiiiS1_IjLj3EES5_S5_S5_
	.p2align	8
	.type	_ZL33flash_attn_stream_k_fixup_generalILi256ELi2ELi8EEvPfPK15HIP_vector_typeIfLj2EEiiiiS1_IjLj3EES5_S5_S5_,@function
_ZL33flash_attn_stream_k_fixup_generalILi256ELi2ELi8EEvPfPK15HIP_vector_typeIfLj2EEiiiiS1_IjLj3EES5_S5_S5_: ; @_ZL33flash_attn_stream_k_fixup_generalILi256ELi2ELi8EEvPfPK15HIP_vector_typeIfLj2EEiiiiS1_IjLj3EES5_S5_S5_
; %bb.0:
	s_clause 0x1
	s_load_b128 s[4:7], s[0:1], 0x10
	s_load_b32 s20, s[0:1], 0x50
	s_mov_b32 s2, 0
	s_waitcnt lgkmcnt(0)
	s_mul_hi_i32 s3, s7, s13
	s_mul_i32 s12, s7, s13
	s_cmp_lg_u64 s[2:3], 0
	s_cbranch_scc0 .LBB34_21
; %bb.1:
	v_cvt_f32_ubyte0_e32 v1, 0
	v_cvt_f32_u32_e32 v2, s20
	s_sub_u32 s10, 0, s20
	s_subb_u32 s11, 0, 0
	s_delay_alu instid0(VALU_DEP_1) | instskip(NEXT) | instid1(VALU_DEP_1)
	v_fmamk_f32 v1, v1, 0x4f800000, v2
	v_rcp_f32_e32 v1, v1
	s_waitcnt_depctr 0xfff
	v_mul_f32_e32 v1, 0x5f7ffffc, v1
	s_delay_alu instid0(VALU_DEP_1) | instskip(NEXT) | instid1(VALU_DEP_1)
	v_mul_f32_e32 v2, 0x2f800000, v1
	v_trunc_f32_e32 v2, v2
	s_delay_alu instid0(VALU_DEP_1) | instskip(SKIP_1) | instid1(VALU_DEP_2)
	v_fmamk_f32 v1, v2, 0xcf800000, v1
	v_cvt_u32_f32_e32 v2, v2
	v_cvt_u32_f32_e32 v1, v1
	s_delay_alu instid0(VALU_DEP_2) | instskip(NEXT) | instid1(VALU_DEP_2)
	v_readfirstlane_b32 s8, v2
	v_readfirstlane_b32 s9, v1
	s_delay_alu instid0(VALU_DEP_2) | instskip(NEXT) | instid1(VALU_DEP_1)
	s_mul_i32 s16, s10, s8
	s_mul_hi_u32 s18, s10, s9
	s_mul_i32 s17, s11, s9
	s_add_i32 s16, s18, s16
	s_mul_i32 s19, s10, s9
	s_add_i32 s16, s16, s17
	s_mul_hi_u32 s18, s9, s19
	s_mul_hi_u32 s21, s8, s19
	s_mul_i32 s17, s8, s19
	s_mul_hi_u32 s19, s9, s16
	s_mul_i32 s9, s9, s16
	s_mul_hi_u32 s22, s8, s16
	s_add_u32 s9, s18, s9
	s_addc_u32 s18, 0, s19
	s_add_u32 s9, s9, s17
	s_mul_i32 s16, s8, s16
	s_addc_u32 s9, s18, s21
	s_addc_u32 s17, s22, 0
	s_add_u32 s9, s9, s16
	s_addc_u32 s16, 0, s17
	v_add_co_u32 v1, s9, v1, s9
	s_delay_alu instid0(VALU_DEP_1) | instskip(SKIP_1) | instid1(VALU_DEP_1)
	s_cmp_lg_u32 s9, 0
	s_addc_u32 s8, s8, s16
	v_readfirstlane_b32 s9, v1
	s_mul_i32 s16, s10, s8
	s_delay_alu instid0(VALU_DEP_1)
	s_mul_hi_u32 s17, s10, s9
	s_mul_i32 s11, s11, s9
	s_add_i32 s16, s17, s16
	s_mul_i32 s10, s10, s9
	s_add_i32 s16, s16, s11
	s_mul_hi_u32 s17, s8, s10
	s_mul_i32 s18, s8, s10
	s_mul_hi_u32 s10, s9, s10
	s_mul_hi_u32 s19, s9, s16
	s_mul_i32 s9, s9, s16
	s_mul_hi_u32 s11, s8, s16
	s_add_u32 s9, s10, s9
	s_addc_u32 s10, 0, s19
	s_add_u32 s9, s9, s18
	s_mul_i32 s16, s8, s16
	s_addc_u32 s9, s10, s17
	s_addc_u32 s10, s11, 0
	s_add_u32 s9, s9, s16
	s_addc_u32 s10, 0, s10
	v_add_co_u32 v1, s9, v1, s9
	s_delay_alu instid0(VALU_DEP_1) | instskip(SKIP_2) | instid1(SALU_CYCLE_1)
	s_cmp_lg_u32 s9, 0
	s_addc_u32 s16, s8, s10
	s_ashr_i32 s8, s3, 31
	s_add_u32 s10, s12, s8
	s_addc_u32 s11, s3, s8
	v_readfirstlane_b32 s3, v1
	s_mov_b32 s9, s8
	s_delay_alu instid0(SALU_CYCLE_1) | instskip(NEXT) | instid1(SALU_CYCLE_1)
	s_xor_b64 s[10:11], s[10:11], s[8:9]
	s_mul_i32 s18, s10, s16
	s_delay_alu instid0(VALU_DEP_1)
	s_mul_hi_u32 s19, s10, s3
	s_mul_hi_u32 s17, s10, s16
	;; [unrolled: 1-line block ×3, first 2 shown]
	s_mul_i32 s3, s11, s3
	s_add_u32 s18, s19, s18
	s_addc_u32 s17, 0, s17
	s_mul_hi_u32 s21, s11, s16
	s_add_u32 s3, s18, s3
	s_mul_i32 s16, s11, s16
	s_addc_u32 s3, s17, s22
	s_addc_u32 s17, s21, 0
	s_add_u32 s3, s3, s16
	s_addc_u32 s16, 0, s17
	s_mul_i32 s18, s20, s3
	s_add_u32 s17, s3, 1
	v_sub_co_u32 v1, s10, s10, s18
	s_mul_hi_u32 s18, s20, s3
	s_addc_u32 s19, s16, 0
	s_mul_i32 s21, s20, s16
	s_delay_alu instid0(VALU_DEP_1)
	v_sub_co_u32 v2, s22, v1, s20
	s_add_u32 s23, s3, 2
	s_addc_u32 s24, s16, 0
	s_add_i32 s18, s18, s21
	s_cmp_lg_u32 s10, 0
	v_readfirstlane_b32 s10, v2
	s_subb_u32 s11, s11, s18
	s_cmp_lg_u32 s22, 0
	s_subb_u32 s18, s11, 0
	s_delay_alu instid0(VALU_DEP_1) | instskip(SKIP_4) | instid1(SALU_CYCLE_1)
	s_cmp_ge_u32 s10, s20
	s_cselect_b32 s10, -1, 0
	s_cmp_eq_u32 s18, 0
	v_readfirstlane_b32 s18, v1
	s_cselect_b32 s10, s10, -1
	s_cmp_lg_u32 s10, 0
	s_cselect_b32 s10, s23, s17
	s_cselect_b32 s17, s24, s19
	s_cmp_ge_u32 s18, s20
	s_cselect_b32 s18, -1, 0
	s_cmp_eq_u32 s11, 0
	s_cselect_b32 s11, s18, -1
	s_delay_alu instid0(SALU_CYCLE_1) | instskip(SKIP_2) | instid1(SALU_CYCLE_1)
	s_cmp_lg_u32 s11, 0
	s_cselect_b32 s11, s17, s16
	s_cselect_b32 s10, s10, s3
	s_xor_b64 s[10:11], s[10:11], s[8:9]
	s_delay_alu instid0(SALU_CYCLE_1)
	s_sub_u32 s16, s10, s8
	s_load_b128 s[8:11], s[0:1], 0x44
	s_and_not1_b32 vcc_lo, exec_lo, s2
	s_cbranch_vccnz .LBB34_3
.LBB34_2:
	v_cvt_f32_u32_e32 v1, s20
	s_sub_i32 s3, 0, s20
	s_delay_alu instid0(VALU_DEP_1) | instskip(SKIP_2) | instid1(VALU_DEP_1)
	v_rcp_iflag_f32_e32 v1, v1
	s_waitcnt_depctr 0xfff
	v_mul_f32_e32 v1, 0x4f7ffffe, v1
	v_cvt_u32_f32_e32 v1, v1
	s_delay_alu instid0(VALU_DEP_1) | instskip(NEXT) | instid1(VALU_DEP_1)
	v_readfirstlane_b32 s2, v1
	s_mul_i32 s3, s3, s2
	s_delay_alu instid0(SALU_CYCLE_1) | instskip(NEXT) | instid1(SALU_CYCLE_1)
	s_mul_hi_u32 s3, s2, s3
	s_add_i32 s2, s2, s3
	s_delay_alu instid0(SALU_CYCLE_1) | instskip(NEXT) | instid1(SALU_CYCLE_1)
	s_mul_hi_u32 s2, s12, s2
	s_mul_i32 s3, s2, s20
	s_waitcnt lgkmcnt(0)
	s_add_i32 s11, s2, 1
	s_sub_i32 s3, s12, s3
	s_delay_alu instid0(SALU_CYCLE_1)
	s_sub_i32 s12, s3, s20
	s_cmp_ge_u32 s3, s20
	s_cselect_b32 s2, s11, s2
	s_cselect_b32 s3, s12, s3
	s_add_i32 s11, s2, 1
	s_cmp_ge_u32 s3, s20
	s_cselect_b32 s16, s11, s2
.LBB34_3:
	s_waitcnt lgkmcnt(0)
	s_add_i32 s11, s13, 1
	s_mov_b32 s2, 0
	s_mul_hi_i32 s3, s7, s11
	s_mul_i32 s11, s7, s11
	s_cmp_lg_u64 s[2:3], 0
	s_cbranch_scc0 .LBB34_22
; %bb.4:
	v_cvt_f32_ubyte0_e32 v1, 0
	v_cvt_f32_u32_e32 v2, s20
	s_sub_u32 s18, 0, s20
	s_subb_u32 s19, 0, 0
	s_delay_alu instid0(VALU_DEP_1) | instskip(NEXT) | instid1(VALU_DEP_1)
	v_fmamk_f32 v1, v1, 0x4f800000, v2
	v_rcp_f32_e32 v1, v1
	s_waitcnt_depctr 0xfff
	v_mul_f32_e32 v1, 0x5f7ffffc, v1
	s_delay_alu instid0(VALU_DEP_1) | instskip(NEXT) | instid1(VALU_DEP_1)
	v_mul_f32_e32 v2, 0x2f800000, v1
	v_trunc_f32_e32 v2, v2
	s_delay_alu instid0(VALU_DEP_1) | instskip(SKIP_1) | instid1(VALU_DEP_2)
	v_fmamk_f32 v1, v2, 0xcf800000, v1
	v_cvt_u32_f32_e32 v2, v2
	v_cvt_u32_f32_e32 v1, v1
	s_delay_alu instid0(VALU_DEP_2) | instskip(NEXT) | instid1(VALU_DEP_2)
	v_readfirstlane_b32 s12, v2
	v_readfirstlane_b32 s17, v1
	s_delay_alu instid0(VALU_DEP_2) | instskip(NEXT) | instid1(VALU_DEP_1)
	s_mul_i32 s21, s18, s12
	s_mul_hi_u32 s23, s18, s17
	s_mul_i32 s22, s19, s17
	s_add_i32 s21, s23, s21
	s_mul_i32 s24, s18, s17
	s_add_i32 s21, s21, s22
	s_mul_hi_u32 s23, s17, s24
	s_mul_hi_u32 s25, s12, s24
	s_mul_i32 s22, s12, s24
	s_mul_hi_u32 s24, s17, s21
	s_mul_i32 s17, s17, s21
	s_mul_hi_u32 s26, s12, s21
	s_add_u32 s17, s23, s17
	s_addc_u32 s23, 0, s24
	s_add_u32 s17, s17, s22
	s_mul_i32 s21, s12, s21
	s_addc_u32 s17, s23, s25
	s_addc_u32 s22, s26, 0
	s_add_u32 s17, s17, s21
	s_addc_u32 s21, 0, s22
	v_add_co_u32 v1, s17, v1, s17
	s_delay_alu instid0(VALU_DEP_1) | instskip(SKIP_1) | instid1(VALU_DEP_1)
	s_cmp_lg_u32 s17, 0
	s_addc_u32 s12, s12, s21
	v_readfirstlane_b32 s17, v1
	s_mul_i32 s21, s18, s12
	s_delay_alu instid0(VALU_DEP_1)
	s_mul_hi_u32 s22, s18, s17
	s_mul_i32 s19, s19, s17
	s_add_i32 s21, s22, s21
	s_mul_i32 s18, s18, s17
	s_add_i32 s21, s21, s19
	s_mul_hi_u32 s22, s12, s18
	s_mul_i32 s23, s12, s18
	s_mul_hi_u32 s18, s17, s18
	s_mul_hi_u32 s24, s17, s21
	s_mul_i32 s17, s17, s21
	s_mul_hi_u32 s19, s12, s21
	s_add_u32 s17, s18, s17
	s_addc_u32 s18, 0, s24
	s_add_u32 s17, s17, s23
	s_mul_i32 s21, s12, s21
	s_addc_u32 s17, s18, s22
	s_addc_u32 s18, s19, 0
	s_add_u32 s17, s17, s21
	s_addc_u32 s18, 0, s18
	v_add_co_u32 v1, s17, v1, s17
	s_delay_alu instid0(VALU_DEP_1) | instskip(SKIP_2) | instid1(SALU_CYCLE_1)
	s_cmp_lg_u32 s17, 0
	s_addc_u32 s12, s12, s18
	s_ashr_i32 s18, s3, 31
	s_add_u32 s22, s11, s18
	s_addc_u32 s23, s3, s18
	v_readfirstlane_b32 s3, v1
	s_mov_b32 s19, s18
	s_delay_alu instid0(SALU_CYCLE_1) | instskip(NEXT) | instid1(SALU_CYCLE_1)
	s_xor_b64 s[22:23], s[22:23], s[18:19]
	s_mul_i32 s21, s22, s12
	s_delay_alu instid0(VALU_DEP_1)
	s_mul_hi_u32 s24, s22, s3
	s_mul_hi_u32 s17, s22, s12
	;; [unrolled: 1-line block ×3, first 2 shown]
	s_mul_i32 s3, s23, s3
	s_add_u32 s21, s24, s21
	s_addc_u32 s17, 0, s17
	s_mul_hi_u32 s25, s23, s12
	s_add_u32 s3, s21, s3
	s_mul_i32 s12, s23, s12
	s_addc_u32 s3, s17, s26
	s_addc_u32 s17, s25, 0
	s_add_u32 s3, s3, s12
	s_addc_u32 s12, 0, s17
	s_mul_i32 s21, s20, s3
	s_add_u32 s17, s3, 1
	v_sub_co_u32 v1, s21, s22, s21
	s_mul_hi_u32 s22, s20, s3
	s_addc_u32 s24, s12, 0
	s_mul_i32 s25, s20, s12
	s_delay_alu instid0(VALU_DEP_1)
	v_sub_co_u32 v2, s26, v1, s20
	s_add_u32 s27, s3, 2
	s_addc_u32 s28, s12, 0
	s_add_i32 s22, s22, s25
	s_cmp_lg_u32 s21, 0
	v_readfirstlane_b32 s21, v2
	s_subb_u32 s22, s23, s22
	s_cmp_lg_u32 s26, 0
	s_subb_u32 s23, s22, 0
	s_delay_alu instid0(VALU_DEP_1) | instskip(SKIP_4) | instid1(SALU_CYCLE_1)
	s_cmp_ge_u32 s21, s20
	s_cselect_b32 s21, -1, 0
	s_cmp_eq_u32 s23, 0
	v_readfirstlane_b32 s23, v1
	s_cselect_b32 s21, s21, -1
	s_cmp_lg_u32 s21, 0
	s_cselect_b32 s17, s27, s17
	s_cselect_b32 s21, s28, s24
	s_cmp_ge_u32 s23, s20
	s_cselect_b32 s23, -1, 0
	s_cmp_eq_u32 s22, 0
	s_cselect_b32 s22, s23, -1
	s_delay_alu instid0(SALU_CYCLE_1) | instskip(SKIP_2) | instid1(SALU_CYCLE_1)
	s_cmp_lg_u32 s22, 0
	s_cselect_b32 s23, s21, s12
	s_cselect_b32 s22, s17, s3
	s_xor_b64 s[22:23], s[22:23], s[18:19]
	s_delay_alu instid0(SALU_CYCLE_1)
	s_sub_u32 s18, s22, s18
	s_and_not1_b32 vcc_lo, exec_lo, s2
	s_cbranch_vccnz .LBB34_6
.LBB34_5:
	v_cvt_f32_u32_e32 v1, s20
	s_sub_i32 s3, 0, s20
	s_delay_alu instid0(VALU_DEP_1) | instskip(SKIP_2) | instid1(VALU_DEP_1)
	v_rcp_iflag_f32_e32 v1, v1
	s_waitcnt_depctr 0xfff
	v_mul_f32_e32 v1, 0x4f7ffffe, v1
	v_cvt_u32_f32_e32 v1, v1
	s_delay_alu instid0(VALU_DEP_1) | instskip(NEXT) | instid1(VALU_DEP_1)
	v_readfirstlane_b32 s2, v1
	s_mul_i32 s3, s3, s2
	s_delay_alu instid0(SALU_CYCLE_1) | instskip(NEXT) | instid1(SALU_CYCLE_1)
	s_mul_hi_u32 s3, s2, s3
	s_add_i32 s2, s2, s3
	s_delay_alu instid0(SALU_CYCLE_1) | instskip(NEXT) | instid1(SALU_CYCLE_1)
	s_mul_hi_u32 s2, s11, s2
	s_mul_i32 s3, s2, s20
	s_delay_alu instid0(SALU_CYCLE_1)
	s_sub_i32 s3, s11, s3
	s_add_i32 s11, s2, 1
	s_sub_i32 s12, s3, s20
	s_cmp_ge_u32 s3, s20
	s_cselect_b32 s2, s11, s2
	s_cselect_b32 s3, s12, s3
	s_add_i32 s11, s2, 1
	s_cmp_ge_u32 s3, s20
	s_cselect_b32 s18, s11, s2
.LBB34_6:
	s_delay_alu instid0(SALU_CYCLE_1) | instskip(SKIP_3) | instid1(SALU_CYCLE_1)
	s_cmp_eq_u32 s16, s18
	s_mul_hi_u32 s2, s16, s8
	s_cselect_b32 s3, -1, 0
	s_add_i32 s2, s2, s16
	s_lshr_b32 s11, s2, s9
	s_delay_alu instid0(SALU_CYCLE_1) | instskip(NEXT) | instid1(SALU_CYCLE_1)
	s_mul_i32 s2, s11, s10
	s_cmp_eq_u32 s2, s16
	s_mul_hi_u32 s2, s18, s8
	s_cselect_b32 s12, -1, 0
	s_add_i32 s2, s2, s18
	s_delay_alu instid0(SALU_CYCLE_1) | instskip(NEXT) | instid1(SALU_CYCLE_1)
	s_lshr_b32 s2, s2, s9
	s_cmp_eq_u32 s11, s2
	s_mul_i32 s2, s2, s10
	s_cselect_b32 s17, -1, 0
	s_cmp_lg_u32 s2, s18
	s_cselect_b32 s2, -1, 0
	s_or_b32 s3, s3, s12
	s_and_b32 s2, s17, s2
	s_delay_alu instid0(SALU_CYCLE_1) | instskip(NEXT) | instid1(SALU_CYCLE_1)
	s_or_b32 s2, s3, s2
	s_and_b32 vcc_lo, exec_lo, s2
	s_cbranch_vccnz .LBB34_24
; %bb.7:
	s_load_b256 s[24:31], s[0:1], 0x20
	s_waitcnt lgkmcnt(0)
	s_mul_hi_u32 s2, s16, s24
	s_delay_alu instid0(SALU_CYCLE_1) | instskip(NEXT) | instid1(SALU_CYCLE_1)
	s_add_i32 s2, s2, s16
	s_lshr_b32 s17, s2, s25
	s_load_b32 s2, s[0:1], 0x40
	s_mul_i32 s3, s17, s26
	s_delay_alu instid0(SALU_CYCLE_1) | instskip(NEXT) | instid1(SALU_CYCLE_1)
	s_sub_i32 s3, s16, s3
	s_mul_hi_u32 s12, s3, s27
	s_delay_alu instid0(SALU_CYCLE_1) | instskip(NEXT) | instid1(SALU_CYCLE_1)
	s_add_i32 s12, s3, s12
	s_lshr_b32 s21, s12, s28
	s_delay_alu instid0(SALU_CYCLE_1) | instskip(NEXT) | instid1(SALU_CYCLE_1)
	s_mul_i32 s12, s21, s29
	s_sub_i32 s3, s3, s12
	s_delay_alu instid0(SALU_CYCLE_1) | instskip(NEXT) | instid1(SALU_CYCLE_1)
	s_mul_hi_u32 s12, s3, s30
	s_add_i32 s12, s3, s12
	s_delay_alu instid0(SALU_CYCLE_1)
	s_lshr_b32 s12, s12, s31
	s_waitcnt lgkmcnt(0)
	s_mul_i32 s2, s12, s2
	s_lshl_b32 s23, s12, 3
	s_sub_i32 s2, s3, s2
	s_mov_b32 s12, 0
	s_mul_hi_u32 s3, s2, s8
	s_delay_alu instid0(SALU_CYCLE_1) | instskip(NEXT) | instid1(SALU_CYCLE_1)
	s_add_i32 s2, s2, s3
	s_lshr_b32 s22, s2, s9
	s_delay_alu instid0(SALU_CYCLE_1) | instskip(NEXT) | instid1(SALU_CYCLE_1)
	s_lshl_b32 s2, s22, 1
	s_add_i32 s2, s2, s14
	s_delay_alu instid0(SALU_CYCLE_1) | instskip(SKIP_2) | instid1(SALU_CYCLE_1)
	s_cmp_lt_i32 s2, s4
	s_cselect_b32 s2, -1, 0
	s_add_i32 s3, s23, s15
	s_cmp_lt_i32 s3, s6
	s_cselect_b32 s3, -1, 0
	s_delay_alu instid0(SALU_CYCLE_1) | instskip(NEXT) | instid1(SALU_CYCLE_1)
	s_and_b32 s2, s2, s3
	s_and_not1_b32 vcc_lo, exec_lo, s2
	s_cbranch_vccnz .LBB34_24
; %bb.8:
	s_load_b128 s[0:3], s[0:1], 0x0
	s_lshl_b32 s18, s20, 6
	s_mov_b32 s19, s12
	s_lshl_b32 s24, s14, 3
	s_lshl_b64 s[18:19], s[18:19], 2
	s_mul_i32 s4, s17, s4
	s_add_i32 s17, s24, s15
	s_mul_i32 s21, s21, s6
	v_cvt_f32_ubyte0_e32 v4, 0
	v_cvt_f32_u32_e32 v5, s20
	s_waitcnt lgkmcnt(0)
	s_add_u32 s18, s2, s18
	s_addc_u32 s19, s3, s19
	s_add_i32 s4, s4, s14
	s_delay_alu instid0(SALU_CYCLE_1) | instskip(SKIP_4) | instid1(SALU_CYCLE_1)
	s_mul_i32 s4, s4, s5
	s_mul_i32 s5, s5, s22
	s_add_i32 s4, s4, s15
	s_lshl_b32 s5, s5, 9
	s_add_i32 s4, s4, s21
	s_add_i32 s4, s4, s23
	s_delay_alu instid0(SALU_CYCLE_1) | instskip(NEXT) | instid1(SALU_CYCLE_1)
	s_lshl_b32 s4, s4, 8
	s_add_i32 s5, s5, s4
	s_delay_alu instid0(SALU_CYCLE_1) | instskip(SKIP_1) | instid1(VALU_DEP_2)
	v_or_b32_e32 v1, s5, v0
	v_lshl_or_b32 v0, s17, 8, v0
	v_ashrrev_i32_e32 v2, 31, v1
	s_delay_alu instid0(VALU_DEP_1) | instskip(NEXT) | instid1(VALU_DEP_1)
	v_lshlrev_b64 v[1:2], 2, v[1:2]
	v_add_co_u32 v1, vcc_lo, s0, v1
	s_delay_alu instid0(VALU_DEP_2) | instskip(SKIP_1) | instid1(SALU_CYCLE_1)
	v_add_co_ci_u32_e32 v2, vcc_lo, s1, v2, vcc_lo
	s_lshl_b32 s0, s13, 4
	s_add_i32 s0, s17, s0
	global_load_b32 v3, v[1:2], off
	s_ashr_i32 s1, s0, 31
	s_delay_alu instid0(SALU_CYCLE_1) | instskip(NEXT) | instid1(SALU_CYCLE_1)
	s_lshl_b64 s[0:1], s[0:1], 3
	s_add_u32 s0, s2, s0
	s_addc_u32 s1, s3, s1
	s_add_i32 s14, s13, -1
	s_load_b64 s[0:1], s[0:1], 0x0
	v_fmac_f32_e32 v5, 0x4f800000, v4
	s_sub_i32 s6, 0, s20
	s_waitcnt lgkmcnt(0)
	v_mov_b32_e32 v8, s0
	s_delay_alu instid0(VALU_DEP_2) | instskip(SKIP_2) | instid1(VALU_DEP_2)
	v_rcp_f32_e32 v4, v5
	v_cvt_f32_u32_e32 v5, s20
	v_mov_b32_e32 v7, s1
	v_rcp_iflag_f32_e32 v5, v5
	s_waitcnt_depctr 0xfff
	v_mul_f32_e32 v4, 0x5f7ffffc, v4
	s_delay_alu instid0(VALU_DEP_1) | instskip(SKIP_1) | instid1(VALU_DEP_2)
	v_mul_f32_e32 v6, 0x2f800000, v4
	v_mul_f32_e32 v9, 0x4f7ffffe, v5
	v_trunc_f32_e32 v6, v6
	s_delay_alu instid0(VALU_DEP_1) | instskip(SKIP_1) | instid1(VALU_DEP_4)
	v_fmac_f32_e32 v4, 0xcf800000, v6
	v_cvt_u32_f32_e32 v5, v6
	v_cvt_u32_f32_e32 v6, v9
	s_delay_alu instid0(VALU_DEP_3)
	v_cvt_u32_f32_e32 v4, v4
.LBB34_9:                               ; =>This Inner Loop Header: Depth=1
	s_mul_hi_i32 s13, s14, s7
	s_mul_i32 s4, s14, s7
	s_cmp_lg_u64 s[12:13], 0
	s_mov_b32 s5, -1
                                        ; implicit-def: $sgpr0_sgpr1
	s_cbranch_scc0 .LBB34_11
; %bb.10:                               ;   in Loop: Header=BB34_9 Depth=1
	v_readfirstlane_b32 s0, v4
	v_readfirstlane_b32 s1, v5
	s_sub_u32 s5, 0, s20
	s_subb_u32 s15, 0, 0
	s_delay_alu instid0(VALU_DEP_2) | instskip(NEXT) | instid1(VALU_DEP_1)
	s_mul_hi_u32 s21, s5, s0
	s_mul_i32 s22, s5, s1
	s_mul_i32 s23, s15, s0
	s_add_i32 s21, s21, s22
	s_mul_i32 s22, s5, s0
	s_add_i32 s21, s21, s23
	s_mul_hi_u32 s23, s0, s22
	s_mul_i32 s24, s0, s21
	s_mul_hi_u32 s0, s0, s21
	s_add_u32 s23, s23, s24
	s_mul_i32 s25, s1, s22
	s_addc_u32 s0, 0, s0
	s_mul_hi_u32 s22, s1, s22
	s_mul_hi_u32 s24, s1, s21
	s_add_u32 s23, s23, s25
	s_addc_u32 s0, s0, s22
	s_mul_i32 s21, s1, s21
	s_addc_u32 s22, s24, 0
	s_add_u32 s0, s0, s21
	s_addc_u32 s21, 0, s22
	v_add_co_u32 v9, s0, v4, s0
	s_delay_alu instid0(VALU_DEP_1) | instskip(SKIP_1) | instid1(VALU_DEP_1)
	s_cmp_lg_u32 s0, 0
	s_addc_u32 s1, s1, s21
	v_readfirstlane_b32 s0, v9
	s_mul_i32 s21, s5, s1
	s_delay_alu instid0(VALU_DEP_1)
	s_mul_hi_u32 s22, s5, s0
	s_mul_i32 s15, s15, s0
	s_add_i32 s21, s22, s21
	s_mul_i32 s5, s5, s0
	s_add_i32 s21, s21, s15
	s_mul_hi_u32 s15, s1, s5
	s_mul_i32 s23, s1, s5
	s_mul_i32 s24, s0, s21
	s_mul_hi_u32 s5, s0, s5
	s_mul_hi_u32 s0, s0, s21
	s_add_u32 s5, s5, s24
	s_addc_u32 s0, 0, s0
	s_mul_hi_u32 s22, s1, s21
	s_add_u32 s5, s5, s23
	s_addc_u32 s0, s0, s15
	s_mul_i32 s5, s1, s21
	s_addc_u32 s15, s22, 0
	s_add_u32 s0, s0, s5
	s_addc_u32 s5, 0, s15
	v_add_co_u32 v9, s0, v9, s0
	s_delay_alu instid0(VALU_DEP_1) | instskip(SKIP_2) | instid1(SALU_CYCLE_1)
	s_cmp_lg_u32 s0, 0
	s_addc_u32 s5, s1, s5
	s_ashr_i32 s0, s13, 31
	s_add_u32 s22, s4, s0
	s_addc_u32 s23, s13, s0
	v_readfirstlane_b32 s13, v9
	s_mov_b32 s1, s0
	s_delay_alu instid0(SALU_CYCLE_1) | instskip(NEXT) | instid1(SALU_CYCLE_1)
	s_xor_b64 s[22:23], s[22:23], s[0:1]
	s_mul_i32 s15, s22, s5
	s_delay_alu instid0(VALU_DEP_1)
	s_mul_hi_u32 s21, s22, s13
	s_mul_hi_u32 s24, s22, s5
	s_add_u32 s15, s21, s15
	s_mul_i32 s25, s23, s13
	s_addc_u32 s21, 0, s24
	s_mul_hi_u32 s13, s23, s13
	s_mul_hi_u32 s24, s23, s5
	s_add_u32 s15, s15, s25
	s_addc_u32 s13, s21, s13
	s_mul_i32 s5, s23, s5
	s_addc_u32 s15, s24, 0
	s_add_u32 s5, s13, s5
	s_addc_u32 s13, 0, s15
	s_mul_i32 s21, s20, s5
	s_add_u32 s15, s5, 1
	v_sub_co_u32 v9, s21, s22, s21
	s_addc_u32 s22, s13, 0
	s_mul_i32 s25, s20, s13
	s_mul_hi_u32 s27, s20, s5
	s_delay_alu instid0(VALU_DEP_1)
	v_sub_co_u32 v10, s26, v9, s20
	s_add_u32 s24, s5, 2
	s_addc_u32 s28, s13, 0
	s_add_i32 s27, s27, s25
	s_cmp_lg_u32 s21, 0
	v_readfirstlane_b32 s21, v10
	s_subb_u32 s23, s23, s27
	s_cmp_lg_u32 s26, 0
	s_subb_u32 s25, s23, 0
	s_delay_alu instid0(VALU_DEP_1) | instskip(SKIP_4) | instid1(SALU_CYCLE_1)
	s_cmp_ge_u32 s21, s20
	s_cselect_b32 s21, -1, 0
	s_cmp_eq_u32 s25, 0
	v_readfirstlane_b32 s25, v9
	s_cselect_b32 s21, s21, -1
	s_cmp_lg_u32 s21, 0
	s_cselect_b32 s15, s24, s15
	s_cselect_b32 s21, s28, s22
	s_cmp_ge_u32 s25, s20
	s_cselect_b32 s22, -1, 0
	s_cmp_eq_u32 s23, 0
	s_cselect_b32 s22, s22, -1
	s_delay_alu instid0(SALU_CYCLE_1) | instskip(SKIP_4) | instid1(SALU_CYCLE_1)
	s_cmp_lg_u32 s22, 0
	s_cselect_b32 s23, s21, s13
	s_cselect_b32 s22, s15, s5
	s_mov_b32 s5, 0
	s_xor_b64 s[22:23], s[22:23], s[0:1]
	s_sub_u32 s0, s22, s0
.LBB34_11:                              ;   in Loop: Header=BB34_9 Depth=1
	s_and_not1_b32 vcc_lo, exec_lo, s5
	s_cbranch_vccnz .LBB34_13
; %bb.12:                               ;   in Loop: Header=BB34_9 Depth=1
	v_readfirstlane_b32 s0, v6
	s_delay_alu instid0(VALU_DEP_1) | instskip(NEXT) | instid1(SALU_CYCLE_1)
	s_mul_i32 s1, s6, s0
	s_mul_hi_u32 s1, s0, s1
	s_delay_alu instid0(SALU_CYCLE_1) | instskip(NEXT) | instid1(SALU_CYCLE_1)
	s_add_i32 s0, s0, s1
	s_mul_hi_u32 s0, s4, s0
	s_delay_alu instid0(SALU_CYCLE_1) | instskip(NEXT) | instid1(SALU_CYCLE_1)
	s_mul_i32 s1, s0, s20
	s_sub_i32 s1, s4, s1
	s_add_i32 s4, s0, 1
	s_sub_i32 s5, s1, s20
	s_cmp_ge_u32 s1, s20
	s_cselect_b32 s0, s4, s0
	s_cselect_b32 s1, s5, s1
	s_add_i32 s4, s0, 1
	s_cmp_ge_u32 s1, s20
	s_cselect_b32 s0, s4, s0
.LBB34_13:                              ;   in Loop: Header=BB34_9 Depth=1
	s_delay_alu instid0(SALU_CYCLE_1)
	s_cmp_lg_u32 s16, s0
	s_cbranch_scc0 .LBB34_17
; %bb.14:                               ;   in Loop: Header=BB34_9 Depth=1
	s_add_i32 s1, s14, s20
	s_mov_b32 s5, s12
	s_lshl_b32 s1, s1, 4
	s_mov_b32 s15, s16
	s_add_i32 s4, s1, s17
	s_mul_hi_u32 s1, s0, s8
	s_lshl_b64 s[4:5], s[4:5], 3
	s_delay_alu instid0(SALU_CYCLE_1) | instskip(SKIP_2) | instid1(SALU_CYCLE_1)
	s_add_u32 s4, s2, s4
	s_addc_u32 s5, s3, s5
	s_add_i32 s1, s1, s0
	s_lshr_b32 s1, s1, s9
	s_delay_alu instid0(SALU_CYCLE_1) | instskip(NEXT) | instid1(SALU_CYCLE_1)
	s_mul_i32 s13, s1, s10
	s_cmp_eq_u32 s13, s0
	s_cselect_b32 s13, -1, 0
	s_cmp_lt_u32 s1, s11
	s_cselect_b32 s1, -1, 0
	s_delay_alu instid0(SALU_CYCLE_1)
	s_or_b32 s1, s1, s13
	s_mov_b32 s13, -1
	s_and_b32 vcc_lo, exec_lo, s1
	s_mov_b32 s1, s14
	s_cbranch_vccnz .LBB34_16
; %bb.15:                               ;   in Loop: Header=BB34_9 Depth=1
	s_add_i32 s1, s14, -1
	s_mov_b32 s13, 0
	s_mov_b32 s15, s0
.LBB34_16:                              ;   in Loop: Header=BB34_9 Depth=1
	v_lshl_add_u32 v9, s14, 12, v0
	s_load_b64 s[4:5], s[4:5], 0x0
	s_delay_alu instid0(VALU_DEP_1) | instskip(NEXT) | instid1(VALU_DEP_1)
	v_ashrrev_i32_e32 v10, 31, v9
	v_lshlrev_b64 v[9:10], 2, v[9:10]
	s_delay_alu instid0(VALU_DEP_1) | instskip(NEXT) | instid1(VALU_DEP_2)
	v_add_co_u32 v9, vcc_lo, s18, v9
	v_add_co_ci_u32_e32 v10, vcc_lo, s19, v10, vcc_lo
	s_waitcnt lgkmcnt(0)
	v_max_f32_e64 v11, s4, s4
	global_load_b32 v10, v[9:10], off
	v_max_f32_e32 v9, v8, v8
	s_delay_alu instid0(VALU_DEP_1) | instskip(NEXT) | instid1(VALU_DEP_1)
	v_max_f32_e32 v9, v9, v11
	v_sub_f32_e32 v12, v8, v9
	s_delay_alu instid0(VALU_DEP_1) | instskip(NEXT) | instid1(VALU_DEP_1)
	v_dual_mul_f32 v14, 0x3fb8aa3b, v12 :: v_dual_sub_f32 v11, s4, v9
	v_rndne_f32_e32 v18, v14
	s_delay_alu instid0(VALU_DEP_2) | instskip(SKIP_2) | instid1(VALU_DEP_4)
	v_mul_f32_e32 v13, 0x3fb8aa3b, v11
	v_fma_f32 v17, 0x3fb8aa3b, v12, -v14
	v_cmp_ngt_f32_e32 vcc_lo, 0xc2ce8ed0, v11
	v_sub_f32_e32 v14, v14, v18
	s_delay_alu instid0(VALU_DEP_4) | instskip(SKIP_2) | instid1(VALU_DEP_3)
	v_fma_f32 v15, 0x3fb8aa3b, v11, -v13
	v_rndne_f32_e32 v16, v13
	v_fmac_f32_e32 v17, 0x32a5705f, v12
	v_fmac_f32_e32 v15, 0x32a5705f, v11
	s_delay_alu instid0(VALU_DEP_2) | instskip(NEXT) | instid1(VALU_DEP_1)
	v_dual_sub_f32 v13, v13, v16 :: v_dual_add_f32 v14, v14, v17
	v_add_f32_e32 v13, v13, v15
	s_delay_alu instid0(VALU_DEP_2) | instskip(SKIP_2) | instid1(VALU_DEP_3)
	v_exp_f32_e32 v14, v14
	v_cvt_i32_f32_e32 v15, v16
	v_cvt_i32_f32_e32 v16, v18
	v_exp_f32_e32 v13, v13
	s_waitcnt_depctr 0xfff
	v_ldexp_f32 v14, v14, v16
	v_ldexp_f32 v13, v13, v15
	s_delay_alu instid0(VALU_DEP_1) | instskip(SKIP_1) | instid1(VALU_DEP_4)
	v_cndmask_b32_e32 v13, 0, v13, vcc_lo
	v_cmp_ngt_f32_e32 vcc_lo, 0xc2ce8ed0, v12
	v_cndmask_b32_e32 v14, 0, v14, vcc_lo
	v_cmp_nlt_f32_e32 vcc_lo, 0x42b17218, v11
	s_delay_alu instid0(VALU_DEP_4) | instskip(SKIP_1) | instid1(VALU_DEP_4)
	v_cndmask_b32_e32 v13, 0x7f800000, v13, vcc_lo
	v_cmp_nlt_f32_e32 vcc_lo, 0x42b17218, v12
	v_cndmask_b32_e32 v14, 0x7f800000, v14, vcc_lo
	v_cmp_le_f32_e32 vcc_lo, 0xc1a00000, v11
	s_delay_alu instid0(VALU_DEP_4) | instskip(SKIP_1) | instid1(VALU_DEP_4)
	v_cndmask_b32_e32 v11, 0, v13, vcc_lo
	v_cmp_le_f32_e32 vcc_lo, 0xc1a00000, v12
	v_cndmask_b32_e32 v12, 0, v14, vcc_lo
	s_waitcnt vmcnt(0)
	s_delay_alu instid0(VALU_DEP_3) | instskip(NEXT) | instid1(VALU_DEP_1)
	v_mul_f32_e32 v10, v10, v11
	v_dual_mul_f32 v11, s5, v11 :: v_dual_fmac_f32 v10, v3, v12
	s_delay_alu instid0(VALU_DEP_1)
	v_fmac_f32_e32 v11, v7, v12
	s_cbranch_execz .LBB34_18
	s_branch .LBB34_19
.LBB34_17:                              ;   in Loop: Header=BB34_9 Depth=1
                                        ; implicit-def: $sgpr13
                                        ; implicit-def: $vgpr10
                                        ; implicit-def: $vgpr9
                                        ; implicit-def: $vgpr11
                                        ; implicit-def: $sgpr1
                                        ; implicit-def: $sgpr15
.LBB34_18:                              ;   in Loop: Header=BB34_9 Depth=1
	v_mov_b32_e32 v11, v7
	s_waitcnt vmcnt(0)
	v_dual_mov_b32 v9, v8 :: v_dual_mov_b32 v10, v3
	s_add_i32 s1, s14, -1
	s_mov_b32 s13, 0
	s_mov_b32 s15, s16
.LBB34_19:                              ;   in Loop: Header=BB34_9 Depth=1
	s_and_not1_b32 vcc_lo, exec_lo, s13
	s_cbranch_vccz .LBB34_23
; %bb.20:                               ;   in Loop: Header=BB34_9 Depth=1
	v_dual_mov_b32 v7, v11 :: v_dual_mov_b32 v8, v9
	s_waitcnt vmcnt(0)
	v_mov_b32_e32 v3, v10
	s_mov_b32 s16, s15
	s_mov_b32 s14, s1
	s_branch .LBB34_9
.LBB34_21:
                                        ; implicit-def: $sgpr16_sgpr17
	s_load_b128 s[8:11], s[0:1], 0x44
	s_branch .LBB34_2
.LBB34_22:
                                        ; implicit-def: $sgpr18_sgpr19
	s_branch .LBB34_5
.LBB34_23:
	v_div_scale_f32 v0, null, v11, v11, v10
	s_waitcnt vmcnt(0)
	s_delay_alu instid0(VALU_DEP_1) | instskip(SKIP_2) | instid1(VALU_DEP_1)
	v_rcp_f32_e32 v3, v0
	s_waitcnt_depctr 0xfff
	v_fma_f32 v4, -v0, v3, 1.0
	v_fmac_f32_e32 v3, v4, v3
	v_div_scale_f32 v4, vcc_lo, v10, v11, v10
	s_delay_alu instid0(VALU_DEP_1) | instskip(NEXT) | instid1(VALU_DEP_1)
	v_mul_f32_e32 v5, v4, v3
	v_fma_f32 v6, -v0, v5, v4
	s_delay_alu instid0(VALU_DEP_1) | instskip(NEXT) | instid1(VALU_DEP_1)
	v_fmac_f32_e32 v5, v6, v3
	v_fma_f32 v0, -v0, v5, v4
	s_delay_alu instid0(VALU_DEP_1) | instskip(NEXT) | instid1(VALU_DEP_1)
	v_div_fmas_f32 v0, v0, v3, v5
	v_div_fixup_f32 v0, v0, v11, v10
	global_store_b32 v[1:2], v0, off
.LBB34_24:
	s_nop 0
	s_sendmsg sendmsg(MSG_DEALLOC_VGPRS)
	s_endpgm
	.section	.rodata,"a",@progbits
	.p2align	6, 0x0
	.amdhsa_kernel _ZL33flash_attn_stream_k_fixup_generalILi256ELi2ELi8EEvPfPK15HIP_vector_typeIfLj2EEiiiiS1_IjLj3EES5_S5_S5_
		.amdhsa_group_segment_fixed_size 0
		.amdhsa_private_segment_fixed_size 0
		.amdhsa_kernarg_size 336
		.amdhsa_user_sgpr_count 13
		.amdhsa_user_sgpr_dispatch_ptr 0
		.amdhsa_user_sgpr_queue_ptr 0
		.amdhsa_user_sgpr_kernarg_segment_ptr 1
		.amdhsa_user_sgpr_dispatch_id 0
		.amdhsa_user_sgpr_private_segment_size 0
		.amdhsa_wavefront_size32 1
		.amdhsa_uses_dynamic_stack 0
		.amdhsa_enable_private_segment 0
		.amdhsa_system_sgpr_workgroup_id_x 1
		.amdhsa_system_sgpr_workgroup_id_y 1
		.amdhsa_system_sgpr_workgroup_id_z 1
		.amdhsa_system_sgpr_workgroup_info 0
		.amdhsa_system_vgpr_workitem_id 0
		.amdhsa_next_free_vgpr 19
		.amdhsa_next_free_sgpr 32
		.amdhsa_reserve_vcc 1
		.amdhsa_float_round_mode_32 0
		.amdhsa_float_round_mode_16_64 0
		.amdhsa_float_denorm_mode_32 3
		.amdhsa_float_denorm_mode_16_64 3
		.amdhsa_dx10_clamp 1
		.amdhsa_ieee_mode 1
		.amdhsa_fp16_overflow 0
		.amdhsa_workgroup_processor_mode 1
		.amdhsa_memory_ordered 1
		.amdhsa_forward_progress 0
		.amdhsa_shared_vgpr_count 0
		.amdhsa_exception_fp_ieee_invalid_op 0
		.amdhsa_exception_fp_denorm_src 0
		.amdhsa_exception_fp_ieee_div_zero 0
		.amdhsa_exception_fp_ieee_overflow 0
		.amdhsa_exception_fp_ieee_underflow 0
		.amdhsa_exception_fp_ieee_inexact 0
		.amdhsa_exception_int_div_zero 0
	.end_amdhsa_kernel
	.section	.text._ZL33flash_attn_stream_k_fixup_generalILi256ELi2ELi8EEvPfPK15HIP_vector_typeIfLj2EEiiiiS1_IjLj3EES5_S5_S5_,"axG",@progbits,_ZL33flash_attn_stream_k_fixup_generalILi256ELi2ELi8EEvPfPK15HIP_vector_typeIfLj2EEiiiiS1_IjLj3EES5_S5_S5_,comdat
.Lfunc_end34:
	.size	_ZL33flash_attn_stream_k_fixup_generalILi256ELi2ELi8EEvPfPK15HIP_vector_typeIfLj2EEiiiiS1_IjLj3EES5_S5_S5_, .Lfunc_end34-_ZL33flash_attn_stream_k_fixup_generalILi256ELi2ELi8EEvPfPK15HIP_vector_typeIfLj2EEiiiiS1_IjLj3EES5_S5_S5_
                                        ; -- End function
	.section	.AMDGPU.csdata,"",@progbits
; Kernel info:
; codeLenInByte = 3224
; NumSgprs: 34
; NumVgprs: 19
; ScratchSize: 0
; MemoryBound: 0
; FloatMode: 240
; IeeeMode: 1
; LDSByteSize: 0 bytes/workgroup (compile time only)
; SGPRBlocks: 4
; VGPRBlocks: 2
; NumSGPRsForWavesPerEU: 34
; NumVGPRsForWavesPerEU: 19
; Occupancy: 16
; WaveLimiterHint : 0
; COMPUTE_PGM_RSRC2:SCRATCH_EN: 0
; COMPUTE_PGM_RSRC2:USER_SGPR: 13
; COMPUTE_PGM_RSRC2:TRAP_HANDLER: 0
; COMPUTE_PGM_RSRC2:TGID_X_EN: 1
; COMPUTE_PGM_RSRC2:TGID_Y_EN: 1
; COMPUTE_PGM_RSRC2:TGID_Z_EN: 1
; COMPUTE_PGM_RSRC2:TIDIG_COMP_CNT: 0
	.section	.text._ZL26flash_attn_combine_resultsILi256EEvPKfPK15HIP_vector_typeIfLj2EEPfi,"axG",@progbits,_ZL26flash_attn_combine_resultsILi256EEvPKfPK15HIP_vector_typeIfLj2EEPfi,comdat
	.globl	_ZL26flash_attn_combine_resultsILi256EEvPKfPK15HIP_vector_typeIfLj2EEPfi ; -- Begin function _ZL26flash_attn_combine_resultsILi256EEvPKfPK15HIP_vector_typeIfLj2EEPfi
	.p2align	8
	.type	_ZL26flash_attn_combine_resultsILi256EEvPKfPK15HIP_vector_typeIfLj2EEPfi,@function
_ZL26flash_attn_combine_resultsILi256EEvPKfPK15HIP_vector_typeIfLj2EEPfi: ; @_ZL26flash_attn_combine_resultsILi256EEvPKfPK15HIP_vector_typeIfLj2EEPfi
; %bb.0:
	s_clause 0x3
	s_load_b64 s[2:3], s[0:1], 0x20
	s_load_b32 s11, s[0:1], 0x18
	s_load_b128 s[4:7], s[0:1], 0x0
	s_load_b64 s[8:9], s[0:1], 0x10
	v_lshlrev_b32_e32 v5, 2, v0
	s_mov_b32 s12, exec_lo
	s_waitcnt lgkmcnt(0)
	s_mul_i32 s0, s2, s15
	s_lshl_b32 s1, s11, 1
	s_add_i32 s0, s0, s13
	s_delay_alu instid0(SALU_CYCLE_1) | instskip(NEXT) | instid1(SALU_CYCLE_1)
	s_mul_i32 s10, s0, s3
	s_add_i32 s10, s10, s14
	s_delay_alu instid0(SALU_CYCLE_1)
	s_mul_i32 s2, s10, s11
	v_cmpx_gt_i32_e64 s1, v0
	s_cbranch_execz .LBB35_3
; %bb.1:
	s_ashr_i32 s3, s2, 31
	v_dual_mov_b32 v4, v0 :: v_dual_add_nc_u32 v3, 0, v5
	s_lshl_b64 s[14:15], s[2:3], 3
	s_delay_alu instid0(SALU_CYCLE_1) | instskip(SKIP_2) | instid1(VALU_DEP_1)
	s_add_u32 s0, s6, s14
	s_addc_u32 s3, s7, s15
	v_add_co_u32 v1, s0, s0, v5
	v_add_co_ci_u32_e64 v2, null, s3, 0, s0
	s_mov_b32 s3, 0
	.p2align	6
.LBB35_2:                               ; =>This Inner Loop Header: Depth=1
	global_load_b32 v6, v[1:2], off
	v_add_nc_u32_e32 v4, 0x100, v4
	v_add_co_u32 v1, vcc_lo, 0x400, v1
	v_add_co_ci_u32_e32 v2, vcc_lo, 0, v2, vcc_lo
	s_delay_alu instid0(VALU_DEP_3) | instskip(NEXT) | instid1(VALU_DEP_1)
	v_cmp_le_i32_e64 s0, s1, v4
	s_or_b32 s3, s0, s3
	s_waitcnt vmcnt(0)
	ds_store_b32 v3, v6
	v_add_nc_u32_e32 v3, 0x400, v3
	s_and_not1_b32 exec_lo, exec_lo, s3
	s_cbranch_execnz .LBB35_2
.LBB35_3:
	s_or_b32 exec_lo, exec_lo, s12
	v_mov_b32_e32 v1, 0
	s_waitcnt lgkmcnt(0)
	s_barrier
	buffer_gl0_inv
	s_cmp_lt_i32 s11, 2
	ds_load_b32 v6, v1
	s_cbranch_scc1 .LBB35_11
; %bb.4:
	s_add_i32 s1, s11, -2
	s_add_i32 s0, s11, -1
	s_cmp_lt_u32 s1, 7
	s_cbranch_scc1 .LBB35_8
; %bb.5:
	s_mov_b32 s3, 0
	s_add_i32 s1, 0, 8
	s_and_b32 s6, s0, -8
	.p2align	6
.LBB35_6:                               ; =>This Inner Loop Header: Depth=1
	v_mov_b32_e32 v9, s1
	s_mov_b32 s7, s3
	s_add_i32 s3, s3, 8
	s_add_i32 s1, s1, 64
	s_cmp_eq_u32 s6, s3
	ds_load_2addr_b32 v[1:2], v9 offset1:2
	ds_load_2addr_b32 v[3:4], v9 offset0:4 offset1:6
	ds_load_2addr_b32 v[7:8], v9 offset0:8 offset1:10
	;; [unrolled: 1-line block ×3, first 2 shown]
	s_waitcnt lgkmcnt(3)
	v_max3_f32 v1, v6, v1, v2
	s_waitcnt lgkmcnt(2)
	s_delay_alu instid0(VALU_DEP_1) | instskip(SKIP_1) | instid1(VALU_DEP_1)
	v_max3_f32 v1, v1, v3, v4
	s_waitcnt lgkmcnt(1)
	v_max3_f32 v1, v1, v7, v8
	s_waitcnt lgkmcnt(0)
	s_delay_alu instid0(VALU_DEP_1)
	v_max3_f32 v6, v1, v9, v10
	s_cbranch_scc0 .LBB35_6
; %bb.7:
	s_add_i32 s1, s7, 9
	s_and_b32 s0, s0, 7
	s_delay_alu instid0(SALU_CYCLE_1)
	s_cmp_eq_u32 s0, 0
	s_cbranch_scc0 .LBB35_9
	s_branch .LBB35_11
.LBB35_8:
	s_mov_b32 s1, 1
	s_and_b32 s0, s0, 7
	s_delay_alu instid0(SALU_CYCLE_1)
	s_cmp_eq_u32 s0, 0
	s_cbranch_scc1 .LBB35_11
.LBB35_9:
	s_lshl_b32 s1, s1, 3
	s_delay_alu instid0(SALU_CYCLE_1)
	s_add_i32 s1, s1, 0
.LBB35_10:                              ; =>This Inner Loop Header: Depth=1
	s_waitcnt lgkmcnt(0)
	s_delay_alu instid0(VALU_DEP_1)
	v_dual_mov_b32 v1, s1 :: v_dual_max_f32 v2, v6, v6
	s_add_i32 s0, s0, -1
	s_add_i32 s1, s1, 8
	s_cmp_lg_u32 s0, 0
	ds_load_b32 v1, v1
	s_waitcnt lgkmcnt(0)
	v_max_f32_e32 v1, v1, v1
	s_delay_alu instid0(VALU_DEP_1)
	v_max_f32_e32 v6, v2, v1
	s_cbranch_scc1 .LBB35_10
.LBB35_11:
	s_cmp_lt_i32 s11, 1
	s_cbranch_scc1 .LBB35_16
; %bb.12:
	s_lshl_b32 s0, s2, 8
	v_mov_b32_e32 v7, 0
	s_ashr_i32 s1, s0, 31
	s_mov_b32 s13, 0
	s_lshl_b64 s[0:1], s[0:1], 2
	s_delay_alu instid0(SALU_CYCLE_1)
	s_add_u32 s6, s4, s0
	s_addc_u32 s7, s5, s1
	s_cmp_lt_u32 s11, 8
	s_cbranch_scc1 .LBB35_17
; %bb.13:
	v_or_b32_e32 v1, 0x700, v0
	v_dual_mov_b32 v4, 0 :: v_dual_mov_b32 v7, 0
	v_mov_b32_e32 v8, 0
	s_and_b32 s12, s11, 0x7ffffff8
	s_mov_b32 s14, 0
.LBB35_14:                              ; =>This Inner Loop Header: Depth=1
	s_delay_alu instid0(VALU_DEP_2) | instskip(SKIP_3) | instid1(VALU_DEP_2)
	v_dual_mov_b32 v2, v4 :: v_dual_add_nc_u32 v3, 0xfffff900, v1
	v_mov_b32_e32 v21, s13
	s_add_i32 s14, s14, 8
	s_add_i32 s13, s13, 64
	v_lshlrev_b64 v[9:10], 2, v[3:4]
	v_add_nc_u32_e32 v3, 0xfffffa00, v1
	v_lshlrev_b64 v[11:12], 2, v[1:2]
	s_cmp_eq_u32 s12, s14
	s_delay_alu instid0(VALU_DEP_2) | instskip(NEXT) | instid1(VALU_DEP_4)
	v_lshlrev_b64 v[13:14], 2, v[3:4]
	v_add_co_u32 v9, vcc_lo, s6, v9
	v_add_co_ci_u32_e32 v10, vcc_lo, s7, v10, vcc_lo
	v_add_nc_u32_e32 v3, 0xfffffb00, v1
	s_delay_alu instid0(VALU_DEP_4)
	v_add_co_u32 v13, vcc_lo, s6, v13
	global_load_b32 v25, v[9:10], off
	v_add_co_ci_u32_e32 v14, vcc_lo, s7, v14, vcc_lo
	v_lshlrev_b64 v[15:16], 2, v[3:4]
	v_add_nc_u32_e32 v3, 0xfffffc00, v1
	global_load_b32 v26, v[13:14], off
	v_add_co_u32 v13, vcc_lo, s6, v15
	v_add_co_ci_u32_e32 v14, vcc_lo, s7, v16, vcc_lo
	v_lshlrev_b64 v[9:10], 2, v[3:4]
	v_add_nc_u32_e32 v3, 0xfffffd00, v1
	global_load_b32 v27, v[13:14], off
	v_add_co_u32 v9, vcc_lo, s6, v9
	v_lshlrev_b64 v[15:16], 2, v[3:4]
	v_add_nc_u32_e32 v3, 0xfffffe00, v1
	v_add_co_ci_u32_e32 v10, vcc_lo, s7, v10, vcc_lo
	global_load_b32 v28, v[9:10], off
	v_lshlrev_b64 v[13:14], 2, v[3:4]
	v_add_nc_u32_e32 v3, 0xffffff00, v1
	v_add_co_u32 v9, vcc_lo, s6, v15
	v_add_co_ci_u32_e32 v10, vcc_lo, s7, v16, vcc_lo
	s_delay_alu instid0(VALU_DEP_4) | instskip(NEXT) | instid1(VALU_DEP_4)
	v_add_co_u32 v13, vcc_lo, s6, v13
	v_lshlrev_b64 v[2:3], 2, v[3:4]
	v_add_co_ci_u32_e32 v14, vcc_lo, s7, v14, vcc_lo
	s_clause 0x1
	global_load_b32 v29, v[9:10], off
	global_load_b32 v30, v[13:14], off
	v_add_co_u32 v2, vcc_lo, s6, v2
	v_add_co_ci_u32_e32 v3, vcc_lo, s7, v3, vcc_lo
	v_add_co_u32 v9, vcc_lo, s6, v11
	v_add_co_ci_u32_e32 v10, vcc_lo, s7, v12, vcc_lo
	s_clause 0x1
	global_load_b32 v2, v[2:3], off
	global_load_b32 v3, v[9:10], off
	ds_load_2addr_b64 v[9:12], v21 offset1:1
	ds_load_2addr_b64 v[13:16], v21 offset0:2 offset1:3
	ds_load_2addr_b64 v[17:20], v21 offset0:4 offset1:5
	;; [unrolled: 1-line block ×3, first 2 shown]
	v_add_nc_u32_e32 v1, 0x800, v1
	s_waitcnt lgkmcnt(1)
	v_sub_f32_e32 v19, v19, v6
	v_sub_f32_e32 v11, v11, v6
	s_waitcnt lgkmcnt(0)
	v_sub_f32_e32 v23, v23, v6
	s_delay_alu instid0(VALU_DEP_3) | instskip(NEXT) | instid1(VALU_DEP_3)
	v_dual_sub_f32 v13, v13, v6 :: v_dual_mul_f32 v36, 0x3fb8aa3b, v19
	v_mul_f32_e32 v32, 0x3fb8aa3b, v11
	s_delay_alu instid0(VALU_DEP_2) | instskip(SKIP_1) | instid1(VALU_DEP_4)
	v_dual_mul_f32 v38, 0x3fb8aa3b, v23 :: v_dual_mul_f32 v33, 0x3fb8aa3b, v13
	v_cmp_ngt_f32_e32 vcc_lo, 0xc2ce8ed0, v13
	v_fma_f32 v49, 0x3fb8aa3b, v19, -v36
	s_delay_alu instid0(VALU_DEP_4) | instskip(SKIP_4) | instid1(VALU_DEP_4)
	v_fma_f32 v41, 0x3fb8aa3b, v11, -v32
	v_rndne_f32_e32 v42, v32
	v_fma_f32 v43, 0x3fb8aa3b, v13, -v33
	v_rndne_f32_e32 v44, v33
	v_rndne_f32_e32 v50, v36
	v_dual_fmac_f32 v41, 0x32a5705f, v11 :: v_dual_sub_f32 v32, v32, v42
	v_sub_f32_e32 v15, v15, v6
	v_fmac_f32_e32 v43, 0x32a5705f, v13
	v_sub_f32_e32 v33, v33, v44
	v_cvt_i32_f32_e32 v42, v42
	v_dual_add_f32 v32, v32, v41 :: v_dual_sub_f32 v9, v9, v6
	v_mul_f32_e32 v34, 0x3fb8aa3b, v15
	s_delay_alu instid0(VALU_DEP_4) | instskip(SKIP_1) | instid1(VALU_DEP_4)
	v_add_f32_e32 v33, v33, v43
	v_cvt_i32_f32_e32 v44, v44
	v_exp_f32_e32 v32, v32
	v_mul_f32_e32 v31, 0x3fb8aa3b, v9
	v_fma_f32 v45, 0x3fb8aa3b, v15, -v34
	v_rndne_f32_e32 v46, v34
	v_exp_f32_e32 v33, v33
	v_cmp_ngt_f32_e64 s5, 0xc2ce8ed0, v9
	v_fma_f32 v39, 0x3fb8aa3b, v9, -v31
	v_rndne_f32_e32 v40, v31
	v_dual_fmac_f32 v45, 0x32a5705f, v15 :: v_dual_sub_f32 v34, v34, v46
	v_sub_f32_e32 v17, v17, v6
	s_delay_alu instid0(VALU_DEP_4) | instskip(NEXT) | instid1(VALU_DEP_4)
	v_fmac_f32_e32 v39, 0x32a5705f, v9
	v_sub_f32_e32 v31, v31, v40
	v_cvt_i32_f32_e32 v40, v40
	v_add_f32_e32 v34, v34, v45
	v_ldexp_f32 v32, v32, v42
	v_ldexp_f32 v33, v33, v44
	v_add_f32_e32 v31, v31, v39
	v_cvt_i32_f32_e32 v46, v46
	v_exp_f32_e32 v34, v34
	v_cmp_ngt_f32_e64 s0, 0xc2ce8ed0, v15
	v_fmac_f32_e32 v49, 0x32a5705f, v19
	v_exp_f32_e32 v31, v31
	v_sub_f32_e32 v36, v36, v50
	v_cvt_i32_f32_e32 v50, v50
	v_cmp_ngt_f32_e64 s1, 0xc2ce8ed0, v17
	v_rndne_f32_e32 v54, v38
	s_delay_alu instid0(VALU_DEP_4) | instskip(NEXT) | instid1(TRANS32_DEP_2)
	v_add_f32_e32 v36, v36, v49
	v_ldexp_f32 v34, v34, v46
	v_cmp_ngt_f32_e64 s2, 0xc2ce8ed0, v19
	s_delay_alu instid0(TRANS32_DEP_1) | instskip(NEXT) | instid1(VALU_DEP_4)
	v_ldexp_f32 v31, v31, v40
	v_exp_f32_e32 v36, v36
	s_delay_alu instid0(VALU_DEP_1) | instskip(SKIP_1) | instid1(VALU_DEP_1)
	v_cndmask_b32_e64 v31, 0, v31, s5
	v_cmp_ngt_f32_e64 s5, 0xc2ce8ed0, v11
	v_cndmask_b32_e64 v32, 0, v32, s5
	v_cmp_nlt_f32_e64 s5, 0x42b17218, v9
	s_waitcnt_depctr 0xfff
	v_ldexp_f32 v36, v36, v50
	v_cndmask_b32_e64 v9, 0x7f800000, v31, s5
	v_cndmask_b32_e32 v31, 0, v33, vcc_lo
	v_cmp_nlt_f32_e32 vcc_lo, 0x42b17218, v11
	s_delay_alu instid0(VALU_DEP_3) | instskip(SKIP_1) | instid1(VALU_DEP_2)
	v_dual_fmac_f32 v8, v9, v10 :: v_dual_cndmask_b32 v11, 0x7f800000, v32
	v_cmp_nlt_f32_e32 vcc_lo, 0x42b17218, v13
	v_fmac_f32_e32 v8, v11, v12
	v_cndmask_b32_e32 v10, 0x7f800000, v31, vcc_lo
	v_cmp_nlt_f32_e32 vcc_lo, 0x42b17218, v15
	v_fma_f32 v53, 0x3fb8aa3b, v23, -v38
	v_sub_f32_e32 v38, v38, v54
	v_cvt_i32_f32_e32 v54, v54
	v_fmac_f32_e32 v8, v10, v14
	v_cmp_ngt_f32_e64 s4, 0xc2ce8ed0, v23
	v_fmac_f32_e32 v53, 0x32a5705f, v23
	s_delay_alu instid0(VALU_DEP_1) | instskip(NEXT) | instid1(VALU_DEP_1)
	v_dual_sub_f32 v21, v21, v6 :: v_dual_add_f32 v38, v38, v53
	v_cmp_ngt_f32_e64 s3, 0xc2ce8ed0, v21
	s_delay_alu instid0(VALU_DEP_2)
	v_exp_f32_e32 v38, v38
	s_waitcnt_depctr 0xfff
	v_ldexp_f32 v38, v38, v54
	s_waitcnt vmcnt(7)
	v_fmac_f32_e32 v7, v25, v9
	v_cndmask_b32_e64 v9, 0, v34, s0
	s_delay_alu instid0(VALU_DEP_1) | instskip(SKIP_1) | instid1(VALU_DEP_3)
	v_cndmask_b32_e32 v9, 0x7f800000, v9, vcc_lo
	s_waitcnt vmcnt(6)
	v_fmac_f32_e32 v7, v26, v11
	v_cmp_nlt_f32_e32 vcc_lo, 0x42b17218, v17
	s_delay_alu instid0(VALU_DEP_3) | instskip(SKIP_1) | instid1(VALU_DEP_3)
	v_dual_fmac_f32 v8, v9, v16 :: v_dual_mul_f32 v35, 0x3fb8aa3b, v17
	s_waitcnt vmcnt(5)
	v_fmac_f32_e32 v7, v27, v10
	s_delay_alu instid0(VALU_DEP_2) | instskip(SKIP_2) | instid1(VALU_DEP_3)
	v_fma_f32 v47, 0x3fb8aa3b, v17, -v35
	v_rndne_f32_e32 v48, v35
	v_cndmask_b32_e64 v10, 0, v36, s2
	v_fmac_f32_e32 v47, 0x32a5705f, v17
	s_delay_alu instid0(VALU_DEP_3) | instskip(SKIP_1) | instid1(VALU_DEP_2)
	v_sub_f32_e32 v35, v35, v48
	v_cvt_i32_f32_e32 v48, v48
	v_add_f32_e32 v35, v35, v47
	s_waitcnt vmcnt(4)
	v_fmac_f32_e32 v7, v28, v9
	s_delay_alu instid0(VALU_DEP_2) | instskip(SKIP_2) | instid1(VALU_DEP_1)
	v_exp_f32_e32 v35, v35
	s_waitcnt_depctr 0xfff
	v_ldexp_f32 v35, v35, v48
	v_cndmask_b32_e64 v11, 0, v35, s1
	s_delay_alu instid0(VALU_DEP_1) | instskip(SKIP_1) | instid1(VALU_DEP_2)
	v_cndmask_b32_e32 v11, 0x7f800000, v11, vcc_lo
	v_cmp_nlt_f32_e32 vcc_lo, 0x42b17218, v19
	v_fmac_f32_e32 v8, v11, v18
	v_cndmask_b32_e32 v10, 0x7f800000, v10, vcc_lo
	v_mul_f32_e32 v37, 0x3fb8aa3b, v21
	s_waitcnt vmcnt(3)
	v_fmac_f32_e32 v7, v29, v11
	v_cmp_nlt_f32_e32 vcc_lo, 0x42b17218, v21
	v_cndmask_b32_e64 v11, 0, v38, s4
	v_fmac_f32_e32 v8, v10, v20
	v_fma_f32 v51, 0x3fb8aa3b, v21, -v37
	v_rndne_f32_e32 v52, v37
	s_waitcnt vmcnt(2)
	v_fmac_f32_e32 v7, v30, v10
	s_delay_alu instid0(VALU_DEP_3) | instskip(NEXT) | instid1(VALU_DEP_3)
	v_fmac_f32_e32 v51, 0x32a5705f, v21
	v_sub_f32_e32 v37, v37, v52
	v_cvt_i32_f32_e32 v52, v52
	s_delay_alu instid0(VALU_DEP_2) | instskip(NEXT) | instid1(VALU_DEP_1)
	v_add_f32_e32 v37, v37, v51
	v_exp_f32_e32 v37, v37
	s_waitcnt_depctr 0xfff
	v_ldexp_f32 v37, v37, v52
	s_delay_alu instid0(VALU_DEP_1) | instskip(NEXT) | instid1(VALU_DEP_1)
	v_cndmask_b32_e64 v9, 0, v37, s3
	v_cndmask_b32_e32 v9, 0x7f800000, v9, vcc_lo
	v_cmp_nlt_f32_e32 vcc_lo, 0x42b17218, v23
	s_delay_alu instid0(VALU_DEP_2) | instskip(SKIP_3) | instid1(VALU_DEP_1)
	v_fmac_f32_e32 v8, v9, v22
	s_waitcnt vmcnt(1)
	v_dual_cndmask_b32 v10, 0x7f800000, v11 :: v_dual_fmac_f32 v7, v2, v9
	s_waitcnt vmcnt(0)
	v_dual_fmac_f32 v8, v10, v24 :: v_dual_fmac_f32 v7, v3, v10
	s_cbranch_scc0 .LBB35_14
; %bb.15:
	s_and_b32 s0, s11, 7
	s_delay_alu instid0(SALU_CYCLE_1)
	s_cmp_eq_u32 s0, 0
	s_cbranch_scc0 .LBB35_18
	s_branch .LBB35_20
.LBB35_16:
	v_mov_b32_e32 v0, 0x7fc00000
	s_branch .LBB35_21
.LBB35_17:
	v_mov_b32_e32 v8, 0
	s_mov_b32 s12, 0
	s_and_b32 s0, s11, 7
	s_delay_alu instid0(SALU_CYCLE_1)
	s_cmp_eq_u32 s0, 0
	s_cbranch_scc1 .LBB35_20
.LBB35_18:
	v_lshl_or_b32 v0, s12, 8, v0
	v_mov_b32_e32 v1, 0
	s_lshl_b32 s1, s12, 3
	s_delay_alu instid0(SALU_CYCLE_1)
	s_add_i32 s1, s1, 0
	s_set_inst_prefetch_distance 0x1
	.p2align	6
.LBB35_19:                              ; =>This Inner Loop Header: Depth=1
	s_delay_alu instid0(VALU_DEP_1) | instskip(SKIP_2) | instid1(VALU_DEP_2)
	v_lshlrev_b64 v[2:3], 2, v[0:1]
	s_add_i32 s0, s0, -1
	v_add_nc_u32_e32 v0, 0x100, v0
	v_add_co_u32 v2, vcc_lo, s6, v2
	s_delay_alu instid0(VALU_DEP_3)
	v_add_co_ci_u32_e32 v3, vcc_lo, s7, v3, vcc_lo
	global_load_b32 v4, v[2:3], off
	v_mov_b32_e32 v2, s1
	s_add_i32 s1, s1, 8
	s_cmp_lg_u32 s0, 0
	ds_load_b64 v[2:3], v2
	s_waitcnt lgkmcnt(0)
	v_sub_f32_e32 v2, v2, v6
	s_delay_alu instid0(VALU_DEP_1) | instskip(SKIP_1) | instid1(VALU_DEP_2)
	v_mul_f32_e32 v9, 0x3fb8aa3b, v2
	v_cmp_ngt_f32_e32 vcc_lo, 0xc2ce8ed0, v2
	v_fma_f32 v10, 0x3fb8aa3b, v2, -v9
	v_rndne_f32_e32 v11, v9
	s_delay_alu instid0(VALU_DEP_1) | instskip(NEXT) | instid1(VALU_DEP_1)
	v_dual_fmac_f32 v10, 0x32a5705f, v2 :: v_dual_sub_f32 v9, v9, v11
	v_add_f32_e32 v9, v9, v10
	v_cvt_i32_f32_e32 v10, v11
	s_delay_alu instid0(VALU_DEP_2) | instskip(SKIP_2) | instid1(VALU_DEP_1)
	v_exp_f32_e32 v9, v9
	s_waitcnt_depctr 0xfff
	v_ldexp_f32 v9, v9, v10
	v_cndmask_b32_e32 v9, 0, v9, vcc_lo
	v_cmp_nlt_f32_e32 vcc_lo, 0x42b17218, v2
	s_delay_alu instid0(VALU_DEP_2) | instskip(SKIP_1) | instid1(VALU_DEP_1)
	v_cndmask_b32_e32 v2, 0x7f800000, v9, vcc_lo
	s_waitcnt vmcnt(0)
	v_dual_fmac_f32 v8, v2, v3 :: v_dual_fmac_f32 v7, v4, v2
	s_cbranch_scc1 .LBB35_19
.LBB35_20:
	s_set_inst_prefetch_distance 0x2
	s_delay_alu instid0(VALU_DEP_1) | instskip(NEXT) | instid1(VALU_DEP_1)
	v_div_scale_f32 v0, null, v8, v8, v7
	v_rcp_f32_e32 v1, v0
	s_waitcnt_depctr 0xfff
	v_fma_f32 v2, -v0, v1, 1.0
	s_delay_alu instid0(VALU_DEP_1) | instskip(SKIP_1) | instid1(VALU_DEP_1)
	v_fmac_f32_e32 v1, v2, v1
	v_div_scale_f32 v2, vcc_lo, v7, v8, v7
	v_mul_f32_e32 v3, v2, v1
	s_delay_alu instid0(VALU_DEP_1) | instskip(NEXT) | instid1(VALU_DEP_1)
	v_fma_f32 v4, -v0, v3, v2
	v_fmac_f32_e32 v3, v4, v1
	s_delay_alu instid0(VALU_DEP_1) | instskip(NEXT) | instid1(VALU_DEP_1)
	v_fma_f32 v0, -v0, v3, v2
	v_div_fmas_f32 v0, v0, v1, v3
	s_delay_alu instid0(VALU_DEP_1)
	v_div_fixup_f32 v0, v0, v8, v7
.LBB35_21:
	s_lshl_b32 s0, s10, 8
	s_delay_alu instid0(SALU_CYCLE_1) | instskip(NEXT) | instid1(SALU_CYCLE_1)
	s_ashr_i32 s1, s0, 31
	s_lshl_b64 s[0:1], s[0:1], 2
	s_delay_alu instid0(SALU_CYCLE_1)
	s_add_u32 s0, s8, s0
	s_addc_u32 s1, s9, s1
	global_store_b32 v5, v0, s[0:1]
	s_nop 0
	s_sendmsg sendmsg(MSG_DEALLOC_VGPRS)
	s_endpgm
	.section	.rodata,"a",@progbits
	.p2align	6, 0x0
	.amdhsa_kernel _ZL26flash_attn_combine_resultsILi256EEvPKfPK15HIP_vector_typeIfLj2EEPfi
		.amdhsa_group_segment_fixed_size 0
		.amdhsa_private_segment_fixed_size 0
		.amdhsa_kernarg_size 288
		.amdhsa_user_sgpr_count 13
		.amdhsa_user_sgpr_dispatch_ptr 0
		.amdhsa_user_sgpr_queue_ptr 0
		.amdhsa_user_sgpr_kernarg_segment_ptr 1
		.amdhsa_user_sgpr_dispatch_id 0
		.amdhsa_user_sgpr_private_segment_size 0
		.amdhsa_wavefront_size32 1
		.amdhsa_uses_dynamic_stack 0
		.amdhsa_enable_private_segment 0
		.amdhsa_system_sgpr_workgroup_id_x 1
		.amdhsa_system_sgpr_workgroup_id_y 1
		.amdhsa_system_sgpr_workgroup_id_z 1
		.amdhsa_system_sgpr_workgroup_info 0
		.amdhsa_system_vgpr_workitem_id 0
		.amdhsa_next_free_vgpr 55
		.amdhsa_next_free_sgpr 16
		.amdhsa_reserve_vcc 1
		.amdhsa_float_round_mode_32 0
		.amdhsa_float_round_mode_16_64 0
		.amdhsa_float_denorm_mode_32 3
		.amdhsa_float_denorm_mode_16_64 3
		.amdhsa_dx10_clamp 1
		.amdhsa_ieee_mode 1
		.amdhsa_fp16_overflow 0
		.amdhsa_workgroup_processor_mode 1
		.amdhsa_memory_ordered 1
		.amdhsa_forward_progress 0
		.amdhsa_shared_vgpr_count 0
		.amdhsa_exception_fp_ieee_invalid_op 0
		.amdhsa_exception_fp_denorm_src 0
		.amdhsa_exception_fp_ieee_div_zero 0
		.amdhsa_exception_fp_ieee_overflow 0
		.amdhsa_exception_fp_ieee_underflow 0
		.amdhsa_exception_fp_ieee_inexact 0
		.amdhsa_exception_int_div_zero 0
	.end_amdhsa_kernel
	.section	.text._ZL26flash_attn_combine_resultsILi256EEvPKfPK15HIP_vector_typeIfLj2EEPfi,"axG",@progbits,_ZL26flash_attn_combine_resultsILi256EEvPKfPK15HIP_vector_typeIfLj2EEPfi,comdat
.Lfunc_end35:
	.size	_ZL26flash_attn_combine_resultsILi256EEvPKfPK15HIP_vector_typeIfLj2EEPfi, .Lfunc_end35-_ZL26flash_attn_combine_resultsILi256EEvPKfPK15HIP_vector_typeIfLj2EEPfi
                                        ; -- End function
	.section	.AMDGPU.csdata,"",@progbits
; Kernel info:
; codeLenInByte = 2352
; NumSgprs: 18
; NumVgprs: 55
; ScratchSize: 0
; MemoryBound: 0
; FloatMode: 240
; IeeeMode: 1
; LDSByteSize: 0 bytes/workgroup (compile time only)
; SGPRBlocks: 2
; VGPRBlocks: 6
; NumSGPRsForWavesPerEU: 18
; NumVGPRsForWavesPerEU: 55
; Occupancy: 16
; WaveLimiterHint : 0
; COMPUTE_PGM_RSRC2:SCRATCH_EN: 0
; COMPUTE_PGM_RSRC2:USER_SGPR: 13
; COMPUTE_PGM_RSRC2:TRAP_HANDLER: 0
; COMPUTE_PGM_RSRC2:TGID_X_EN: 1
; COMPUTE_PGM_RSRC2:TGID_Y_EN: 1
; COMPUTE_PGM_RSRC2:TGID_Z_EN: 1
; COMPUTE_PGM_RSRC2:TIDIG_COMP_CNT: 0
	.section	.text._ZL18flash_attn_ext_f16ILi512ELi512ELi2ELi8ELb0ELb0EEvPKcS1_S1_S1_S1_PKiPfP15HIP_vector_typeIfLj2EEffffjfiS5_IjLj3EEiiiiiiiiiiiliiliiiiil,"axG",@progbits,_ZL18flash_attn_ext_f16ILi512ELi512ELi2ELi8ELb0ELb0EEvPKcS1_S1_S1_S1_PKiPfP15HIP_vector_typeIfLj2EEffffjfiS5_IjLj3EEiiiiiiiiiiiliiliiiiil,comdat
	.globl	_ZL18flash_attn_ext_f16ILi512ELi512ELi2ELi8ELb0ELb0EEvPKcS1_S1_S1_S1_PKiPfP15HIP_vector_typeIfLj2EEffffjfiS5_IjLj3EEiiiiiiiiiiiliiliiiiil ; -- Begin function _ZL18flash_attn_ext_f16ILi512ELi512ELi2ELi8ELb0ELb0EEvPKcS1_S1_S1_S1_PKiPfP15HIP_vector_typeIfLj2EEffffjfiS5_IjLj3EEiiiiiiiiiiiliiliiiiil
	.p2align	8
	.type	_ZL18flash_attn_ext_f16ILi512ELi512ELi2ELi8ELb0ELb0EEvPKcS1_S1_S1_S1_PKiPfP15HIP_vector_typeIfLj2EEffffjfiS5_IjLj3EEiiiiiiiiiiiliiliiiiil,@function
_ZL18flash_attn_ext_f16ILi512ELi512ELi2ELi8ELb0ELb0EEvPKcS1_S1_S1_S1_PKiPfP15HIP_vector_typeIfLj2EEffffjfiS5_IjLj3EEiiiiiiiiiiiliiliiiiil: ; @_ZL18flash_attn_ext_f16ILi512ELi512ELi2ELi8ELb0ELb0EEvPKcS1_S1_S1_S1_PKiPfP15HIP_vector_typeIfLj2EEffffjfiS5_IjLj3EEiiiiiiiiiiiliiliiiiil
; %bb.0:
	v_mov_b32_e32 v0, 0x6e3
	s_add_u32 s8, s0, 0xd0
	s_addc_u32 s9, s1, 0
	s_mov_b32 s32, 0
	s_getpc_b64 s[0:1]
	s_add_u32 s0, s0, _ZL14no_device_codePKciS0_iS0_@rel32@lo+4
	s_addc_u32 s1, s1, _ZL14no_device_codePKciS0_iS0_@rel32@hi+12
	s_delay_alu instid0(SALU_CYCLE_1)
	s_swappc_b64 s[30:31], s[0:1]
	.section	.rodata,"a",@progbits
	.p2align	6, 0x0
	.amdhsa_kernel _ZL18flash_attn_ext_f16ILi512ELi512ELi2ELi8ELb0ELb0EEvPKcS1_S1_S1_S1_PKiPfP15HIP_vector_typeIfLj2EEffffjfiS5_IjLj3EEiiiiiiiiiiiliiliiiiil
		.amdhsa_group_segment_fixed_size 0
		.amdhsa_private_segment_fixed_size 16
		.amdhsa_kernarg_size 464
		.amdhsa_user_sgpr_count 15
		.amdhsa_user_sgpr_dispatch_ptr 0
		.amdhsa_user_sgpr_queue_ptr 0
		.amdhsa_user_sgpr_kernarg_segment_ptr 1
		.amdhsa_user_sgpr_dispatch_id 0
		.amdhsa_user_sgpr_private_segment_size 0
		.amdhsa_wavefront_size32 1
		.amdhsa_uses_dynamic_stack 0
		.amdhsa_enable_private_segment 1
		.amdhsa_system_sgpr_workgroup_id_x 1
		.amdhsa_system_sgpr_workgroup_id_y 0
		.amdhsa_system_sgpr_workgroup_id_z 0
		.amdhsa_system_sgpr_workgroup_info 0
		.amdhsa_system_vgpr_workitem_id 0
		.amdhsa_next_free_vgpr 37
		.amdhsa_next_free_sgpr 34
		.amdhsa_reserve_vcc 1
		.amdhsa_float_round_mode_32 0
		.amdhsa_float_round_mode_16_64 0
		.amdhsa_float_denorm_mode_32 3
		.amdhsa_float_denorm_mode_16_64 3
		.amdhsa_dx10_clamp 1
		.amdhsa_ieee_mode 1
		.amdhsa_fp16_overflow 0
		.amdhsa_workgroup_processor_mode 1
		.amdhsa_memory_ordered 1
		.amdhsa_forward_progress 0
		.amdhsa_shared_vgpr_count 0
		.amdhsa_exception_fp_ieee_invalid_op 0
		.amdhsa_exception_fp_denorm_src 0
		.amdhsa_exception_fp_ieee_div_zero 0
		.amdhsa_exception_fp_ieee_overflow 0
		.amdhsa_exception_fp_ieee_underflow 0
		.amdhsa_exception_fp_ieee_inexact 0
		.amdhsa_exception_int_div_zero 0
	.end_amdhsa_kernel
	.section	.text._ZL18flash_attn_ext_f16ILi512ELi512ELi2ELi8ELb0ELb0EEvPKcS1_S1_S1_S1_PKiPfP15HIP_vector_typeIfLj2EEffffjfiS5_IjLj3EEiiiiiiiiiiiliiliiiiil,"axG",@progbits,_ZL18flash_attn_ext_f16ILi512ELi512ELi2ELi8ELb0ELb0EEvPKcS1_S1_S1_S1_PKiPfP15HIP_vector_typeIfLj2EEffffjfiS5_IjLj3EEiiiiiiiiiiiliiliiiiil,comdat
.Lfunc_end36:
	.size	_ZL18flash_attn_ext_f16ILi512ELi512ELi2ELi8ELb0ELb0EEvPKcS1_S1_S1_S1_PKiPfP15HIP_vector_typeIfLj2EEffffjfiS5_IjLj3EEiiiiiiiiiiiliiliiiiil, .Lfunc_end36-_ZL18flash_attn_ext_f16ILi512ELi512ELi2ELi8ELb0ELb0EEvPKcS1_S1_S1_S1_PKiPfP15HIP_vector_typeIfLj2EEffffjfiS5_IjLj3EEiiiiiiiiiiiliiliiiiil
                                        ; -- End function
	.section	.AMDGPU.csdata,"",@progbits
; Kernel info:
; codeLenInByte = 52
; NumSgprs: 36
; NumVgprs: 37
; ScratchSize: 16
; MemoryBound: 0
; FloatMode: 240
; IeeeMode: 1
; LDSByteSize: 0 bytes/workgroup (compile time only)
; SGPRBlocks: 4
; VGPRBlocks: 4
; NumSGPRsForWavesPerEU: 36
; NumVGPRsForWavesPerEU: 37
; Occupancy: 16
; WaveLimiterHint : 1
; COMPUTE_PGM_RSRC2:SCRATCH_EN: 1
; COMPUTE_PGM_RSRC2:USER_SGPR: 15
; COMPUTE_PGM_RSRC2:TRAP_HANDLER: 0
; COMPUTE_PGM_RSRC2:TGID_X_EN: 1
; COMPUTE_PGM_RSRC2:TGID_Y_EN: 0
; COMPUTE_PGM_RSRC2:TGID_Z_EN: 0
; COMPUTE_PGM_RSRC2:TIDIG_COMP_CNT: 0
	.section	.text._ZL18flash_attn_ext_f16ILi512ELi512ELi2ELi8ELb1ELb0EEvPKcS1_S1_S1_S1_PKiPfP15HIP_vector_typeIfLj2EEffffjfiS5_IjLj3EEiiiiiiiiiiiliiliiiiil,"axG",@progbits,_ZL18flash_attn_ext_f16ILi512ELi512ELi2ELi8ELb1ELb0EEvPKcS1_S1_S1_S1_PKiPfP15HIP_vector_typeIfLj2EEffffjfiS5_IjLj3EEiiiiiiiiiiiliiliiiiil,comdat
	.globl	_ZL18flash_attn_ext_f16ILi512ELi512ELi2ELi8ELb1ELb0EEvPKcS1_S1_S1_S1_PKiPfP15HIP_vector_typeIfLj2EEffffjfiS5_IjLj3EEiiiiiiiiiiiliiliiiiil ; -- Begin function _ZL18flash_attn_ext_f16ILi512ELi512ELi2ELi8ELb1ELb0EEvPKcS1_S1_S1_S1_PKiPfP15HIP_vector_typeIfLj2EEffffjfiS5_IjLj3EEiiiiiiiiiiiliiliiiiil
	.p2align	8
	.type	_ZL18flash_attn_ext_f16ILi512ELi512ELi2ELi8ELb1ELb0EEvPKcS1_S1_S1_S1_PKiPfP15HIP_vector_typeIfLj2EEffffjfiS5_IjLj3EEiiiiiiiiiiiliiliiiiil,@function
_ZL18flash_attn_ext_f16ILi512ELi512ELi2ELi8ELb1ELb0EEvPKcS1_S1_S1_S1_PKiPfP15HIP_vector_typeIfLj2EEffffjfiS5_IjLj3EEiiiiiiiiiiiliiliiiiil: ; @_ZL18flash_attn_ext_f16ILi512ELi512ELi2ELi8ELb1ELb0EEvPKcS1_S1_S1_S1_PKiPfP15HIP_vector_typeIfLj2EEffffjfiS5_IjLj3EEiiiiiiiiiiiliiliiiiil
; %bb.0:
	v_mov_b32_e32 v0, 0x6e3
	s_add_u32 s8, s0, 0xd0
	s_addc_u32 s9, s1, 0
	s_mov_b32 s32, 0
	s_getpc_b64 s[0:1]
	s_add_u32 s0, s0, _ZL14no_device_codePKciS0_iS0_@rel32@lo+4
	s_addc_u32 s1, s1, _ZL14no_device_codePKciS0_iS0_@rel32@hi+12
	s_delay_alu instid0(SALU_CYCLE_1)
	s_swappc_b64 s[30:31], s[0:1]
	.section	.rodata,"a",@progbits
	.p2align	6, 0x0
	.amdhsa_kernel _ZL18flash_attn_ext_f16ILi512ELi512ELi2ELi8ELb1ELb0EEvPKcS1_S1_S1_S1_PKiPfP15HIP_vector_typeIfLj2EEffffjfiS5_IjLj3EEiiiiiiiiiiiliiliiiiil
		.amdhsa_group_segment_fixed_size 0
		.amdhsa_private_segment_fixed_size 16
		.amdhsa_kernarg_size 464
		.amdhsa_user_sgpr_count 15
		.amdhsa_user_sgpr_dispatch_ptr 0
		.amdhsa_user_sgpr_queue_ptr 0
		.amdhsa_user_sgpr_kernarg_segment_ptr 1
		.amdhsa_user_sgpr_dispatch_id 0
		.amdhsa_user_sgpr_private_segment_size 0
		.amdhsa_wavefront_size32 1
		.amdhsa_uses_dynamic_stack 0
		.amdhsa_enable_private_segment 1
		.amdhsa_system_sgpr_workgroup_id_x 1
		.amdhsa_system_sgpr_workgroup_id_y 0
		.amdhsa_system_sgpr_workgroup_id_z 0
		.amdhsa_system_sgpr_workgroup_info 0
		.amdhsa_system_vgpr_workitem_id 0
		.amdhsa_next_free_vgpr 37
		.amdhsa_next_free_sgpr 34
		.amdhsa_reserve_vcc 1
		.amdhsa_float_round_mode_32 0
		.amdhsa_float_round_mode_16_64 0
		.amdhsa_float_denorm_mode_32 3
		.amdhsa_float_denorm_mode_16_64 3
		.amdhsa_dx10_clamp 1
		.amdhsa_ieee_mode 1
		.amdhsa_fp16_overflow 0
		.amdhsa_workgroup_processor_mode 1
		.amdhsa_memory_ordered 1
		.amdhsa_forward_progress 0
		.amdhsa_shared_vgpr_count 0
		.amdhsa_exception_fp_ieee_invalid_op 0
		.amdhsa_exception_fp_denorm_src 0
		.amdhsa_exception_fp_ieee_div_zero 0
		.amdhsa_exception_fp_ieee_overflow 0
		.amdhsa_exception_fp_ieee_underflow 0
		.amdhsa_exception_fp_ieee_inexact 0
		.amdhsa_exception_int_div_zero 0
	.end_amdhsa_kernel
	.section	.text._ZL18flash_attn_ext_f16ILi512ELi512ELi2ELi8ELb1ELb0EEvPKcS1_S1_S1_S1_PKiPfP15HIP_vector_typeIfLj2EEffffjfiS5_IjLj3EEiiiiiiiiiiiliiliiiiil,"axG",@progbits,_ZL18flash_attn_ext_f16ILi512ELi512ELi2ELi8ELb1ELb0EEvPKcS1_S1_S1_S1_PKiPfP15HIP_vector_typeIfLj2EEffffjfiS5_IjLj3EEiiiiiiiiiiiliiliiiiil,comdat
.Lfunc_end37:
	.size	_ZL18flash_attn_ext_f16ILi512ELi512ELi2ELi8ELb1ELb0EEvPKcS1_S1_S1_S1_PKiPfP15HIP_vector_typeIfLj2EEffffjfiS5_IjLj3EEiiiiiiiiiiiliiliiiiil, .Lfunc_end37-_ZL18flash_attn_ext_f16ILi512ELi512ELi2ELi8ELb1ELb0EEvPKcS1_S1_S1_S1_PKiPfP15HIP_vector_typeIfLj2EEffffjfiS5_IjLj3EEiiiiiiiiiiiliiliiiiil
                                        ; -- End function
	.section	.AMDGPU.csdata,"",@progbits
; Kernel info:
; codeLenInByte = 52
; NumSgprs: 36
; NumVgprs: 37
; ScratchSize: 16
; MemoryBound: 0
; FloatMode: 240
; IeeeMode: 1
; LDSByteSize: 0 bytes/workgroup (compile time only)
; SGPRBlocks: 4
; VGPRBlocks: 4
; NumSGPRsForWavesPerEU: 36
; NumVGPRsForWavesPerEU: 37
; Occupancy: 16
; WaveLimiterHint : 1
; COMPUTE_PGM_RSRC2:SCRATCH_EN: 1
; COMPUTE_PGM_RSRC2:USER_SGPR: 15
; COMPUTE_PGM_RSRC2:TRAP_HANDLER: 0
; COMPUTE_PGM_RSRC2:TGID_X_EN: 1
; COMPUTE_PGM_RSRC2:TGID_Y_EN: 0
; COMPUTE_PGM_RSRC2:TGID_Z_EN: 0
; COMPUTE_PGM_RSRC2:TIDIG_COMP_CNT: 0
	.section	.text._ZL33flash_attn_stream_k_fixup_uniformILi512ELi2ELi8EEvPfPK15HIP_vector_typeIfLj2EEiiiiiiS1_IjLj3EES5_S5_,"axG",@progbits,_ZL33flash_attn_stream_k_fixup_uniformILi512ELi2ELi8EEvPfPK15HIP_vector_typeIfLj2EEiiiiiiS1_IjLj3EES5_S5_,comdat
	.globl	_ZL33flash_attn_stream_k_fixup_uniformILi512ELi2ELi8EEvPfPK15HIP_vector_typeIfLj2EEiiiiiiS1_IjLj3EES5_S5_ ; -- Begin function _ZL33flash_attn_stream_k_fixup_uniformILi512ELi2ELi8EEvPfPK15HIP_vector_typeIfLj2EEiiiiiiS1_IjLj3EES5_S5_
	.p2align	8
	.type	_ZL33flash_attn_stream_k_fixup_uniformILi512ELi2ELi8EEvPfPK15HIP_vector_typeIfLj2EEiiiiiiS1_IjLj3EES5_S5_,@function
_ZL33flash_attn_stream_k_fixup_uniformILi512ELi2ELi8EEvPfPK15HIP_vector_typeIfLj2EEiiiiiiS1_IjLj3EES5_S5_: ; @_ZL33flash_attn_stream_k_fixup_uniformILi512ELi2ELi8EEvPfPK15HIP_vector_typeIfLj2EEiiiiiiS1_IjLj3EES5_S5_
; %bb.0:
	s_clause 0x1
	s_load_b256 s[4:11], s[0:1], 0x1c
	s_load_b128 s[16:19], s[0:1], 0x3c
	s_waitcnt lgkmcnt(0)
	s_mul_hi_u32 s2, s7, s13
	s_delay_alu instid0(SALU_CYCLE_1) | instskip(NEXT) | instid1(SALU_CYCLE_1)
	s_add_i32 s2, s13, s2
	s_lshr_b32 s2, s2, s8
	s_delay_alu instid0(SALU_CYCLE_1) | instskip(SKIP_2) | instid1(SALU_CYCLE_1)
	s_mul_i32 s3, s2, s9
	s_load_b64 s[8:9], s[0:1], 0x10
	s_sub_i32 s7, s13, s3
	s_mul_hi_u32 s3, s7, s10
	s_delay_alu instid0(SALU_CYCLE_1) | instskip(NEXT) | instid1(SALU_CYCLE_1)
	s_add_i32 s3, s7, s3
	s_lshr_b32 s3, s3, s11
	s_delay_alu instid0(SALU_CYCLE_1) | instskip(NEXT) | instid1(SALU_CYCLE_1)
	s_mul_i32 s10, s3, s16
	s_sub_i32 s7, s7, s10
	s_delay_alu instid0(SALU_CYCLE_1) | instskip(NEXT) | instid1(SALU_CYCLE_1)
	s_mul_hi_u32 s10, s7, s17
	s_add_i32 s10, s7, s10
	s_delay_alu instid0(SALU_CYCLE_1) | instskip(NEXT) | instid1(SALU_CYCLE_1)
	s_lshr_b32 s10, s10, s18
	s_mul_i32 s11, s10, s19
	s_lshl_b32 s10, s10, 3
	s_sub_i32 s7, s7, s11
	s_delay_alu instid0(SALU_CYCLE_1) | instskip(NEXT) | instid1(SALU_CYCLE_1)
	s_lshl_b32 s11, s7, 1
	s_add_i32 s11, s11, s14
	s_waitcnt lgkmcnt(0)
	s_cmp_lt_i32 s11, s8
	s_cselect_b32 s11, -1, 0
	s_add_i32 s12, s10, s15
	s_delay_alu instid0(SALU_CYCLE_1) | instskip(SKIP_1) | instid1(SALU_CYCLE_1)
	s_cmp_lt_i32 s12, s5
	s_cselect_b32 s12, -1, 0
	s_and_b32 s11, s11, s12
	s_delay_alu instid0(SALU_CYCLE_1)
	s_and_not1_b32 vcc_lo, exec_lo, s11
	s_cbranch_vccnz .LBB38_6
; %bb.1:
	s_mul_i32 s2, s2, s8
	s_mul_i32 s5, s3, s5
	s_add_i32 s2, s2, s14
	s_mul_i32 s7, s9, s7
	s_mul_i32 s2, s2, s9
	s_lshl_b32 s7, s7, 10
	s_add_i32 s8, s2, s15
	s_load_b128 s[0:3], s[0:1], 0x0
	s_add_i32 s5, s8, s5
	s_lshl_b32 s9, s14, 3
	s_add_i32 s5, s5, s10
	s_delay_alu instid0(SALU_CYCLE_1) | instskip(NEXT) | instid1(SALU_CYCLE_1)
	s_lshl_b32 s5, s5, 9
	s_add_i32 s7, s7, s5
	s_mul_i32 s5, s13, s6
	v_or_b32_e32 v1, s7, v0
	s_add_i32 s10, s5, s6
	s_delay_alu instid0(VALU_DEP_1) | instskip(NEXT) | instid1(VALU_DEP_1)
	v_ashrrev_i32_e32 v2, 31, v1
	v_lshlrev_b64 v[1:2], 2, v[1:2]
	s_waitcnt lgkmcnt(0)
	s_delay_alu instid0(VALU_DEP_1) | instskip(NEXT) | instid1(VALU_DEP_2)
	v_add_co_u32 v1, vcc_lo, s0, v1
	v_add_co_ci_u32_e32 v2, vcc_lo, s1, v2, vcc_lo
	s_add_i32 s0, s9, s15
	s_lshl_b32 s1, s10, 4
	s_delay_alu instid0(SALU_CYCLE_1) | instskip(SKIP_2) | instid1(SALU_CYCLE_1)
	s_add_i32 s0, s0, s1
	global_load_b32 v5, v[1:2], off
	s_add_i32 s0, s0, -16
	s_ashr_i32 s1, s0, 31
	s_delay_alu instid0(SALU_CYCLE_1) | instskip(NEXT) | instid1(SALU_CYCLE_1)
	s_lshl_b64 s[0:1], s[0:1], 3
	s_add_u32 s0, s2, s0
	s_addc_u32 s1, s3, s1
	s_add_i32 s7, s10, -2
	s_load_b32 s11, s[0:1], 0x4
	s_cmp_lt_i32 s7, s5
	s_cbranch_scc1 .LBB38_4
; %bb.2:
	s_lshl_b32 s16, s4, 6
	s_load_b32 s12, s[0:1], 0x0
	s_ashr_i32 s17, s16, 31
	s_delay_alu instid0(SALU_CYCLE_1) | instskip(NEXT) | instid1(SALU_CYCLE_1)
	s_lshl_b64 s[0:1], s[16:17], 2
	s_add_u32 s7, s2, s0
	s_addc_u32 s8, s3, s1
	s_add_i32 s13, s13, 1
	s_lshl_b32 s0, s14, 12
	s_lshl_b32 s1, s15, 9
	s_mul_i32 s6, s6, s13
	s_add_i32 s0, s1, s0
	s_lshl_b32 s1, s6, 13
	s_delay_alu instid0(SALU_CYCLE_1)
	s_add_i32 s0, s0, s1
	s_lshl_b32 s1, s6, 4
	v_or_b32_e32 v0, s0, v0
	s_lshl_b32 s0, s4, 4
	s_add_i32 s1, s15, s1
	s_waitcnt lgkmcnt(0)
	v_mov_b32_e32 v6, s11
	s_add_i32 s0, s1, s0
	v_dual_mov_b32 v0, s12 :: v_dual_add_nc_u32 v3, 0xffffc000, v0
	s_add_i32 s0, s0, s9
	s_add_i32 s4, s10, -1
	s_sub_i32 s0, s0, 32
.LBB38_3:                               ; =>This Inner Loop Header: Depth=1
	s_delay_alu instid0(VALU_DEP_1) | instskip(SKIP_1) | instid1(SALU_CYCLE_1)
	v_ashrrev_i32_e32 v4, 31, v3
	s_ashr_i32 s1, s0, 31
	s_lshl_b64 s[10:11], s[0:1], 3
	s_delay_alu instid0(SALU_CYCLE_1) | instskip(NEXT) | instid1(VALU_DEP_1)
	s_add_u32 s10, s2, s10
	v_lshlrev_b64 v[7:8], 2, v[3:4]
	s_addc_u32 s11, s3, s11
	s_add_i32 s4, s4, -1
	s_add_i32 s0, s0, -16
	s_cmp_le_i32 s4, s5
	s_load_b64 s[10:11], s[10:11], 0x0
	v_add_co_u32 v7, vcc_lo, s7, v7
	v_add_co_ci_u32_e32 v8, vcc_lo, s8, v8, vcc_lo
	global_load_b32 v4, v[7:8], off
	v_max_f32_e32 v7, v0, v0
	s_waitcnt lgkmcnt(0)
	v_max_f32_e64 v8, s10, s10
	s_delay_alu instid0(VALU_DEP_1) | instskip(NEXT) | instid1(VALU_DEP_1)
	v_max_f32_e32 v7, v7, v8
	v_sub_f32_e32 v8, s10, v7
	s_delay_alu instid0(VALU_DEP_1) | instskip(NEXT) | instid1(VALU_DEP_1)
	v_dual_sub_f32 v0, v0, v7 :: v_dual_mul_f32 v9, 0x3fb8aa3b, v8
	v_fma_f32 v10, 0x3fb8aa3b, v8, -v9
	v_rndne_f32_e32 v11, v9
	s_delay_alu instid0(VALU_DEP_3) | instskip(NEXT) | instid1(VALU_DEP_2)
	v_mul_f32_e32 v12, 0x3fb8aa3b, v0
	v_dual_fmac_f32 v10, 0x32a5705f, v8 :: v_dual_sub_f32 v9, v9, v11
	v_cvt_i32_f32_e32 v11, v11
	s_delay_alu instid0(VALU_DEP_3) | instskip(SKIP_1) | instid1(VALU_DEP_4)
	v_fma_f32 v13, 0x3fb8aa3b, v0, -v12
	v_rndne_f32_e32 v14, v12
	v_add_f32_e32 v9, v9, v10
	v_cmp_ngt_f32_e32 vcc_lo, 0xc2ce8ed0, v8
	s_delay_alu instid0(VALU_DEP_3) | instskip(NEXT) | instid1(VALU_DEP_3)
	v_sub_f32_e32 v10, v12, v14
	v_exp_f32_e32 v9, v9
	s_waitcnt_depctr 0xfff
	v_ldexp_f32 v9, v9, v11
	v_cvt_i32_f32_e32 v11, v14
	s_delay_alu instid0(VALU_DEP_2) | instskip(SKIP_1) | instid1(VALU_DEP_2)
	v_cndmask_b32_e32 v9, 0, v9, vcc_lo
	v_cmp_nlt_f32_e32 vcc_lo, 0x42b17218, v8
	v_cndmask_b32_e32 v9, 0x7f800000, v9, vcc_lo
	v_cmp_ngt_f32_e32 vcc_lo, 0xc2ce8ed0, v0
	v_fmac_f32_e32 v13, 0x32a5705f, v0
	s_delay_alu instid0(VALU_DEP_1) | instskip(NEXT) | instid1(VALU_DEP_1)
	v_add_f32_e32 v10, v10, v13
	v_exp_f32_e32 v10, v10
	s_waitcnt_depctr 0xfff
	v_ldexp_f32 v10, v10, v11
	s_delay_alu instid0(VALU_DEP_1)
	v_dual_mov_b32 v11, v6 :: v_dual_cndmask_b32 v10, 0, v10
	v_cmp_le_f32_e32 vcc_lo, 0xc1a00000, v8
	s_waitcnt vmcnt(1)
	v_dual_cndmask_b32 v8, 0, v9 :: v_dual_mov_b32 v9, v5
	v_cmp_nlt_f32_e32 vcc_lo, 0x42b17218, v0
	v_cndmask_b32_e32 v5, 0x7f800000, v10, vcc_lo
	s_delay_alu instid0(VALU_DEP_3) | instskip(SKIP_2) | instid1(VALU_DEP_3)
	v_mul_f32_e32 v10, s11, v8
	v_cmp_le_f32_e32 vcc_lo, 0xc1a00000, v0
	v_mov_b32_e32 v0, v7
	v_mov_b32_e32 v6, v10
	s_waitcnt vmcnt(0)
	v_dual_cndmask_b32 v12, 0, v5 :: v_dual_mul_f32 v5, v4, v8
	s_delay_alu instid0(VALU_DEP_1) | instskip(NEXT) | instid1(VALU_DEP_2)
	v_dual_fmac_f32 v6, v11, v12 :: v_dual_add_nc_u32 v3, 0xffffe000, v3
	v_fmac_f32_e32 v5, v9, v12
	s_cbranch_scc0 .LBB38_3
	s_branch .LBB38_5
.LBB38_4:
	s_waitcnt lgkmcnt(0)
	v_mov_b32_e32 v6, s11
.LBB38_5:
	s_waitcnt vmcnt(0)
	s_delay_alu instid0(VALU_DEP_1) | instskip(NEXT) | instid1(VALU_DEP_1)
	v_div_scale_f32 v0, null, v6, v6, v5
	v_rcp_f32_e32 v3, v0
	s_waitcnt_depctr 0xfff
	v_fma_f32 v4, -v0, v3, 1.0
	s_delay_alu instid0(VALU_DEP_1) | instskip(SKIP_1) | instid1(VALU_DEP_1)
	v_fmac_f32_e32 v3, v4, v3
	v_div_scale_f32 v4, vcc_lo, v5, v6, v5
	v_mul_f32_e32 v7, v4, v3
	s_delay_alu instid0(VALU_DEP_1) | instskip(NEXT) | instid1(VALU_DEP_1)
	v_fma_f32 v8, -v0, v7, v4
	v_fmac_f32_e32 v7, v8, v3
	s_delay_alu instid0(VALU_DEP_1) | instskip(NEXT) | instid1(VALU_DEP_1)
	v_fma_f32 v0, -v0, v7, v4
	v_div_fmas_f32 v0, v0, v3, v7
	s_delay_alu instid0(VALU_DEP_1)
	v_div_fixup_f32 v0, v0, v6, v5
	global_store_b32 v[1:2], v0, off
.LBB38_6:
	s_nop 0
	s_sendmsg sendmsg(MSG_DEALLOC_VGPRS)
	s_endpgm
	.section	.rodata,"a",@progbits
	.p2align	6, 0x0
	.amdhsa_kernel _ZL33flash_attn_stream_k_fixup_uniformILi512ELi2ELi8EEvPfPK15HIP_vector_typeIfLj2EEiiiiiiS1_IjLj3EES5_S5_
		.amdhsa_group_segment_fixed_size 0
		.amdhsa_private_segment_fixed_size 0
		.amdhsa_kernarg_size 76
		.amdhsa_user_sgpr_count 13
		.amdhsa_user_sgpr_dispatch_ptr 0
		.amdhsa_user_sgpr_queue_ptr 0
		.amdhsa_user_sgpr_kernarg_segment_ptr 1
		.amdhsa_user_sgpr_dispatch_id 0
		.amdhsa_user_sgpr_private_segment_size 0
		.amdhsa_wavefront_size32 1
		.amdhsa_uses_dynamic_stack 0
		.amdhsa_enable_private_segment 0
		.amdhsa_system_sgpr_workgroup_id_x 1
		.amdhsa_system_sgpr_workgroup_id_y 1
		.amdhsa_system_sgpr_workgroup_id_z 1
		.amdhsa_system_sgpr_workgroup_info 0
		.amdhsa_system_vgpr_workitem_id 0
		.amdhsa_next_free_vgpr 15
		.amdhsa_next_free_sgpr 20
		.amdhsa_reserve_vcc 1
		.amdhsa_float_round_mode_32 0
		.amdhsa_float_round_mode_16_64 0
		.amdhsa_float_denorm_mode_32 3
		.amdhsa_float_denorm_mode_16_64 3
		.amdhsa_dx10_clamp 1
		.amdhsa_ieee_mode 1
		.amdhsa_fp16_overflow 0
		.amdhsa_workgroup_processor_mode 1
		.amdhsa_memory_ordered 1
		.amdhsa_forward_progress 0
		.amdhsa_shared_vgpr_count 0
		.amdhsa_exception_fp_ieee_invalid_op 0
		.amdhsa_exception_fp_denorm_src 0
		.amdhsa_exception_fp_ieee_div_zero 0
		.amdhsa_exception_fp_ieee_overflow 0
		.amdhsa_exception_fp_ieee_underflow 0
		.amdhsa_exception_fp_ieee_inexact 0
		.amdhsa_exception_int_div_zero 0
	.end_amdhsa_kernel
	.section	.text._ZL33flash_attn_stream_k_fixup_uniformILi512ELi2ELi8EEvPfPK15HIP_vector_typeIfLj2EEiiiiiiS1_IjLj3EES5_S5_,"axG",@progbits,_ZL33flash_attn_stream_k_fixup_uniformILi512ELi2ELi8EEvPfPK15HIP_vector_typeIfLj2EEiiiiiiS1_IjLj3EES5_S5_,comdat
.Lfunc_end38:
	.size	_ZL33flash_attn_stream_k_fixup_uniformILi512ELi2ELi8EEvPfPK15HIP_vector_typeIfLj2EEiiiiiiS1_IjLj3EES5_S5_, .Lfunc_end38-_ZL33flash_attn_stream_k_fixup_uniformILi512ELi2ELi8EEvPfPK15HIP_vector_typeIfLj2EEiiiiiiS1_IjLj3EES5_S5_
                                        ; -- End function
	.section	.AMDGPU.csdata,"",@progbits
; Kernel info:
; codeLenInByte = 996
; NumSgprs: 22
; NumVgprs: 15
; ScratchSize: 0
; MemoryBound: 0
; FloatMode: 240
; IeeeMode: 1
; LDSByteSize: 0 bytes/workgroup (compile time only)
; SGPRBlocks: 2
; VGPRBlocks: 1
; NumSGPRsForWavesPerEU: 22
; NumVGPRsForWavesPerEU: 15
; Occupancy: 16
; WaveLimiterHint : 0
; COMPUTE_PGM_RSRC2:SCRATCH_EN: 0
; COMPUTE_PGM_RSRC2:USER_SGPR: 13
; COMPUTE_PGM_RSRC2:TRAP_HANDLER: 0
; COMPUTE_PGM_RSRC2:TGID_X_EN: 1
; COMPUTE_PGM_RSRC2:TGID_Y_EN: 1
; COMPUTE_PGM_RSRC2:TGID_Z_EN: 1
; COMPUTE_PGM_RSRC2:TIDIG_COMP_CNT: 0
	.section	.text._ZL33flash_attn_stream_k_fixup_generalILi512ELi2ELi8EEvPfPK15HIP_vector_typeIfLj2EEiiiiS1_IjLj3EES5_S5_S5_,"axG",@progbits,_ZL33flash_attn_stream_k_fixup_generalILi512ELi2ELi8EEvPfPK15HIP_vector_typeIfLj2EEiiiiS1_IjLj3EES5_S5_S5_,comdat
	.globl	_ZL33flash_attn_stream_k_fixup_generalILi512ELi2ELi8EEvPfPK15HIP_vector_typeIfLj2EEiiiiS1_IjLj3EES5_S5_S5_ ; -- Begin function _ZL33flash_attn_stream_k_fixup_generalILi512ELi2ELi8EEvPfPK15HIP_vector_typeIfLj2EEiiiiS1_IjLj3EES5_S5_S5_
	.p2align	8
	.type	_ZL33flash_attn_stream_k_fixup_generalILi512ELi2ELi8EEvPfPK15HIP_vector_typeIfLj2EEiiiiS1_IjLj3EES5_S5_S5_,@function
_ZL33flash_attn_stream_k_fixup_generalILi512ELi2ELi8EEvPfPK15HIP_vector_typeIfLj2EEiiiiS1_IjLj3EES5_S5_S5_: ; @_ZL33flash_attn_stream_k_fixup_generalILi512ELi2ELi8EEvPfPK15HIP_vector_typeIfLj2EEiiiiS1_IjLj3EES5_S5_S5_
; %bb.0:
	s_clause 0x1
	s_load_b128 s[4:7], s[0:1], 0x10
	s_load_b32 s20, s[0:1], 0x50
	s_mov_b32 s2, 0
	s_waitcnt lgkmcnt(0)
	s_mul_hi_i32 s3, s7, s13
	s_mul_i32 s12, s7, s13
	s_cmp_lg_u64 s[2:3], 0
	s_cbranch_scc0 .LBB39_21
; %bb.1:
	v_cvt_f32_ubyte0_e32 v1, 0
	v_cvt_f32_u32_e32 v2, s20
	s_sub_u32 s10, 0, s20
	s_subb_u32 s11, 0, 0
	s_delay_alu instid0(VALU_DEP_1) | instskip(NEXT) | instid1(VALU_DEP_1)
	v_fmamk_f32 v1, v1, 0x4f800000, v2
	v_rcp_f32_e32 v1, v1
	s_waitcnt_depctr 0xfff
	v_mul_f32_e32 v1, 0x5f7ffffc, v1
	s_delay_alu instid0(VALU_DEP_1) | instskip(NEXT) | instid1(VALU_DEP_1)
	v_mul_f32_e32 v2, 0x2f800000, v1
	v_trunc_f32_e32 v2, v2
	s_delay_alu instid0(VALU_DEP_1) | instskip(SKIP_1) | instid1(VALU_DEP_2)
	v_fmamk_f32 v1, v2, 0xcf800000, v1
	v_cvt_u32_f32_e32 v2, v2
	v_cvt_u32_f32_e32 v1, v1
	s_delay_alu instid0(VALU_DEP_2) | instskip(NEXT) | instid1(VALU_DEP_2)
	v_readfirstlane_b32 s8, v2
	v_readfirstlane_b32 s9, v1
	s_delay_alu instid0(VALU_DEP_2) | instskip(NEXT) | instid1(VALU_DEP_1)
	s_mul_i32 s16, s10, s8
	s_mul_hi_u32 s18, s10, s9
	s_mul_i32 s17, s11, s9
	s_add_i32 s16, s18, s16
	s_mul_i32 s19, s10, s9
	s_add_i32 s16, s16, s17
	s_mul_hi_u32 s18, s9, s19
	s_mul_hi_u32 s21, s8, s19
	s_mul_i32 s17, s8, s19
	s_mul_hi_u32 s19, s9, s16
	s_mul_i32 s9, s9, s16
	s_mul_hi_u32 s22, s8, s16
	s_add_u32 s9, s18, s9
	s_addc_u32 s18, 0, s19
	s_add_u32 s9, s9, s17
	s_mul_i32 s16, s8, s16
	s_addc_u32 s9, s18, s21
	s_addc_u32 s17, s22, 0
	s_add_u32 s9, s9, s16
	s_addc_u32 s16, 0, s17
	v_add_co_u32 v1, s9, v1, s9
	s_delay_alu instid0(VALU_DEP_1) | instskip(SKIP_1) | instid1(VALU_DEP_1)
	s_cmp_lg_u32 s9, 0
	s_addc_u32 s8, s8, s16
	v_readfirstlane_b32 s9, v1
	s_mul_i32 s16, s10, s8
	s_delay_alu instid0(VALU_DEP_1)
	s_mul_hi_u32 s17, s10, s9
	s_mul_i32 s11, s11, s9
	s_add_i32 s16, s17, s16
	s_mul_i32 s10, s10, s9
	s_add_i32 s16, s16, s11
	s_mul_hi_u32 s17, s8, s10
	s_mul_i32 s18, s8, s10
	s_mul_hi_u32 s10, s9, s10
	s_mul_hi_u32 s19, s9, s16
	s_mul_i32 s9, s9, s16
	s_mul_hi_u32 s11, s8, s16
	s_add_u32 s9, s10, s9
	s_addc_u32 s10, 0, s19
	s_add_u32 s9, s9, s18
	s_mul_i32 s16, s8, s16
	s_addc_u32 s9, s10, s17
	s_addc_u32 s10, s11, 0
	s_add_u32 s9, s9, s16
	s_addc_u32 s10, 0, s10
	v_add_co_u32 v1, s9, v1, s9
	s_delay_alu instid0(VALU_DEP_1) | instskip(SKIP_2) | instid1(SALU_CYCLE_1)
	s_cmp_lg_u32 s9, 0
	s_addc_u32 s16, s8, s10
	s_ashr_i32 s8, s3, 31
	s_add_u32 s10, s12, s8
	s_addc_u32 s11, s3, s8
	v_readfirstlane_b32 s3, v1
	s_mov_b32 s9, s8
	s_delay_alu instid0(SALU_CYCLE_1) | instskip(NEXT) | instid1(SALU_CYCLE_1)
	s_xor_b64 s[10:11], s[10:11], s[8:9]
	s_mul_i32 s18, s10, s16
	s_delay_alu instid0(VALU_DEP_1)
	s_mul_hi_u32 s19, s10, s3
	s_mul_hi_u32 s17, s10, s16
	;; [unrolled: 1-line block ×3, first 2 shown]
	s_mul_i32 s3, s11, s3
	s_add_u32 s18, s19, s18
	s_addc_u32 s17, 0, s17
	s_mul_hi_u32 s21, s11, s16
	s_add_u32 s3, s18, s3
	s_mul_i32 s16, s11, s16
	s_addc_u32 s3, s17, s22
	s_addc_u32 s17, s21, 0
	s_add_u32 s3, s3, s16
	s_addc_u32 s16, 0, s17
	s_mul_i32 s18, s20, s3
	s_add_u32 s17, s3, 1
	v_sub_co_u32 v1, s10, s10, s18
	s_mul_hi_u32 s18, s20, s3
	s_addc_u32 s19, s16, 0
	s_mul_i32 s21, s20, s16
	s_delay_alu instid0(VALU_DEP_1)
	v_sub_co_u32 v2, s22, v1, s20
	s_add_u32 s23, s3, 2
	s_addc_u32 s24, s16, 0
	s_add_i32 s18, s18, s21
	s_cmp_lg_u32 s10, 0
	v_readfirstlane_b32 s10, v2
	s_subb_u32 s11, s11, s18
	s_cmp_lg_u32 s22, 0
	s_subb_u32 s18, s11, 0
	s_delay_alu instid0(VALU_DEP_1) | instskip(SKIP_4) | instid1(SALU_CYCLE_1)
	s_cmp_ge_u32 s10, s20
	s_cselect_b32 s10, -1, 0
	s_cmp_eq_u32 s18, 0
	v_readfirstlane_b32 s18, v1
	s_cselect_b32 s10, s10, -1
	s_cmp_lg_u32 s10, 0
	s_cselect_b32 s10, s23, s17
	s_cselect_b32 s17, s24, s19
	s_cmp_ge_u32 s18, s20
	s_cselect_b32 s18, -1, 0
	s_cmp_eq_u32 s11, 0
	s_cselect_b32 s11, s18, -1
	s_delay_alu instid0(SALU_CYCLE_1) | instskip(SKIP_2) | instid1(SALU_CYCLE_1)
	s_cmp_lg_u32 s11, 0
	s_cselect_b32 s11, s17, s16
	s_cselect_b32 s10, s10, s3
	s_xor_b64 s[10:11], s[10:11], s[8:9]
	s_delay_alu instid0(SALU_CYCLE_1)
	s_sub_u32 s16, s10, s8
	s_load_b128 s[8:11], s[0:1], 0x44
	s_and_not1_b32 vcc_lo, exec_lo, s2
	s_cbranch_vccnz .LBB39_3
.LBB39_2:
	v_cvt_f32_u32_e32 v1, s20
	s_sub_i32 s3, 0, s20
	s_delay_alu instid0(VALU_DEP_1) | instskip(SKIP_2) | instid1(VALU_DEP_1)
	v_rcp_iflag_f32_e32 v1, v1
	s_waitcnt_depctr 0xfff
	v_mul_f32_e32 v1, 0x4f7ffffe, v1
	v_cvt_u32_f32_e32 v1, v1
	s_delay_alu instid0(VALU_DEP_1) | instskip(NEXT) | instid1(VALU_DEP_1)
	v_readfirstlane_b32 s2, v1
	s_mul_i32 s3, s3, s2
	s_delay_alu instid0(SALU_CYCLE_1) | instskip(NEXT) | instid1(SALU_CYCLE_1)
	s_mul_hi_u32 s3, s2, s3
	s_add_i32 s2, s2, s3
	s_delay_alu instid0(SALU_CYCLE_1) | instskip(NEXT) | instid1(SALU_CYCLE_1)
	s_mul_hi_u32 s2, s12, s2
	s_mul_i32 s3, s2, s20
	s_waitcnt lgkmcnt(0)
	s_add_i32 s11, s2, 1
	s_sub_i32 s3, s12, s3
	s_delay_alu instid0(SALU_CYCLE_1)
	s_sub_i32 s12, s3, s20
	s_cmp_ge_u32 s3, s20
	s_cselect_b32 s2, s11, s2
	s_cselect_b32 s3, s12, s3
	s_add_i32 s11, s2, 1
	s_cmp_ge_u32 s3, s20
	s_cselect_b32 s16, s11, s2
.LBB39_3:
	s_waitcnt lgkmcnt(0)
	s_add_i32 s11, s13, 1
	s_mov_b32 s2, 0
	s_mul_hi_i32 s3, s7, s11
	s_mul_i32 s11, s7, s11
	s_cmp_lg_u64 s[2:3], 0
	s_cbranch_scc0 .LBB39_22
; %bb.4:
	v_cvt_f32_ubyte0_e32 v1, 0
	v_cvt_f32_u32_e32 v2, s20
	s_sub_u32 s18, 0, s20
	s_subb_u32 s19, 0, 0
	s_delay_alu instid0(VALU_DEP_1) | instskip(NEXT) | instid1(VALU_DEP_1)
	v_fmamk_f32 v1, v1, 0x4f800000, v2
	v_rcp_f32_e32 v1, v1
	s_waitcnt_depctr 0xfff
	v_mul_f32_e32 v1, 0x5f7ffffc, v1
	s_delay_alu instid0(VALU_DEP_1) | instskip(NEXT) | instid1(VALU_DEP_1)
	v_mul_f32_e32 v2, 0x2f800000, v1
	v_trunc_f32_e32 v2, v2
	s_delay_alu instid0(VALU_DEP_1) | instskip(SKIP_1) | instid1(VALU_DEP_2)
	v_fmamk_f32 v1, v2, 0xcf800000, v1
	v_cvt_u32_f32_e32 v2, v2
	v_cvt_u32_f32_e32 v1, v1
	s_delay_alu instid0(VALU_DEP_2) | instskip(NEXT) | instid1(VALU_DEP_2)
	v_readfirstlane_b32 s12, v2
	v_readfirstlane_b32 s17, v1
	s_delay_alu instid0(VALU_DEP_2) | instskip(NEXT) | instid1(VALU_DEP_1)
	s_mul_i32 s21, s18, s12
	s_mul_hi_u32 s23, s18, s17
	s_mul_i32 s22, s19, s17
	s_add_i32 s21, s23, s21
	s_mul_i32 s24, s18, s17
	s_add_i32 s21, s21, s22
	s_mul_hi_u32 s23, s17, s24
	s_mul_hi_u32 s25, s12, s24
	s_mul_i32 s22, s12, s24
	s_mul_hi_u32 s24, s17, s21
	s_mul_i32 s17, s17, s21
	s_mul_hi_u32 s26, s12, s21
	s_add_u32 s17, s23, s17
	s_addc_u32 s23, 0, s24
	s_add_u32 s17, s17, s22
	s_mul_i32 s21, s12, s21
	s_addc_u32 s17, s23, s25
	s_addc_u32 s22, s26, 0
	s_add_u32 s17, s17, s21
	s_addc_u32 s21, 0, s22
	v_add_co_u32 v1, s17, v1, s17
	s_delay_alu instid0(VALU_DEP_1) | instskip(SKIP_1) | instid1(VALU_DEP_1)
	s_cmp_lg_u32 s17, 0
	s_addc_u32 s12, s12, s21
	v_readfirstlane_b32 s17, v1
	s_mul_i32 s21, s18, s12
	s_delay_alu instid0(VALU_DEP_1)
	s_mul_hi_u32 s22, s18, s17
	s_mul_i32 s19, s19, s17
	s_add_i32 s21, s22, s21
	s_mul_i32 s18, s18, s17
	s_add_i32 s21, s21, s19
	s_mul_hi_u32 s22, s12, s18
	s_mul_i32 s23, s12, s18
	s_mul_hi_u32 s18, s17, s18
	s_mul_hi_u32 s24, s17, s21
	s_mul_i32 s17, s17, s21
	s_mul_hi_u32 s19, s12, s21
	s_add_u32 s17, s18, s17
	s_addc_u32 s18, 0, s24
	s_add_u32 s17, s17, s23
	s_mul_i32 s21, s12, s21
	s_addc_u32 s17, s18, s22
	s_addc_u32 s18, s19, 0
	s_add_u32 s17, s17, s21
	s_addc_u32 s18, 0, s18
	v_add_co_u32 v1, s17, v1, s17
	s_delay_alu instid0(VALU_DEP_1) | instskip(SKIP_2) | instid1(SALU_CYCLE_1)
	s_cmp_lg_u32 s17, 0
	s_addc_u32 s12, s12, s18
	s_ashr_i32 s18, s3, 31
	s_add_u32 s22, s11, s18
	s_addc_u32 s23, s3, s18
	v_readfirstlane_b32 s3, v1
	s_mov_b32 s19, s18
	s_delay_alu instid0(SALU_CYCLE_1) | instskip(NEXT) | instid1(SALU_CYCLE_1)
	s_xor_b64 s[22:23], s[22:23], s[18:19]
	s_mul_i32 s21, s22, s12
	s_delay_alu instid0(VALU_DEP_1)
	s_mul_hi_u32 s24, s22, s3
	s_mul_hi_u32 s17, s22, s12
	;; [unrolled: 1-line block ×3, first 2 shown]
	s_mul_i32 s3, s23, s3
	s_add_u32 s21, s24, s21
	s_addc_u32 s17, 0, s17
	s_mul_hi_u32 s25, s23, s12
	s_add_u32 s3, s21, s3
	s_mul_i32 s12, s23, s12
	s_addc_u32 s3, s17, s26
	s_addc_u32 s17, s25, 0
	s_add_u32 s3, s3, s12
	s_addc_u32 s12, 0, s17
	s_mul_i32 s21, s20, s3
	s_add_u32 s17, s3, 1
	v_sub_co_u32 v1, s21, s22, s21
	s_mul_hi_u32 s22, s20, s3
	s_addc_u32 s24, s12, 0
	s_mul_i32 s25, s20, s12
	s_delay_alu instid0(VALU_DEP_1)
	v_sub_co_u32 v2, s26, v1, s20
	s_add_u32 s27, s3, 2
	s_addc_u32 s28, s12, 0
	s_add_i32 s22, s22, s25
	s_cmp_lg_u32 s21, 0
	v_readfirstlane_b32 s21, v2
	s_subb_u32 s22, s23, s22
	s_cmp_lg_u32 s26, 0
	s_subb_u32 s23, s22, 0
	s_delay_alu instid0(VALU_DEP_1) | instskip(SKIP_4) | instid1(SALU_CYCLE_1)
	s_cmp_ge_u32 s21, s20
	s_cselect_b32 s21, -1, 0
	s_cmp_eq_u32 s23, 0
	v_readfirstlane_b32 s23, v1
	s_cselect_b32 s21, s21, -1
	s_cmp_lg_u32 s21, 0
	s_cselect_b32 s17, s27, s17
	s_cselect_b32 s21, s28, s24
	s_cmp_ge_u32 s23, s20
	s_cselect_b32 s23, -1, 0
	s_cmp_eq_u32 s22, 0
	s_cselect_b32 s22, s23, -1
	s_delay_alu instid0(SALU_CYCLE_1) | instskip(SKIP_2) | instid1(SALU_CYCLE_1)
	s_cmp_lg_u32 s22, 0
	s_cselect_b32 s23, s21, s12
	s_cselect_b32 s22, s17, s3
	s_xor_b64 s[22:23], s[22:23], s[18:19]
	s_delay_alu instid0(SALU_CYCLE_1)
	s_sub_u32 s18, s22, s18
	s_and_not1_b32 vcc_lo, exec_lo, s2
	s_cbranch_vccnz .LBB39_6
.LBB39_5:
	v_cvt_f32_u32_e32 v1, s20
	s_sub_i32 s3, 0, s20
	s_delay_alu instid0(VALU_DEP_1) | instskip(SKIP_2) | instid1(VALU_DEP_1)
	v_rcp_iflag_f32_e32 v1, v1
	s_waitcnt_depctr 0xfff
	v_mul_f32_e32 v1, 0x4f7ffffe, v1
	v_cvt_u32_f32_e32 v1, v1
	s_delay_alu instid0(VALU_DEP_1) | instskip(NEXT) | instid1(VALU_DEP_1)
	v_readfirstlane_b32 s2, v1
	s_mul_i32 s3, s3, s2
	s_delay_alu instid0(SALU_CYCLE_1) | instskip(NEXT) | instid1(SALU_CYCLE_1)
	s_mul_hi_u32 s3, s2, s3
	s_add_i32 s2, s2, s3
	s_delay_alu instid0(SALU_CYCLE_1) | instskip(NEXT) | instid1(SALU_CYCLE_1)
	s_mul_hi_u32 s2, s11, s2
	s_mul_i32 s3, s2, s20
	s_delay_alu instid0(SALU_CYCLE_1)
	s_sub_i32 s3, s11, s3
	s_add_i32 s11, s2, 1
	s_sub_i32 s12, s3, s20
	s_cmp_ge_u32 s3, s20
	s_cselect_b32 s2, s11, s2
	s_cselect_b32 s3, s12, s3
	s_add_i32 s11, s2, 1
	s_cmp_ge_u32 s3, s20
	s_cselect_b32 s18, s11, s2
.LBB39_6:
	s_delay_alu instid0(SALU_CYCLE_1) | instskip(SKIP_3) | instid1(SALU_CYCLE_1)
	s_cmp_eq_u32 s16, s18
	s_mul_hi_u32 s2, s16, s8
	s_cselect_b32 s3, -1, 0
	s_add_i32 s2, s2, s16
	s_lshr_b32 s11, s2, s9
	s_delay_alu instid0(SALU_CYCLE_1) | instskip(NEXT) | instid1(SALU_CYCLE_1)
	s_mul_i32 s2, s11, s10
	s_cmp_eq_u32 s2, s16
	s_mul_hi_u32 s2, s18, s8
	s_cselect_b32 s12, -1, 0
	s_add_i32 s2, s2, s18
	s_delay_alu instid0(SALU_CYCLE_1) | instskip(NEXT) | instid1(SALU_CYCLE_1)
	s_lshr_b32 s2, s2, s9
	s_cmp_eq_u32 s11, s2
	s_mul_i32 s2, s2, s10
	s_cselect_b32 s17, -1, 0
	s_cmp_lg_u32 s2, s18
	s_cselect_b32 s2, -1, 0
	s_or_b32 s3, s3, s12
	s_and_b32 s2, s17, s2
	s_delay_alu instid0(SALU_CYCLE_1) | instskip(NEXT) | instid1(SALU_CYCLE_1)
	s_or_b32 s2, s3, s2
	s_and_b32 vcc_lo, exec_lo, s2
	s_cbranch_vccnz .LBB39_24
; %bb.7:
	s_load_b256 s[24:31], s[0:1], 0x20
	s_waitcnt lgkmcnt(0)
	s_mul_hi_u32 s2, s16, s24
	s_delay_alu instid0(SALU_CYCLE_1) | instskip(NEXT) | instid1(SALU_CYCLE_1)
	s_add_i32 s2, s2, s16
	s_lshr_b32 s17, s2, s25
	s_load_b32 s2, s[0:1], 0x40
	s_mul_i32 s3, s17, s26
	s_delay_alu instid0(SALU_CYCLE_1) | instskip(NEXT) | instid1(SALU_CYCLE_1)
	s_sub_i32 s3, s16, s3
	s_mul_hi_u32 s12, s3, s27
	s_delay_alu instid0(SALU_CYCLE_1) | instskip(NEXT) | instid1(SALU_CYCLE_1)
	s_add_i32 s12, s3, s12
	s_lshr_b32 s21, s12, s28
	s_delay_alu instid0(SALU_CYCLE_1) | instskip(NEXT) | instid1(SALU_CYCLE_1)
	s_mul_i32 s12, s21, s29
	s_sub_i32 s3, s3, s12
	s_delay_alu instid0(SALU_CYCLE_1) | instskip(NEXT) | instid1(SALU_CYCLE_1)
	s_mul_hi_u32 s12, s3, s30
	s_add_i32 s12, s3, s12
	s_delay_alu instid0(SALU_CYCLE_1)
	s_lshr_b32 s12, s12, s31
	s_waitcnt lgkmcnt(0)
	s_mul_i32 s2, s12, s2
	s_lshl_b32 s23, s12, 3
	s_sub_i32 s2, s3, s2
	s_mov_b32 s12, 0
	s_mul_hi_u32 s3, s2, s8
	s_delay_alu instid0(SALU_CYCLE_1) | instskip(NEXT) | instid1(SALU_CYCLE_1)
	s_add_i32 s2, s2, s3
	s_lshr_b32 s22, s2, s9
	s_delay_alu instid0(SALU_CYCLE_1) | instskip(NEXT) | instid1(SALU_CYCLE_1)
	s_lshl_b32 s2, s22, 1
	s_add_i32 s2, s2, s14
	s_delay_alu instid0(SALU_CYCLE_1) | instskip(SKIP_2) | instid1(SALU_CYCLE_1)
	s_cmp_lt_i32 s2, s4
	s_cselect_b32 s2, -1, 0
	s_add_i32 s3, s23, s15
	s_cmp_lt_i32 s3, s6
	s_cselect_b32 s3, -1, 0
	s_delay_alu instid0(SALU_CYCLE_1) | instskip(NEXT) | instid1(SALU_CYCLE_1)
	s_and_b32 s2, s2, s3
	s_and_not1_b32 vcc_lo, exec_lo, s2
	s_cbranch_vccnz .LBB39_24
; %bb.8:
	s_load_b128 s[0:3], s[0:1], 0x0
	s_lshl_b32 s18, s20, 6
	s_mov_b32 s19, s12
	s_lshl_b32 s24, s14, 3
	s_lshl_b64 s[18:19], s[18:19], 2
	s_mul_i32 s4, s17, s4
	s_add_i32 s17, s24, s15
	s_mul_i32 s21, s21, s6
	v_cvt_f32_ubyte0_e32 v4, 0
	v_cvt_f32_u32_e32 v5, s20
	s_waitcnt lgkmcnt(0)
	s_add_u32 s18, s2, s18
	s_addc_u32 s19, s3, s19
	s_add_i32 s4, s4, s14
	s_delay_alu instid0(SALU_CYCLE_1) | instskip(SKIP_4) | instid1(SALU_CYCLE_1)
	s_mul_i32 s4, s4, s5
	s_mul_i32 s5, s5, s22
	s_add_i32 s4, s4, s15
	s_lshl_b32 s5, s5, 10
	s_add_i32 s4, s4, s21
	s_add_i32 s4, s4, s23
	s_delay_alu instid0(SALU_CYCLE_1) | instskip(NEXT) | instid1(SALU_CYCLE_1)
	s_lshl_b32 s4, s4, 9
	s_add_i32 s5, s5, s4
	s_delay_alu instid0(SALU_CYCLE_1) | instskip(SKIP_1) | instid1(VALU_DEP_2)
	v_or_b32_e32 v1, s5, v0
	v_lshl_or_b32 v0, s17, 9, v0
	v_ashrrev_i32_e32 v2, 31, v1
	s_delay_alu instid0(VALU_DEP_1) | instskip(NEXT) | instid1(VALU_DEP_1)
	v_lshlrev_b64 v[1:2], 2, v[1:2]
	v_add_co_u32 v1, vcc_lo, s0, v1
	s_delay_alu instid0(VALU_DEP_2) | instskip(SKIP_1) | instid1(SALU_CYCLE_1)
	v_add_co_ci_u32_e32 v2, vcc_lo, s1, v2, vcc_lo
	s_lshl_b32 s0, s13, 4
	s_add_i32 s0, s17, s0
	global_load_b32 v3, v[1:2], off
	s_ashr_i32 s1, s0, 31
	s_delay_alu instid0(SALU_CYCLE_1) | instskip(NEXT) | instid1(SALU_CYCLE_1)
	s_lshl_b64 s[0:1], s[0:1], 3
	s_add_u32 s0, s2, s0
	s_addc_u32 s1, s3, s1
	s_add_i32 s14, s13, -1
	s_load_b64 s[0:1], s[0:1], 0x0
	v_fmac_f32_e32 v5, 0x4f800000, v4
	s_sub_i32 s6, 0, s20
	s_waitcnt lgkmcnt(0)
	v_mov_b32_e32 v8, s0
	s_delay_alu instid0(VALU_DEP_2) | instskip(SKIP_2) | instid1(VALU_DEP_2)
	v_rcp_f32_e32 v4, v5
	v_cvt_f32_u32_e32 v5, s20
	v_mov_b32_e32 v7, s1
	v_rcp_iflag_f32_e32 v5, v5
	s_waitcnt_depctr 0xfff
	v_mul_f32_e32 v4, 0x5f7ffffc, v4
	s_delay_alu instid0(VALU_DEP_1) | instskip(SKIP_1) | instid1(VALU_DEP_2)
	v_mul_f32_e32 v6, 0x2f800000, v4
	v_mul_f32_e32 v9, 0x4f7ffffe, v5
	v_trunc_f32_e32 v6, v6
	s_delay_alu instid0(VALU_DEP_1) | instskip(SKIP_1) | instid1(VALU_DEP_4)
	v_fmac_f32_e32 v4, 0xcf800000, v6
	v_cvt_u32_f32_e32 v5, v6
	v_cvt_u32_f32_e32 v6, v9
	s_delay_alu instid0(VALU_DEP_3)
	v_cvt_u32_f32_e32 v4, v4
.LBB39_9:                               ; =>This Inner Loop Header: Depth=1
	s_mul_hi_i32 s13, s14, s7
	s_mul_i32 s4, s14, s7
	s_cmp_lg_u64 s[12:13], 0
	s_mov_b32 s5, -1
                                        ; implicit-def: $sgpr0_sgpr1
	s_cbranch_scc0 .LBB39_11
; %bb.10:                               ;   in Loop: Header=BB39_9 Depth=1
	v_readfirstlane_b32 s0, v4
	v_readfirstlane_b32 s1, v5
	s_sub_u32 s5, 0, s20
	s_subb_u32 s15, 0, 0
	s_delay_alu instid0(VALU_DEP_2) | instskip(NEXT) | instid1(VALU_DEP_1)
	s_mul_hi_u32 s21, s5, s0
	s_mul_i32 s22, s5, s1
	s_mul_i32 s23, s15, s0
	s_add_i32 s21, s21, s22
	s_mul_i32 s22, s5, s0
	s_add_i32 s21, s21, s23
	s_mul_hi_u32 s23, s0, s22
	s_mul_i32 s24, s0, s21
	s_mul_hi_u32 s0, s0, s21
	s_add_u32 s23, s23, s24
	s_mul_i32 s25, s1, s22
	s_addc_u32 s0, 0, s0
	s_mul_hi_u32 s22, s1, s22
	s_mul_hi_u32 s24, s1, s21
	s_add_u32 s23, s23, s25
	s_addc_u32 s0, s0, s22
	s_mul_i32 s21, s1, s21
	s_addc_u32 s22, s24, 0
	s_add_u32 s0, s0, s21
	s_addc_u32 s21, 0, s22
	v_add_co_u32 v9, s0, v4, s0
	s_delay_alu instid0(VALU_DEP_1) | instskip(SKIP_1) | instid1(VALU_DEP_1)
	s_cmp_lg_u32 s0, 0
	s_addc_u32 s1, s1, s21
	v_readfirstlane_b32 s0, v9
	s_mul_i32 s21, s5, s1
	s_delay_alu instid0(VALU_DEP_1)
	s_mul_hi_u32 s22, s5, s0
	s_mul_i32 s15, s15, s0
	s_add_i32 s21, s22, s21
	s_mul_i32 s5, s5, s0
	s_add_i32 s21, s21, s15
	s_mul_hi_u32 s15, s1, s5
	s_mul_i32 s23, s1, s5
	s_mul_i32 s24, s0, s21
	s_mul_hi_u32 s5, s0, s5
	s_mul_hi_u32 s0, s0, s21
	s_add_u32 s5, s5, s24
	s_addc_u32 s0, 0, s0
	s_mul_hi_u32 s22, s1, s21
	s_add_u32 s5, s5, s23
	s_addc_u32 s0, s0, s15
	s_mul_i32 s5, s1, s21
	s_addc_u32 s15, s22, 0
	s_add_u32 s0, s0, s5
	s_addc_u32 s5, 0, s15
	v_add_co_u32 v9, s0, v9, s0
	s_delay_alu instid0(VALU_DEP_1) | instskip(SKIP_2) | instid1(SALU_CYCLE_1)
	s_cmp_lg_u32 s0, 0
	s_addc_u32 s5, s1, s5
	s_ashr_i32 s0, s13, 31
	s_add_u32 s22, s4, s0
	s_addc_u32 s23, s13, s0
	v_readfirstlane_b32 s13, v9
	s_mov_b32 s1, s0
	s_delay_alu instid0(SALU_CYCLE_1) | instskip(NEXT) | instid1(SALU_CYCLE_1)
	s_xor_b64 s[22:23], s[22:23], s[0:1]
	s_mul_i32 s15, s22, s5
	s_delay_alu instid0(VALU_DEP_1)
	s_mul_hi_u32 s21, s22, s13
	s_mul_hi_u32 s24, s22, s5
	s_add_u32 s15, s21, s15
	s_mul_i32 s25, s23, s13
	s_addc_u32 s21, 0, s24
	s_mul_hi_u32 s13, s23, s13
	s_mul_hi_u32 s24, s23, s5
	s_add_u32 s15, s15, s25
	s_addc_u32 s13, s21, s13
	s_mul_i32 s5, s23, s5
	s_addc_u32 s15, s24, 0
	s_add_u32 s5, s13, s5
	s_addc_u32 s13, 0, s15
	s_mul_i32 s21, s20, s5
	s_add_u32 s15, s5, 1
	v_sub_co_u32 v9, s21, s22, s21
	s_addc_u32 s22, s13, 0
	s_mul_i32 s25, s20, s13
	s_mul_hi_u32 s27, s20, s5
	s_delay_alu instid0(VALU_DEP_1)
	v_sub_co_u32 v10, s26, v9, s20
	s_add_u32 s24, s5, 2
	s_addc_u32 s28, s13, 0
	s_add_i32 s27, s27, s25
	s_cmp_lg_u32 s21, 0
	v_readfirstlane_b32 s21, v10
	s_subb_u32 s23, s23, s27
	s_cmp_lg_u32 s26, 0
	s_subb_u32 s25, s23, 0
	s_delay_alu instid0(VALU_DEP_1) | instskip(SKIP_4) | instid1(SALU_CYCLE_1)
	s_cmp_ge_u32 s21, s20
	s_cselect_b32 s21, -1, 0
	s_cmp_eq_u32 s25, 0
	v_readfirstlane_b32 s25, v9
	s_cselect_b32 s21, s21, -1
	s_cmp_lg_u32 s21, 0
	s_cselect_b32 s15, s24, s15
	s_cselect_b32 s21, s28, s22
	s_cmp_ge_u32 s25, s20
	s_cselect_b32 s22, -1, 0
	s_cmp_eq_u32 s23, 0
	s_cselect_b32 s22, s22, -1
	s_delay_alu instid0(SALU_CYCLE_1) | instskip(SKIP_4) | instid1(SALU_CYCLE_1)
	s_cmp_lg_u32 s22, 0
	s_cselect_b32 s23, s21, s13
	s_cselect_b32 s22, s15, s5
	s_mov_b32 s5, 0
	s_xor_b64 s[22:23], s[22:23], s[0:1]
	s_sub_u32 s0, s22, s0
.LBB39_11:                              ;   in Loop: Header=BB39_9 Depth=1
	s_and_not1_b32 vcc_lo, exec_lo, s5
	s_cbranch_vccnz .LBB39_13
; %bb.12:                               ;   in Loop: Header=BB39_9 Depth=1
	v_readfirstlane_b32 s0, v6
	s_delay_alu instid0(VALU_DEP_1) | instskip(NEXT) | instid1(SALU_CYCLE_1)
	s_mul_i32 s1, s6, s0
	s_mul_hi_u32 s1, s0, s1
	s_delay_alu instid0(SALU_CYCLE_1) | instskip(NEXT) | instid1(SALU_CYCLE_1)
	s_add_i32 s0, s0, s1
	s_mul_hi_u32 s0, s4, s0
	s_delay_alu instid0(SALU_CYCLE_1) | instskip(NEXT) | instid1(SALU_CYCLE_1)
	s_mul_i32 s1, s0, s20
	s_sub_i32 s1, s4, s1
	s_add_i32 s4, s0, 1
	s_sub_i32 s5, s1, s20
	s_cmp_ge_u32 s1, s20
	s_cselect_b32 s0, s4, s0
	s_cselect_b32 s1, s5, s1
	s_add_i32 s4, s0, 1
	s_cmp_ge_u32 s1, s20
	s_cselect_b32 s0, s4, s0
.LBB39_13:                              ;   in Loop: Header=BB39_9 Depth=1
	s_delay_alu instid0(SALU_CYCLE_1)
	s_cmp_lg_u32 s16, s0
	s_cbranch_scc0 .LBB39_17
; %bb.14:                               ;   in Loop: Header=BB39_9 Depth=1
	s_add_i32 s1, s14, s20
	s_mov_b32 s5, s12
	s_lshl_b32 s1, s1, 4
	s_mov_b32 s15, s16
	s_add_i32 s4, s1, s17
	s_mul_hi_u32 s1, s0, s8
	s_lshl_b64 s[4:5], s[4:5], 3
	s_delay_alu instid0(SALU_CYCLE_1) | instskip(SKIP_2) | instid1(SALU_CYCLE_1)
	s_add_u32 s4, s2, s4
	s_addc_u32 s5, s3, s5
	s_add_i32 s1, s1, s0
	s_lshr_b32 s1, s1, s9
	s_delay_alu instid0(SALU_CYCLE_1) | instskip(NEXT) | instid1(SALU_CYCLE_1)
	s_mul_i32 s13, s1, s10
	s_cmp_eq_u32 s13, s0
	s_cselect_b32 s13, -1, 0
	s_cmp_lt_u32 s1, s11
	s_cselect_b32 s1, -1, 0
	s_delay_alu instid0(SALU_CYCLE_1)
	s_or_b32 s1, s1, s13
	s_mov_b32 s13, -1
	s_and_b32 vcc_lo, exec_lo, s1
	s_mov_b32 s1, s14
	s_cbranch_vccnz .LBB39_16
; %bb.15:                               ;   in Loop: Header=BB39_9 Depth=1
	s_add_i32 s1, s14, -1
	s_mov_b32 s13, 0
	s_mov_b32 s15, s0
.LBB39_16:                              ;   in Loop: Header=BB39_9 Depth=1
	v_lshl_add_u32 v9, s14, 13, v0
	s_load_b64 s[4:5], s[4:5], 0x0
	s_delay_alu instid0(VALU_DEP_1) | instskip(NEXT) | instid1(VALU_DEP_1)
	v_ashrrev_i32_e32 v10, 31, v9
	v_lshlrev_b64 v[9:10], 2, v[9:10]
	s_delay_alu instid0(VALU_DEP_1) | instskip(NEXT) | instid1(VALU_DEP_2)
	v_add_co_u32 v9, vcc_lo, s18, v9
	v_add_co_ci_u32_e32 v10, vcc_lo, s19, v10, vcc_lo
	s_waitcnt lgkmcnt(0)
	v_max_f32_e64 v11, s4, s4
	global_load_b32 v10, v[9:10], off
	v_max_f32_e32 v9, v8, v8
	s_delay_alu instid0(VALU_DEP_1) | instskip(NEXT) | instid1(VALU_DEP_1)
	v_max_f32_e32 v9, v9, v11
	v_sub_f32_e32 v12, v8, v9
	s_delay_alu instid0(VALU_DEP_1) | instskip(NEXT) | instid1(VALU_DEP_1)
	v_dual_mul_f32 v14, 0x3fb8aa3b, v12 :: v_dual_sub_f32 v11, s4, v9
	v_rndne_f32_e32 v18, v14
	s_delay_alu instid0(VALU_DEP_2) | instskip(SKIP_2) | instid1(VALU_DEP_4)
	v_mul_f32_e32 v13, 0x3fb8aa3b, v11
	v_fma_f32 v17, 0x3fb8aa3b, v12, -v14
	v_cmp_ngt_f32_e32 vcc_lo, 0xc2ce8ed0, v11
	v_sub_f32_e32 v14, v14, v18
	s_delay_alu instid0(VALU_DEP_4) | instskip(SKIP_2) | instid1(VALU_DEP_3)
	v_fma_f32 v15, 0x3fb8aa3b, v11, -v13
	v_rndne_f32_e32 v16, v13
	v_fmac_f32_e32 v17, 0x32a5705f, v12
	v_fmac_f32_e32 v15, 0x32a5705f, v11
	s_delay_alu instid0(VALU_DEP_2) | instskip(NEXT) | instid1(VALU_DEP_1)
	v_dual_sub_f32 v13, v13, v16 :: v_dual_add_f32 v14, v14, v17
	v_add_f32_e32 v13, v13, v15
	s_delay_alu instid0(VALU_DEP_2) | instskip(SKIP_2) | instid1(VALU_DEP_3)
	v_exp_f32_e32 v14, v14
	v_cvt_i32_f32_e32 v15, v16
	v_cvt_i32_f32_e32 v16, v18
	v_exp_f32_e32 v13, v13
	s_waitcnt_depctr 0xfff
	v_ldexp_f32 v14, v14, v16
	v_ldexp_f32 v13, v13, v15
	s_delay_alu instid0(VALU_DEP_1) | instskip(SKIP_1) | instid1(VALU_DEP_4)
	v_cndmask_b32_e32 v13, 0, v13, vcc_lo
	v_cmp_ngt_f32_e32 vcc_lo, 0xc2ce8ed0, v12
	v_cndmask_b32_e32 v14, 0, v14, vcc_lo
	v_cmp_nlt_f32_e32 vcc_lo, 0x42b17218, v11
	s_delay_alu instid0(VALU_DEP_4) | instskip(SKIP_1) | instid1(VALU_DEP_4)
	v_cndmask_b32_e32 v13, 0x7f800000, v13, vcc_lo
	v_cmp_nlt_f32_e32 vcc_lo, 0x42b17218, v12
	v_cndmask_b32_e32 v14, 0x7f800000, v14, vcc_lo
	v_cmp_le_f32_e32 vcc_lo, 0xc1a00000, v11
	s_delay_alu instid0(VALU_DEP_4) | instskip(SKIP_1) | instid1(VALU_DEP_4)
	v_cndmask_b32_e32 v11, 0, v13, vcc_lo
	v_cmp_le_f32_e32 vcc_lo, 0xc1a00000, v12
	v_cndmask_b32_e32 v12, 0, v14, vcc_lo
	s_waitcnt vmcnt(0)
	s_delay_alu instid0(VALU_DEP_3) | instskip(NEXT) | instid1(VALU_DEP_1)
	v_mul_f32_e32 v10, v10, v11
	v_dual_mul_f32 v11, s5, v11 :: v_dual_fmac_f32 v10, v3, v12
	s_delay_alu instid0(VALU_DEP_1)
	v_fmac_f32_e32 v11, v7, v12
	s_cbranch_execz .LBB39_18
	s_branch .LBB39_19
.LBB39_17:                              ;   in Loop: Header=BB39_9 Depth=1
                                        ; implicit-def: $sgpr13
                                        ; implicit-def: $vgpr10
                                        ; implicit-def: $vgpr9
                                        ; implicit-def: $vgpr11
                                        ; implicit-def: $sgpr1
                                        ; implicit-def: $sgpr15
.LBB39_18:                              ;   in Loop: Header=BB39_9 Depth=1
	v_mov_b32_e32 v11, v7
	s_waitcnt vmcnt(0)
	v_dual_mov_b32 v9, v8 :: v_dual_mov_b32 v10, v3
	s_add_i32 s1, s14, -1
	s_mov_b32 s13, 0
	s_mov_b32 s15, s16
.LBB39_19:                              ;   in Loop: Header=BB39_9 Depth=1
	s_and_not1_b32 vcc_lo, exec_lo, s13
	s_cbranch_vccz .LBB39_23
; %bb.20:                               ;   in Loop: Header=BB39_9 Depth=1
	v_dual_mov_b32 v7, v11 :: v_dual_mov_b32 v8, v9
	s_waitcnt vmcnt(0)
	v_mov_b32_e32 v3, v10
	s_mov_b32 s16, s15
	s_mov_b32 s14, s1
	s_branch .LBB39_9
.LBB39_21:
                                        ; implicit-def: $sgpr16_sgpr17
	s_load_b128 s[8:11], s[0:1], 0x44
	s_branch .LBB39_2
.LBB39_22:
                                        ; implicit-def: $sgpr18_sgpr19
	s_branch .LBB39_5
.LBB39_23:
	v_div_scale_f32 v0, null, v11, v11, v10
	s_waitcnt vmcnt(0)
	s_delay_alu instid0(VALU_DEP_1) | instskip(SKIP_2) | instid1(VALU_DEP_1)
	v_rcp_f32_e32 v3, v0
	s_waitcnt_depctr 0xfff
	v_fma_f32 v4, -v0, v3, 1.0
	v_fmac_f32_e32 v3, v4, v3
	v_div_scale_f32 v4, vcc_lo, v10, v11, v10
	s_delay_alu instid0(VALU_DEP_1) | instskip(NEXT) | instid1(VALU_DEP_1)
	v_mul_f32_e32 v5, v4, v3
	v_fma_f32 v6, -v0, v5, v4
	s_delay_alu instid0(VALU_DEP_1) | instskip(NEXT) | instid1(VALU_DEP_1)
	v_fmac_f32_e32 v5, v6, v3
	v_fma_f32 v0, -v0, v5, v4
	s_delay_alu instid0(VALU_DEP_1) | instskip(NEXT) | instid1(VALU_DEP_1)
	v_div_fmas_f32 v0, v0, v3, v5
	v_div_fixup_f32 v0, v0, v11, v10
	global_store_b32 v[1:2], v0, off
.LBB39_24:
	s_nop 0
	s_sendmsg sendmsg(MSG_DEALLOC_VGPRS)
	s_endpgm
	.section	.rodata,"a",@progbits
	.p2align	6, 0x0
	.amdhsa_kernel _ZL33flash_attn_stream_k_fixup_generalILi512ELi2ELi8EEvPfPK15HIP_vector_typeIfLj2EEiiiiS1_IjLj3EES5_S5_S5_
		.amdhsa_group_segment_fixed_size 0
		.amdhsa_private_segment_fixed_size 0
		.amdhsa_kernarg_size 336
		.amdhsa_user_sgpr_count 13
		.amdhsa_user_sgpr_dispatch_ptr 0
		.amdhsa_user_sgpr_queue_ptr 0
		.amdhsa_user_sgpr_kernarg_segment_ptr 1
		.amdhsa_user_sgpr_dispatch_id 0
		.amdhsa_user_sgpr_private_segment_size 0
		.amdhsa_wavefront_size32 1
		.amdhsa_uses_dynamic_stack 0
		.amdhsa_enable_private_segment 0
		.amdhsa_system_sgpr_workgroup_id_x 1
		.amdhsa_system_sgpr_workgroup_id_y 1
		.amdhsa_system_sgpr_workgroup_id_z 1
		.amdhsa_system_sgpr_workgroup_info 0
		.amdhsa_system_vgpr_workitem_id 0
		.amdhsa_next_free_vgpr 19
		.amdhsa_next_free_sgpr 32
		.amdhsa_reserve_vcc 1
		.amdhsa_float_round_mode_32 0
		.amdhsa_float_round_mode_16_64 0
		.amdhsa_float_denorm_mode_32 3
		.amdhsa_float_denorm_mode_16_64 3
		.amdhsa_dx10_clamp 1
		.amdhsa_ieee_mode 1
		.amdhsa_fp16_overflow 0
		.amdhsa_workgroup_processor_mode 1
		.amdhsa_memory_ordered 1
		.amdhsa_forward_progress 0
		.amdhsa_shared_vgpr_count 0
		.amdhsa_exception_fp_ieee_invalid_op 0
		.amdhsa_exception_fp_denorm_src 0
		.amdhsa_exception_fp_ieee_div_zero 0
		.amdhsa_exception_fp_ieee_overflow 0
		.amdhsa_exception_fp_ieee_underflow 0
		.amdhsa_exception_fp_ieee_inexact 0
		.amdhsa_exception_int_div_zero 0
	.end_amdhsa_kernel
	.section	.text._ZL33flash_attn_stream_k_fixup_generalILi512ELi2ELi8EEvPfPK15HIP_vector_typeIfLj2EEiiiiS1_IjLj3EES5_S5_S5_,"axG",@progbits,_ZL33flash_attn_stream_k_fixup_generalILi512ELi2ELi8EEvPfPK15HIP_vector_typeIfLj2EEiiiiS1_IjLj3EES5_S5_S5_,comdat
.Lfunc_end39:
	.size	_ZL33flash_attn_stream_k_fixup_generalILi512ELi2ELi8EEvPfPK15HIP_vector_typeIfLj2EEiiiiS1_IjLj3EES5_S5_S5_, .Lfunc_end39-_ZL33flash_attn_stream_k_fixup_generalILi512ELi2ELi8EEvPfPK15HIP_vector_typeIfLj2EEiiiiS1_IjLj3EES5_S5_S5_
                                        ; -- End function
	.section	.AMDGPU.csdata,"",@progbits
; Kernel info:
; codeLenInByte = 3224
; NumSgprs: 34
; NumVgprs: 19
; ScratchSize: 0
; MemoryBound: 0
; FloatMode: 240
; IeeeMode: 1
; LDSByteSize: 0 bytes/workgroup (compile time only)
; SGPRBlocks: 4
; VGPRBlocks: 2
; NumSGPRsForWavesPerEU: 34
; NumVGPRsForWavesPerEU: 19
; Occupancy: 16
; WaveLimiterHint : 0
; COMPUTE_PGM_RSRC2:SCRATCH_EN: 0
; COMPUTE_PGM_RSRC2:USER_SGPR: 13
; COMPUTE_PGM_RSRC2:TRAP_HANDLER: 0
; COMPUTE_PGM_RSRC2:TGID_X_EN: 1
; COMPUTE_PGM_RSRC2:TGID_Y_EN: 1
; COMPUTE_PGM_RSRC2:TGID_Z_EN: 1
; COMPUTE_PGM_RSRC2:TIDIG_COMP_CNT: 0
	.section	.text._ZL26flash_attn_combine_resultsILi512EEvPKfPK15HIP_vector_typeIfLj2EEPfi,"axG",@progbits,_ZL26flash_attn_combine_resultsILi512EEvPKfPK15HIP_vector_typeIfLj2EEPfi,comdat
	.globl	_ZL26flash_attn_combine_resultsILi512EEvPKfPK15HIP_vector_typeIfLj2EEPfi ; -- Begin function _ZL26flash_attn_combine_resultsILi512EEvPKfPK15HIP_vector_typeIfLj2EEPfi
	.p2align	8
	.type	_ZL26flash_attn_combine_resultsILi512EEvPKfPK15HIP_vector_typeIfLj2EEPfi,@function
_ZL26flash_attn_combine_resultsILi512EEvPKfPK15HIP_vector_typeIfLj2EEPfi: ; @_ZL26flash_attn_combine_resultsILi512EEvPKfPK15HIP_vector_typeIfLj2EEPfi
; %bb.0:
	s_clause 0x3
	s_load_b64 s[2:3], s[0:1], 0x20
	s_load_b32 s11, s[0:1], 0x18
	s_load_b128 s[4:7], s[0:1], 0x0
	s_load_b64 s[8:9], s[0:1], 0x10
	v_lshlrev_b32_e32 v5, 2, v0
	s_mov_b32 s12, exec_lo
	s_waitcnt lgkmcnt(0)
	s_mul_i32 s0, s2, s15
	s_lshl_b32 s1, s11, 1
	s_add_i32 s0, s0, s13
	s_delay_alu instid0(SALU_CYCLE_1) | instskip(NEXT) | instid1(SALU_CYCLE_1)
	s_mul_i32 s10, s0, s3
	s_add_i32 s10, s10, s14
	s_delay_alu instid0(SALU_CYCLE_1)
	s_mul_i32 s2, s10, s11
	v_cmpx_gt_i32_e64 s1, v0
	s_cbranch_execz .LBB40_3
; %bb.1:
	s_ashr_i32 s3, s2, 31
	v_dual_mov_b32 v4, v0 :: v_dual_add_nc_u32 v3, 0, v5
	s_lshl_b64 s[14:15], s[2:3], 3
	s_delay_alu instid0(SALU_CYCLE_1) | instskip(SKIP_2) | instid1(VALU_DEP_1)
	s_add_u32 s0, s6, s14
	s_addc_u32 s3, s7, s15
	v_add_co_u32 v1, s0, s0, v5
	v_add_co_ci_u32_e64 v2, null, s3, 0, s0
	s_mov_b32 s3, 0
	.p2align	6
.LBB40_2:                               ; =>This Inner Loop Header: Depth=1
	global_load_b32 v6, v[1:2], off
	v_add_nc_u32_e32 v4, 0x200, v4
	v_add_co_u32 v1, vcc_lo, 0x800, v1
	v_add_co_ci_u32_e32 v2, vcc_lo, 0, v2, vcc_lo
	s_delay_alu instid0(VALU_DEP_3) | instskip(NEXT) | instid1(VALU_DEP_1)
	v_cmp_le_i32_e64 s0, s1, v4
	s_or_b32 s3, s0, s3
	s_waitcnt vmcnt(0)
	ds_store_b32 v3, v6
	v_add_nc_u32_e32 v3, 0x800, v3
	s_and_not1_b32 exec_lo, exec_lo, s3
	s_cbranch_execnz .LBB40_2
.LBB40_3:
	s_or_b32 exec_lo, exec_lo, s12
	v_mov_b32_e32 v1, 0
	s_waitcnt lgkmcnt(0)
	s_barrier
	buffer_gl0_inv
	s_cmp_lt_i32 s11, 2
	ds_load_b32 v6, v1
	s_cbranch_scc1 .LBB40_11
; %bb.4:
	s_add_i32 s1, s11, -2
	s_add_i32 s0, s11, -1
	s_cmp_lt_u32 s1, 7
	s_cbranch_scc1 .LBB40_8
; %bb.5:
	s_mov_b32 s3, 0
	s_add_i32 s1, 0, 8
	s_and_b32 s6, s0, -8
	.p2align	6
.LBB40_6:                               ; =>This Inner Loop Header: Depth=1
	v_mov_b32_e32 v9, s1
	s_mov_b32 s7, s3
	s_add_i32 s3, s3, 8
	s_add_i32 s1, s1, 64
	s_cmp_eq_u32 s6, s3
	ds_load_2addr_b32 v[1:2], v9 offset1:2
	ds_load_2addr_b32 v[3:4], v9 offset0:4 offset1:6
	ds_load_2addr_b32 v[7:8], v9 offset0:8 offset1:10
	;; [unrolled: 1-line block ×3, first 2 shown]
	s_waitcnt lgkmcnt(3)
	v_max3_f32 v1, v6, v1, v2
	s_waitcnt lgkmcnt(2)
	s_delay_alu instid0(VALU_DEP_1) | instskip(SKIP_1) | instid1(VALU_DEP_1)
	v_max3_f32 v1, v1, v3, v4
	s_waitcnt lgkmcnt(1)
	v_max3_f32 v1, v1, v7, v8
	s_waitcnt lgkmcnt(0)
	s_delay_alu instid0(VALU_DEP_1)
	v_max3_f32 v6, v1, v9, v10
	s_cbranch_scc0 .LBB40_6
; %bb.7:
	s_add_i32 s1, s7, 9
	s_and_b32 s0, s0, 7
	s_delay_alu instid0(SALU_CYCLE_1)
	s_cmp_eq_u32 s0, 0
	s_cbranch_scc0 .LBB40_9
	s_branch .LBB40_11
.LBB40_8:
	s_mov_b32 s1, 1
	s_and_b32 s0, s0, 7
	s_delay_alu instid0(SALU_CYCLE_1)
	s_cmp_eq_u32 s0, 0
	s_cbranch_scc1 .LBB40_11
.LBB40_9:
	s_lshl_b32 s1, s1, 3
	s_delay_alu instid0(SALU_CYCLE_1)
	s_add_i32 s1, s1, 0
.LBB40_10:                              ; =>This Inner Loop Header: Depth=1
	s_waitcnt lgkmcnt(0)
	s_delay_alu instid0(VALU_DEP_1)
	v_dual_mov_b32 v1, s1 :: v_dual_max_f32 v2, v6, v6
	s_add_i32 s0, s0, -1
	s_add_i32 s1, s1, 8
	s_cmp_lg_u32 s0, 0
	ds_load_b32 v1, v1
	s_waitcnt lgkmcnt(0)
	v_max_f32_e32 v1, v1, v1
	s_delay_alu instid0(VALU_DEP_1)
	v_max_f32_e32 v6, v2, v1
	s_cbranch_scc1 .LBB40_10
.LBB40_11:
	s_cmp_lt_i32 s11, 1
	s_cbranch_scc1 .LBB40_16
; %bb.12:
	s_lshl_b32 s0, s2, 9
	v_mov_b32_e32 v7, 0
	s_ashr_i32 s1, s0, 31
	s_mov_b32 s13, 0
	s_lshl_b64 s[0:1], s[0:1], 2
	s_delay_alu instid0(SALU_CYCLE_1)
	s_add_u32 s6, s4, s0
	s_addc_u32 s7, s5, s1
	s_cmp_lt_u32 s11, 8
	s_cbranch_scc1 .LBB40_17
; %bb.13:
	v_or_b32_e32 v1, 0xe00, v0
	v_dual_mov_b32 v4, 0 :: v_dual_mov_b32 v7, 0
	v_mov_b32_e32 v8, 0
	s_and_b32 s12, s11, 0x7ffffff8
	s_mov_b32 s14, 0
.LBB40_14:                              ; =>This Inner Loop Header: Depth=1
	s_delay_alu instid0(VALU_DEP_2) | instskip(SKIP_3) | instid1(VALU_DEP_2)
	v_dual_mov_b32 v2, v4 :: v_dual_add_nc_u32 v3, 0xfffff200, v1
	v_mov_b32_e32 v21, s13
	s_add_i32 s14, s14, 8
	s_add_i32 s13, s13, 64
	v_lshlrev_b64 v[9:10], 2, v[3:4]
	v_add_nc_u32_e32 v3, 0xfffff400, v1
	v_lshlrev_b64 v[11:12], 2, v[1:2]
	s_cmp_eq_u32 s12, s14
	s_delay_alu instid0(VALU_DEP_2) | instskip(NEXT) | instid1(VALU_DEP_4)
	v_lshlrev_b64 v[13:14], 2, v[3:4]
	v_add_co_u32 v9, vcc_lo, s6, v9
	v_add_co_ci_u32_e32 v10, vcc_lo, s7, v10, vcc_lo
	v_add_nc_u32_e32 v3, 0xfffff600, v1
	s_delay_alu instid0(VALU_DEP_4)
	v_add_co_u32 v13, vcc_lo, s6, v13
	global_load_b32 v25, v[9:10], off
	v_add_co_ci_u32_e32 v14, vcc_lo, s7, v14, vcc_lo
	v_lshlrev_b64 v[15:16], 2, v[3:4]
	v_add_nc_u32_e32 v3, 0xfffff800, v1
	global_load_b32 v26, v[13:14], off
	v_add_co_u32 v13, vcc_lo, s6, v15
	v_add_co_ci_u32_e32 v14, vcc_lo, s7, v16, vcc_lo
	v_lshlrev_b64 v[9:10], 2, v[3:4]
	v_add_nc_u32_e32 v3, 0xfffffa00, v1
	global_load_b32 v27, v[13:14], off
	v_add_co_u32 v9, vcc_lo, s6, v9
	v_lshlrev_b64 v[15:16], 2, v[3:4]
	v_add_nc_u32_e32 v3, 0xfffffc00, v1
	v_add_co_ci_u32_e32 v10, vcc_lo, s7, v10, vcc_lo
	global_load_b32 v28, v[9:10], off
	v_lshlrev_b64 v[13:14], 2, v[3:4]
	v_add_nc_u32_e32 v3, 0xfffffe00, v1
	v_add_co_u32 v9, vcc_lo, s6, v15
	v_add_co_ci_u32_e32 v10, vcc_lo, s7, v16, vcc_lo
	s_delay_alu instid0(VALU_DEP_4) | instskip(NEXT) | instid1(VALU_DEP_4)
	v_add_co_u32 v13, vcc_lo, s6, v13
	v_lshlrev_b64 v[2:3], 2, v[3:4]
	v_add_co_ci_u32_e32 v14, vcc_lo, s7, v14, vcc_lo
	s_clause 0x1
	global_load_b32 v29, v[9:10], off
	global_load_b32 v30, v[13:14], off
	v_add_co_u32 v2, vcc_lo, s6, v2
	v_add_co_ci_u32_e32 v3, vcc_lo, s7, v3, vcc_lo
	v_add_co_u32 v9, vcc_lo, s6, v11
	v_add_co_ci_u32_e32 v10, vcc_lo, s7, v12, vcc_lo
	s_clause 0x1
	global_load_b32 v2, v[2:3], off
	global_load_b32 v3, v[9:10], off
	ds_load_2addr_b64 v[9:12], v21 offset1:1
	ds_load_2addr_b64 v[13:16], v21 offset0:2 offset1:3
	ds_load_2addr_b64 v[17:20], v21 offset0:4 offset1:5
	;; [unrolled: 1-line block ×3, first 2 shown]
	v_add_nc_u32_e32 v1, 0x1000, v1
	s_waitcnt lgkmcnt(1)
	v_sub_f32_e32 v19, v19, v6
	v_sub_f32_e32 v11, v11, v6
	s_waitcnt lgkmcnt(0)
	v_sub_f32_e32 v23, v23, v6
	s_delay_alu instid0(VALU_DEP_3) | instskip(NEXT) | instid1(VALU_DEP_3)
	v_dual_sub_f32 v13, v13, v6 :: v_dual_mul_f32 v36, 0x3fb8aa3b, v19
	v_mul_f32_e32 v32, 0x3fb8aa3b, v11
	s_delay_alu instid0(VALU_DEP_2) | instskip(SKIP_1) | instid1(VALU_DEP_4)
	v_dual_mul_f32 v38, 0x3fb8aa3b, v23 :: v_dual_mul_f32 v33, 0x3fb8aa3b, v13
	v_cmp_ngt_f32_e32 vcc_lo, 0xc2ce8ed0, v13
	v_fma_f32 v49, 0x3fb8aa3b, v19, -v36
	s_delay_alu instid0(VALU_DEP_4) | instskip(SKIP_4) | instid1(VALU_DEP_4)
	v_fma_f32 v41, 0x3fb8aa3b, v11, -v32
	v_rndne_f32_e32 v42, v32
	v_fma_f32 v43, 0x3fb8aa3b, v13, -v33
	v_rndne_f32_e32 v44, v33
	v_rndne_f32_e32 v50, v36
	v_dual_fmac_f32 v41, 0x32a5705f, v11 :: v_dual_sub_f32 v32, v32, v42
	v_sub_f32_e32 v15, v15, v6
	v_fmac_f32_e32 v43, 0x32a5705f, v13
	v_sub_f32_e32 v33, v33, v44
	v_cvt_i32_f32_e32 v42, v42
	v_dual_add_f32 v32, v32, v41 :: v_dual_sub_f32 v9, v9, v6
	v_mul_f32_e32 v34, 0x3fb8aa3b, v15
	s_delay_alu instid0(VALU_DEP_4) | instskip(SKIP_1) | instid1(VALU_DEP_4)
	v_add_f32_e32 v33, v33, v43
	v_cvt_i32_f32_e32 v44, v44
	v_exp_f32_e32 v32, v32
	v_mul_f32_e32 v31, 0x3fb8aa3b, v9
	v_fma_f32 v45, 0x3fb8aa3b, v15, -v34
	v_rndne_f32_e32 v46, v34
	v_exp_f32_e32 v33, v33
	v_cmp_ngt_f32_e64 s5, 0xc2ce8ed0, v9
	v_fma_f32 v39, 0x3fb8aa3b, v9, -v31
	v_rndne_f32_e32 v40, v31
	v_dual_fmac_f32 v45, 0x32a5705f, v15 :: v_dual_sub_f32 v34, v34, v46
	v_sub_f32_e32 v17, v17, v6
	s_delay_alu instid0(VALU_DEP_4) | instskip(NEXT) | instid1(VALU_DEP_4)
	v_fmac_f32_e32 v39, 0x32a5705f, v9
	v_sub_f32_e32 v31, v31, v40
	v_cvt_i32_f32_e32 v40, v40
	v_add_f32_e32 v34, v34, v45
	v_ldexp_f32 v32, v32, v42
	v_ldexp_f32 v33, v33, v44
	v_add_f32_e32 v31, v31, v39
	v_cvt_i32_f32_e32 v46, v46
	v_exp_f32_e32 v34, v34
	v_cmp_ngt_f32_e64 s0, 0xc2ce8ed0, v15
	v_fmac_f32_e32 v49, 0x32a5705f, v19
	v_exp_f32_e32 v31, v31
	v_sub_f32_e32 v36, v36, v50
	v_cvt_i32_f32_e32 v50, v50
	v_cmp_ngt_f32_e64 s1, 0xc2ce8ed0, v17
	v_rndne_f32_e32 v54, v38
	s_delay_alu instid0(VALU_DEP_4) | instskip(NEXT) | instid1(TRANS32_DEP_2)
	v_add_f32_e32 v36, v36, v49
	v_ldexp_f32 v34, v34, v46
	v_cmp_ngt_f32_e64 s2, 0xc2ce8ed0, v19
	s_delay_alu instid0(TRANS32_DEP_1) | instskip(NEXT) | instid1(VALU_DEP_4)
	v_ldexp_f32 v31, v31, v40
	v_exp_f32_e32 v36, v36
	s_delay_alu instid0(VALU_DEP_1) | instskip(SKIP_1) | instid1(VALU_DEP_1)
	v_cndmask_b32_e64 v31, 0, v31, s5
	v_cmp_ngt_f32_e64 s5, 0xc2ce8ed0, v11
	v_cndmask_b32_e64 v32, 0, v32, s5
	v_cmp_nlt_f32_e64 s5, 0x42b17218, v9
	s_waitcnt_depctr 0xfff
	v_ldexp_f32 v36, v36, v50
	v_cndmask_b32_e64 v9, 0x7f800000, v31, s5
	v_cndmask_b32_e32 v31, 0, v33, vcc_lo
	v_cmp_nlt_f32_e32 vcc_lo, 0x42b17218, v11
	s_delay_alu instid0(VALU_DEP_3) | instskip(SKIP_1) | instid1(VALU_DEP_2)
	v_dual_fmac_f32 v8, v9, v10 :: v_dual_cndmask_b32 v11, 0x7f800000, v32
	v_cmp_nlt_f32_e32 vcc_lo, 0x42b17218, v13
	v_fmac_f32_e32 v8, v11, v12
	v_cndmask_b32_e32 v10, 0x7f800000, v31, vcc_lo
	v_cmp_nlt_f32_e32 vcc_lo, 0x42b17218, v15
	v_fma_f32 v53, 0x3fb8aa3b, v23, -v38
	v_sub_f32_e32 v38, v38, v54
	v_cvt_i32_f32_e32 v54, v54
	v_fmac_f32_e32 v8, v10, v14
	v_cmp_ngt_f32_e64 s4, 0xc2ce8ed0, v23
	v_fmac_f32_e32 v53, 0x32a5705f, v23
	s_delay_alu instid0(VALU_DEP_1) | instskip(NEXT) | instid1(VALU_DEP_1)
	v_dual_sub_f32 v21, v21, v6 :: v_dual_add_f32 v38, v38, v53
	v_cmp_ngt_f32_e64 s3, 0xc2ce8ed0, v21
	s_delay_alu instid0(VALU_DEP_2)
	v_exp_f32_e32 v38, v38
	s_waitcnt_depctr 0xfff
	v_ldexp_f32 v38, v38, v54
	s_waitcnt vmcnt(7)
	v_fmac_f32_e32 v7, v25, v9
	v_cndmask_b32_e64 v9, 0, v34, s0
	s_delay_alu instid0(VALU_DEP_1) | instskip(SKIP_1) | instid1(VALU_DEP_3)
	v_cndmask_b32_e32 v9, 0x7f800000, v9, vcc_lo
	s_waitcnt vmcnt(6)
	v_fmac_f32_e32 v7, v26, v11
	v_cmp_nlt_f32_e32 vcc_lo, 0x42b17218, v17
	s_delay_alu instid0(VALU_DEP_3) | instskip(SKIP_1) | instid1(VALU_DEP_3)
	v_dual_fmac_f32 v8, v9, v16 :: v_dual_mul_f32 v35, 0x3fb8aa3b, v17
	s_waitcnt vmcnt(5)
	v_fmac_f32_e32 v7, v27, v10
	s_delay_alu instid0(VALU_DEP_2) | instskip(SKIP_2) | instid1(VALU_DEP_3)
	v_fma_f32 v47, 0x3fb8aa3b, v17, -v35
	v_rndne_f32_e32 v48, v35
	v_cndmask_b32_e64 v10, 0, v36, s2
	v_fmac_f32_e32 v47, 0x32a5705f, v17
	s_delay_alu instid0(VALU_DEP_3) | instskip(SKIP_1) | instid1(VALU_DEP_2)
	v_sub_f32_e32 v35, v35, v48
	v_cvt_i32_f32_e32 v48, v48
	v_add_f32_e32 v35, v35, v47
	s_waitcnt vmcnt(4)
	v_fmac_f32_e32 v7, v28, v9
	s_delay_alu instid0(VALU_DEP_2) | instskip(SKIP_2) | instid1(VALU_DEP_1)
	v_exp_f32_e32 v35, v35
	s_waitcnt_depctr 0xfff
	v_ldexp_f32 v35, v35, v48
	v_cndmask_b32_e64 v11, 0, v35, s1
	s_delay_alu instid0(VALU_DEP_1) | instskip(SKIP_1) | instid1(VALU_DEP_2)
	v_cndmask_b32_e32 v11, 0x7f800000, v11, vcc_lo
	v_cmp_nlt_f32_e32 vcc_lo, 0x42b17218, v19
	v_fmac_f32_e32 v8, v11, v18
	v_cndmask_b32_e32 v10, 0x7f800000, v10, vcc_lo
	v_mul_f32_e32 v37, 0x3fb8aa3b, v21
	s_waitcnt vmcnt(3)
	v_fmac_f32_e32 v7, v29, v11
	v_cmp_nlt_f32_e32 vcc_lo, 0x42b17218, v21
	v_cndmask_b32_e64 v11, 0, v38, s4
	v_fmac_f32_e32 v8, v10, v20
	v_fma_f32 v51, 0x3fb8aa3b, v21, -v37
	v_rndne_f32_e32 v52, v37
	s_waitcnt vmcnt(2)
	v_fmac_f32_e32 v7, v30, v10
	s_delay_alu instid0(VALU_DEP_3) | instskip(NEXT) | instid1(VALU_DEP_3)
	v_fmac_f32_e32 v51, 0x32a5705f, v21
	v_sub_f32_e32 v37, v37, v52
	v_cvt_i32_f32_e32 v52, v52
	s_delay_alu instid0(VALU_DEP_2) | instskip(NEXT) | instid1(VALU_DEP_1)
	v_add_f32_e32 v37, v37, v51
	v_exp_f32_e32 v37, v37
	s_waitcnt_depctr 0xfff
	v_ldexp_f32 v37, v37, v52
	s_delay_alu instid0(VALU_DEP_1) | instskip(NEXT) | instid1(VALU_DEP_1)
	v_cndmask_b32_e64 v9, 0, v37, s3
	v_cndmask_b32_e32 v9, 0x7f800000, v9, vcc_lo
	v_cmp_nlt_f32_e32 vcc_lo, 0x42b17218, v23
	s_delay_alu instid0(VALU_DEP_2) | instskip(SKIP_3) | instid1(VALU_DEP_1)
	v_fmac_f32_e32 v8, v9, v22
	s_waitcnt vmcnt(1)
	v_dual_cndmask_b32 v10, 0x7f800000, v11 :: v_dual_fmac_f32 v7, v2, v9
	s_waitcnt vmcnt(0)
	v_dual_fmac_f32 v8, v10, v24 :: v_dual_fmac_f32 v7, v3, v10
	s_cbranch_scc0 .LBB40_14
; %bb.15:
	s_and_b32 s0, s11, 7
	s_delay_alu instid0(SALU_CYCLE_1)
	s_cmp_eq_u32 s0, 0
	s_cbranch_scc0 .LBB40_18
	s_branch .LBB40_20
.LBB40_16:
	v_mov_b32_e32 v0, 0x7fc00000
	s_branch .LBB40_21
.LBB40_17:
	v_mov_b32_e32 v8, 0
	s_mov_b32 s12, 0
	s_and_b32 s0, s11, 7
	s_delay_alu instid0(SALU_CYCLE_1)
	s_cmp_eq_u32 s0, 0
	s_cbranch_scc1 .LBB40_20
.LBB40_18:
	v_lshl_or_b32 v0, s12, 9, v0
	v_mov_b32_e32 v1, 0
	s_lshl_b32 s1, s12, 3
	s_delay_alu instid0(SALU_CYCLE_1)
	s_add_i32 s1, s1, 0
	s_set_inst_prefetch_distance 0x1
	.p2align	6
.LBB40_19:                              ; =>This Inner Loop Header: Depth=1
	s_delay_alu instid0(VALU_DEP_1) | instskip(SKIP_2) | instid1(VALU_DEP_2)
	v_lshlrev_b64 v[2:3], 2, v[0:1]
	s_add_i32 s0, s0, -1
	v_add_nc_u32_e32 v0, 0x200, v0
	v_add_co_u32 v2, vcc_lo, s6, v2
	s_delay_alu instid0(VALU_DEP_3)
	v_add_co_ci_u32_e32 v3, vcc_lo, s7, v3, vcc_lo
	global_load_b32 v4, v[2:3], off
	v_mov_b32_e32 v2, s1
	s_add_i32 s1, s1, 8
	s_cmp_lg_u32 s0, 0
	ds_load_b64 v[2:3], v2
	s_waitcnt lgkmcnt(0)
	v_sub_f32_e32 v2, v2, v6
	s_delay_alu instid0(VALU_DEP_1) | instskip(SKIP_1) | instid1(VALU_DEP_2)
	v_mul_f32_e32 v9, 0x3fb8aa3b, v2
	v_cmp_ngt_f32_e32 vcc_lo, 0xc2ce8ed0, v2
	v_fma_f32 v10, 0x3fb8aa3b, v2, -v9
	v_rndne_f32_e32 v11, v9
	s_delay_alu instid0(VALU_DEP_1) | instskip(NEXT) | instid1(VALU_DEP_1)
	v_dual_fmac_f32 v10, 0x32a5705f, v2 :: v_dual_sub_f32 v9, v9, v11
	v_add_f32_e32 v9, v9, v10
	v_cvt_i32_f32_e32 v10, v11
	s_delay_alu instid0(VALU_DEP_2) | instskip(SKIP_2) | instid1(VALU_DEP_1)
	v_exp_f32_e32 v9, v9
	s_waitcnt_depctr 0xfff
	v_ldexp_f32 v9, v9, v10
	v_cndmask_b32_e32 v9, 0, v9, vcc_lo
	v_cmp_nlt_f32_e32 vcc_lo, 0x42b17218, v2
	s_delay_alu instid0(VALU_DEP_2) | instskip(SKIP_1) | instid1(VALU_DEP_1)
	v_cndmask_b32_e32 v2, 0x7f800000, v9, vcc_lo
	s_waitcnt vmcnt(0)
	v_dual_fmac_f32 v8, v2, v3 :: v_dual_fmac_f32 v7, v4, v2
	s_cbranch_scc1 .LBB40_19
.LBB40_20:
	s_set_inst_prefetch_distance 0x2
	s_delay_alu instid0(VALU_DEP_1) | instskip(NEXT) | instid1(VALU_DEP_1)
	v_div_scale_f32 v0, null, v8, v8, v7
	v_rcp_f32_e32 v1, v0
	s_waitcnt_depctr 0xfff
	v_fma_f32 v2, -v0, v1, 1.0
	s_delay_alu instid0(VALU_DEP_1) | instskip(SKIP_1) | instid1(VALU_DEP_1)
	v_fmac_f32_e32 v1, v2, v1
	v_div_scale_f32 v2, vcc_lo, v7, v8, v7
	v_mul_f32_e32 v3, v2, v1
	s_delay_alu instid0(VALU_DEP_1) | instskip(NEXT) | instid1(VALU_DEP_1)
	v_fma_f32 v4, -v0, v3, v2
	v_fmac_f32_e32 v3, v4, v1
	s_delay_alu instid0(VALU_DEP_1) | instskip(NEXT) | instid1(VALU_DEP_1)
	v_fma_f32 v0, -v0, v3, v2
	v_div_fmas_f32 v0, v0, v1, v3
	s_delay_alu instid0(VALU_DEP_1)
	v_div_fixup_f32 v0, v0, v8, v7
.LBB40_21:
	s_lshl_b32 s0, s10, 9
	s_delay_alu instid0(SALU_CYCLE_1) | instskip(NEXT) | instid1(SALU_CYCLE_1)
	s_ashr_i32 s1, s0, 31
	s_lshl_b64 s[0:1], s[0:1], 2
	s_delay_alu instid0(SALU_CYCLE_1)
	s_add_u32 s0, s8, s0
	s_addc_u32 s1, s9, s1
	global_store_b32 v5, v0, s[0:1]
	s_nop 0
	s_sendmsg sendmsg(MSG_DEALLOC_VGPRS)
	s_endpgm
	.section	.rodata,"a",@progbits
	.p2align	6, 0x0
	.amdhsa_kernel _ZL26flash_attn_combine_resultsILi512EEvPKfPK15HIP_vector_typeIfLj2EEPfi
		.amdhsa_group_segment_fixed_size 0
		.amdhsa_private_segment_fixed_size 0
		.amdhsa_kernarg_size 288
		.amdhsa_user_sgpr_count 13
		.amdhsa_user_sgpr_dispatch_ptr 0
		.amdhsa_user_sgpr_queue_ptr 0
		.amdhsa_user_sgpr_kernarg_segment_ptr 1
		.amdhsa_user_sgpr_dispatch_id 0
		.amdhsa_user_sgpr_private_segment_size 0
		.amdhsa_wavefront_size32 1
		.amdhsa_uses_dynamic_stack 0
		.amdhsa_enable_private_segment 0
		.amdhsa_system_sgpr_workgroup_id_x 1
		.amdhsa_system_sgpr_workgroup_id_y 1
		.amdhsa_system_sgpr_workgroup_id_z 1
		.amdhsa_system_sgpr_workgroup_info 0
		.amdhsa_system_vgpr_workitem_id 0
		.amdhsa_next_free_vgpr 55
		.amdhsa_next_free_sgpr 16
		.amdhsa_reserve_vcc 1
		.amdhsa_float_round_mode_32 0
		.amdhsa_float_round_mode_16_64 0
		.amdhsa_float_denorm_mode_32 3
		.amdhsa_float_denorm_mode_16_64 3
		.amdhsa_dx10_clamp 1
		.amdhsa_ieee_mode 1
		.amdhsa_fp16_overflow 0
		.amdhsa_workgroup_processor_mode 1
		.amdhsa_memory_ordered 1
		.amdhsa_forward_progress 0
		.amdhsa_shared_vgpr_count 0
		.amdhsa_exception_fp_ieee_invalid_op 0
		.amdhsa_exception_fp_denorm_src 0
		.amdhsa_exception_fp_ieee_div_zero 0
		.amdhsa_exception_fp_ieee_overflow 0
		.amdhsa_exception_fp_ieee_underflow 0
		.amdhsa_exception_fp_ieee_inexact 0
		.amdhsa_exception_int_div_zero 0
	.end_amdhsa_kernel
	.section	.text._ZL26flash_attn_combine_resultsILi512EEvPKfPK15HIP_vector_typeIfLj2EEPfi,"axG",@progbits,_ZL26flash_attn_combine_resultsILi512EEvPKfPK15HIP_vector_typeIfLj2EEPfi,comdat
.Lfunc_end40:
	.size	_ZL26flash_attn_combine_resultsILi512EEvPKfPK15HIP_vector_typeIfLj2EEPfi, .Lfunc_end40-_ZL26flash_attn_combine_resultsILi512EEvPKfPK15HIP_vector_typeIfLj2EEPfi
                                        ; -- End function
	.section	.AMDGPU.csdata,"",@progbits
; Kernel info:
; codeLenInByte = 2352
; NumSgprs: 18
; NumVgprs: 55
; ScratchSize: 0
; MemoryBound: 0
; FloatMode: 240
; IeeeMode: 1
; LDSByteSize: 0 bytes/workgroup (compile time only)
; SGPRBlocks: 2
; VGPRBlocks: 6
; NumSGPRsForWavesPerEU: 18
; NumVGPRsForWavesPerEU: 55
; Occupancy: 16
; WaveLimiterHint : 0
; COMPUTE_PGM_RSRC2:SCRATCH_EN: 0
; COMPUTE_PGM_RSRC2:USER_SGPR: 13
; COMPUTE_PGM_RSRC2:TRAP_HANDLER: 0
; COMPUTE_PGM_RSRC2:TGID_X_EN: 1
; COMPUTE_PGM_RSRC2:TGID_Y_EN: 1
; COMPUTE_PGM_RSRC2:TGID_Z_EN: 1
; COMPUTE_PGM_RSRC2:TIDIG_COMP_CNT: 0
	.text
	.p2alignl 7, 3214868480
	.fill 96, 4, 3214868480
	.type	.str.1,@object                  ; @.str.1
	.section	.rodata.str1.1,"aMS",@progbits,1
.str.1:
	.asciz	"/root/src/amdgpu-assembly/repos/ggml-org__llama.cpp/ggml/src/ggml-cuda/template-instances/../fattn-mma-f16.cuh"
	.size	.str.1, 111

	.type	__FUNCTION__._ZL18flash_attn_ext_f16ILi64ELi64ELi2ELi8ELb1ELb0EEvPKcS1_S1_S1_S1_PKiPfP15HIP_vector_typeIfLj2EEffffjfiS5_IjLj3EEiiiiiiiiiiiliiliiiiil,@object ; @__FUNCTION__._ZL18flash_attn_ext_f16ILi64ELi64ELi2ELi8ELb1ELb0EEvPKcS1_S1_S1_S1_PKiPfP15HIP_vector_typeIfLj2EEffffjfiS5_IjLj3EEiiiiiiiiiiiliiliiiiil
__FUNCTION__._ZL18flash_attn_ext_f16ILi64ELi64ELi2ELi8ELb1ELb0EEvPKcS1_S1_S1_S1_PKiPfP15HIP_vector_typeIfLj2EEffffjfiS5_IjLj3EEiiiiiiiiiiiliiliiiiil:
	.asciz	"flash_attn_ext_f16"
	.size	__FUNCTION__._ZL18flash_attn_ext_f16ILi64ELi64ELi2ELi8ELb1ELb0EEvPKcS1_S1_S1_S1_PKiPfP15HIP_vector_typeIfLj2EEffffjfiS5_IjLj3EEiiiiiiiiiiiliiliiiiil, 19

	.type	.str.3,@object                  ; @.str.3
.str.3:
	.asciz	"%s:%d: ERROR: HIP kernel %s has no device code compatible with HIP arch %d.\n"
	.size	.str.3, 77

	.type	__hip_cuid_a56fc08266d92602,@object ; @__hip_cuid_a56fc08266d92602
	.section	.bss,"aw",@nobits
	.globl	__hip_cuid_a56fc08266d92602
__hip_cuid_a56fc08266d92602:
	.byte	0                               ; 0x0
	.size	__hip_cuid_a56fc08266d92602, 1

	.ident	"AMD clang version 19.0.0git (https://github.com/RadeonOpenCompute/llvm-project roc-6.4.0 25133 c7fe45cf4b819c5991fe208aaa96edf142730f1d)"
	.section	".note.GNU-stack","",@progbits
	.addrsig
	.addrsig_sym __hip_cuid_a56fc08266d92602
	.amdgpu_metadata
---
amdhsa.kernels:
  - .args:
      - .address_space:  global
        .offset:         0
        .size:           8
        .value_kind:     global_buffer
      - .address_space:  global
        .offset:         8
        .size:           8
        .value_kind:     global_buffer
      - .address_space:  global
        .offset:         16
        .size:           8
        .value_kind:     global_buffer
      - .address_space:  global
        .offset:         24
        .size:           8
        .value_kind:     global_buffer
      - .address_space:  global
        .offset:         32
        .size:           8
        .value_kind:     global_buffer
      - .address_space:  global
        .offset:         40
        .size:           8
        .value_kind:     global_buffer
      - .address_space:  global
        .offset:         48
        .size:           8
        .value_kind:     global_buffer
      - .address_space:  global
        .offset:         56
        .size:           8
        .value_kind:     global_buffer
      - .offset:         64
        .size:           4
        .value_kind:     by_value
      - .offset:         68
        .size:           4
        .value_kind:     by_value
      - .offset:         72
        .size:           4
        .value_kind:     by_value
      - .offset:         76
        .size:           4
        .value_kind:     by_value
      - .offset:         80
        .size:           4
        .value_kind:     by_value
      - .offset:         84
        .size:           4
        .value_kind:     by_value
      - .offset:         88
        .size:           4
        .value_kind:     by_value
      - .offset:         92
        .size:           12
        .value_kind:     by_value
      - .offset:         104
        .size:           4
        .value_kind:     by_value
      - .offset:         108
        .size:           4
        .value_kind:     by_value
      - .offset:         112
        .size:           4
        .value_kind:     by_value
      - .offset:         116
        .size:           4
        .value_kind:     by_value
      - .offset:         120
        .size:           4
        .value_kind:     by_value
      - .offset:         124
        .size:           4
        .value_kind:     by_value
      - .offset:         128
        .size:           4
        .value_kind:     by_value
      - .offset:         132
        .size:           4
        .value_kind:     by_value
      - .offset:         136
        .size:           4
        .value_kind:     by_value
      - .offset:         140
        .size:           4
        .value_kind:     by_value
      - .offset:         144
        .size:           4
        .value_kind:     by_value
      - .offset:         152
        .size:           8
        .value_kind:     by_value
      - .offset:         160
        .size:           4
        .value_kind:     by_value
      - .offset:         164
        .size:           4
        .value_kind:     by_value
      - .offset:         168
        .size:           8
        .value_kind:     by_value
      - .offset:         176
        .size:           4
        .value_kind:     by_value
      - .offset:         180
        .size:           4
        .value_kind:     by_value
      - .offset:         184
        .size:           4
        .value_kind:     by_value
      - .offset:         188
        .size:           4
        .value_kind:     by_value
      - .offset:         192
        .size:           4
        .value_kind:     by_value
      - .offset:         200
        .size:           8
        .value_kind:     by_value
      - .offset:         208
        .size:           4
        .value_kind:     hidden_block_count_x
      - .offset:         212
        .size:           4
        .value_kind:     hidden_block_count_y
      - .offset:         216
        .size:           4
        .value_kind:     hidden_block_count_z
      - .offset:         220
        .size:           2
        .value_kind:     hidden_group_size_x
      - .offset:         222
        .size:           2
        .value_kind:     hidden_group_size_y
      - .offset:         224
        .size:           2
        .value_kind:     hidden_group_size_z
      - .offset:         226
        .size:           2
        .value_kind:     hidden_remainder_x
      - .offset:         228
        .size:           2
        .value_kind:     hidden_remainder_y
      - .offset:         230
        .size:           2
        .value_kind:     hidden_remainder_z
      - .offset:         248
        .size:           8
        .value_kind:     hidden_global_offset_x
      - .offset:         256
        .size:           8
        .value_kind:     hidden_global_offset_y
      - .offset:         264
        .size:           8
        .value_kind:     hidden_global_offset_z
      - .offset:         272
        .size:           2
        .value_kind:     hidden_grid_dims
      - .offset:         328
        .size:           4
        .value_kind:     hidden_dynamic_lds_size
    .group_segment_fixed_size: 0
    .kernarg_segment_align: 8
    .kernarg_segment_size: 464
    .language:       OpenCL C
    .language_version:
      - 2
      - 0
    .max_flat_workgroup_size: 128
    .name:           _ZL18flash_attn_ext_f16ILi64ELi64ELi2ELi8ELb0ELb0EEvPKcS1_S1_S1_S1_PKiPfP15HIP_vector_typeIfLj2EEffffjfiS5_IjLj3EEiiiiiiiiiiiliiliiiiil
    .private_segment_fixed_size: 72
    .sgpr_count:     107
    .sgpr_spill_count: 0
    .symbol:         _ZL18flash_attn_ext_f16ILi64ELi64ELi2ELi8ELb0ELb0EEvPKcS1_S1_S1_S1_PKiPfP15HIP_vector_typeIfLj2EEffffjfiS5_IjLj3EEiiiiiiiiiiiliiliiiiil.kd
    .uniform_work_group_size: 1
    .uses_dynamic_stack: false
    .vgpr_count:     256
    .vgpr_spill_count: 17
    .wavefront_size: 32
    .workgroup_processor_mode: 1
  - .args:
      - .address_space:  global
        .offset:         0
        .size:           8
        .value_kind:     global_buffer
      - .address_space:  global
        .offset:         8
        .size:           8
        .value_kind:     global_buffer
      - .address_space:  global
        .offset:         16
        .size:           8
        .value_kind:     global_buffer
      - .address_space:  global
        .offset:         24
        .size:           8
        .value_kind:     global_buffer
      - .address_space:  global
        .offset:         32
        .size:           8
        .value_kind:     global_buffer
      - .address_space:  global
        .offset:         40
        .size:           8
        .value_kind:     global_buffer
      - .address_space:  global
        .offset:         48
        .size:           8
        .value_kind:     global_buffer
      - .address_space:  global
        .offset:         56
        .size:           8
        .value_kind:     global_buffer
      - .offset:         64
        .size:           4
        .value_kind:     by_value
      - .offset:         68
        .size:           4
        .value_kind:     by_value
      - .offset:         72
        .size:           4
        .value_kind:     by_value
      - .offset:         76
        .size:           4
        .value_kind:     by_value
      - .offset:         80
        .size:           4
        .value_kind:     by_value
      - .offset:         84
        .size:           4
        .value_kind:     by_value
      - .offset:         88
        .size:           4
        .value_kind:     by_value
      - .offset:         92
        .size:           12
        .value_kind:     by_value
      - .offset:         104
        .size:           4
        .value_kind:     by_value
      - .offset:         108
        .size:           4
        .value_kind:     by_value
      - .offset:         112
        .size:           4
        .value_kind:     by_value
      - .offset:         116
        .size:           4
        .value_kind:     by_value
      - .offset:         120
        .size:           4
        .value_kind:     by_value
      - .offset:         124
        .size:           4
        .value_kind:     by_value
      - .offset:         128
        .size:           4
        .value_kind:     by_value
      - .offset:         132
        .size:           4
        .value_kind:     by_value
      - .offset:         136
        .size:           4
        .value_kind:     by_value
      - .offset:         140
        .size:           4
        .value_kind:     by_value
      - .offset:         144
        .size:           4
        .value_kind:     by_value
      - .offset:         152
        .size:           8
        .value_kind:     by_value
      - .offset:         160
        .size:           4
        .value_kind:     by_value
      - .offset:         164
        .size:           4
        .value_kind:     by_value
      - .offset:         168
        .size:           8
        .value_kind:     by_value
      - .offset:         176
        .size:           4
        .value_kind:     by_value
      - .offset:         180
        .size:           4
        .value_kind:     by_value
      - .offset:         184
        .size:           4
        .value_kind:     by_value
      - .offset:         188
        .size:           4
        .value_kind:     by_value
      - .offset:         192
        .size:           4
        .value_kind:     by_value
      - .offset:         200
        .size:           8
        .value_kind:     by_value
      - .offset:         208
        .size:           4
        .value_kind:     hidden_block_count_x
      - .offset:         212
        .size:           4
        .value_kind:     hidden_block_count_y
      - .offset:         216
        .size:           4
        .value_kind:     hidden_block_count_z
      - .offset:         220
        .size:           2
        .value_kind:     hidden_group_size_x
      - .offset:         222
        .size:           2
        .value_kind:     hidden_group_size_y
      - .offset:         224
        .size:           2
        .value_kind:     hidden_group_size_z
      - .offset:         226
        .size:           2
        .value_kind:     hidden_remainder_x
      - .offset:         228
        .size:           2
        .value_kind:     hidden_remainder_y
      - .offset:         230
        .size:           2
        .value_kind:     hidden_remainder_z
      - .offset:         248
        .size:           8
        .value_kind:     hidden_global_offset_x
      - .offset:         256
        .size:           8
        .value_kind:     hidden_global_offset_y
      - .offset:         264
        .size:           8
        .value_kind:     hidden_global_offset_z
      - .offset:         272
        .size:           2
        .value_kind:     hidden_grid_dims
      - .offset:         288
        .size:           8
        .value_kind:     hidden_hostcall_buffer
    .group_segment_fixed_size: 0
    .kernarg_segment_align: 8
    .kernarg_segment_size: 464
    .language:       OpenCL C
    .language_version:
      - 2
      - 0
    .max_flat_workgroup_size: 128
    .name:           _ZL18flash_attn_ext_f16ILi64ELi64ELi2ELi8ELb1ELb0EEvPKcS1_S1_S1_S1_PKiPfP15HIP_vector_typeIfLj2EEffffjfiS5_IjLj3EEiiiiiiiiiiiliiliiiiil
    .private_segment_fixed_size: 16
    .sgpr_count:     36
    .sgpr_spill_count: 0
    .symbol:         _ZL18flash_attn_ext_f16ILi64ELi64ELi2ELi8ELb1ELb0EEvPKcS1_S1_S1_S1_PKiPfP15HIP_vector_typeIfLj2EEffffjfiS5_IjLj3EEiiiiiiiiiiiliiliiiiil.kd
    .uniform_work_group_size: 1
    .uses_dynamic_stack: false
    .vgpr_count:     37
    .vgpr_spill_count: 0
    .wavefront_size: 32
    .workgroup_processor_mode: 1
  - .args:
      - .actual_access:  read_only
        .address_space:  global
        .offset:         0
        .size:           8
        .value_kind:     global_buffer
      - .actual_access:  write_only
        .address_space:  global
        .offset:         8
        .size:           8
        .value_kind:     global_buffer
      - .offset:         16
        .size:           4
        .value_kind:     by_value
      - .offset:         20
        .size:           4
        .value_kind:     by_value
      - .offset:         24
        .size:           4
        .value_kind:     by_value
      - .offset:         32
        .size:           4
        .value_kind:     hidden_block_count_x
      - .offset:         36
        .size:           4
        .value_kind:     hidden_block_count_y
      - .offset:         40
        .size:           4
        .value_kind:     hidden_block_count_z
      - .offset:         44
        .size:           2
        .value_kind:     hidden_group_size_x
      - .offset:         46
        .size:           2
        .value_kind:     hidden_group_size_y
      - .offset:         48
        .size:           2
        .value_kind:     hidden_group_size_z
      - .offset:         50
        .size:           2
        .value_kind:     hidden_remainder_x
      - .offset:         52
        .size:           2
        .value_kind:     hidden_remainder_y
      - .offset:         54
        .size:           2
        .value_kind:     hidden_remainder_z
      - .offset:         72
        .size:           8
        .value_kind:     hidden_global_offset_x
      - .offset:         80
        .size:           8
        .value_kind:     hidden_global_offset_y
      - .offset:         88
        .size:           8
        .value_kind:     hidden_global_offset_z
      - .offset:         96
        .size:           2
        .value_kind:     hidden_grid_dims
    .group_segment_fixed_size: 128
    .kernarg_segment_align: 8
    .kernarg_segment_size: 288
    .language:       OpenCL C
    .language_version:
      - 2
      - 0
    .max_flat_workgroup_size: 128
    .name:           _ZL25flash_attn_mask_to_KV_maxILi2EEvPK7__half2Piiii
    .private_segment_fixed_size: 0
    .sgpr_count:     18
    .sgpr_spill_count: 0
    .symbol:         _ZL25flash_attn_mask_to_KV_maxILi2EEvPK7__half2Piiii.kd
    .uniform_work_group_size: 1
    .uses_dynamic_stack: false
    .vgpr_count:     7
    .vgpr_spill_count: 0
    .wavefront_size: 32
    .workgroup_processor_mode: 1
  - .args:
      - .address_space:  global
        .offset:         0
        .size:           8
        .value_kind:     global_buffer
      - .address_space:  global
        .offset:         8
        .size:           8
        .value_kind:     global_buffer
      - .offset:         16
        .size:           4
        .value_kind:     by_value
      - .offset:         20
        .size:           4
        .value_kind:     by_value
      - .offset:         24
        .size:           4
        .value_kind:     by_value
      - .offset:         28
        .size:           4
        .value_kind:     by_value
      - .offset:         32
        .size:           4
        .value_kind:     by_value
      - .offset:         36
        .size:           4
        .value_kind:     by_value
      - .offset:         40
        .size:           12
        .value_kind:     by_value
      - .offset:         52
        .size:           12
        .value_kind:     by_value
      - .offset:         64
        .size:           12
        .value_kind:     by_value
    .group_segment_fixed_size: 0
    .kernarg_segment_align: 8
    .kernarg_segment_size: 76
    .language:       OpenCL C
    .language_version:
      - 2
      - 0
    .max_flat_workgroup_size: 64
    .name:           _ZL33flash_attn_stream_k_fixup_uniformILi64ELi2ELi8EEvPfPK15HIP_vector_typeIfLj2EEiiiiiiS1_IjLj3EES5_S5_
    .private_segment_fixed_size: 0
    .sgpr_count:     22
    .sgpr_spill_count: 0
    .symbol:         _ZL33flash_attn_stream_k_fixup_uniformILi64ELi2ELi8EEvPfPK15HIP_vector_typeIfLj2EEiiiiiiS1_IjLj3EES5_S5_.kd
    .uniform_work_group_size: 1
    .uses_dynamic_stack: false
    .vgpr_count:     15
    .vgpr_spill_count: 0
    .wavefront_size: 32
    .workgroup_processor_mode: 1
  - .args:
      - .address_space:  global
        .offset:         0
        .size:           8
        .value_kind:     global_buffer
      - .address_space:  global
        .offset:         8
        .size:           8
        .value_kind:     global_buffer
      - .offset:         16
        .size:           4
        .value_kind:     by_value
      - .offset:         20
        .size:           4
        .value_kind:     by_value
      - .offset:         24
        .size:           4
        .value_kind:     by_value
      - .offset:         28
        .size:           4
        .value_kind:     by_value
      - .offset:         32
        .size:           12
        .value_kind:     by_value
      - .offset:         44
        .size:           12
        .value_kind:     by_value
      - .offset:         56
        .size:           12
        .value_kind:     by_value
      - .offset:         68
        .size:           12
        .value_kind:     by_value
      - .offset:         80
        .size:           4
        .value_kind:     hidden_block_count_x
      - .offset:         84
        .size:           4
        .value_kind:     hidden_block_count_y
      - .offset:         88
        .size:           4
        .value_kind:     hidden_block_count_z
      - .offset:         92
        .size:           2
        .value_kind:     hidden_group_size_x
      - .offset:         94
        .size:           2
        .value_kind:     hidden_group_size_y
      - .offset:         96
        .size:           2
        .value_kind:     hidden_group_size_z
      - .offset:         98
        .size:           2
        .value_kind:     hidden_remainder_x
      - .offset:         100
        .size:           2
        .value_kind:     hidden_remainder_y
      - .offset:         102
        .size:           2
        .value_kind:     hidden_remainder_z
      - .offset:         120
        .size:           8
        .value_kind:     hidden_global_offset_x
      - .offset:         128
        .size:           8
        .value_kind:     hidden_global_offset_y
      - .offset:         136
        .size:           8
        .value_kind:     hidden_global_offset_z
      - .offset:         144
        .size:           2
        .value_kind:     hidden_grid_dims
    .group_segment_fixed_size: 0
    .kernarg_segment_align: 8
    .kernarg_segment_size: 336
    .language:       OpenCL C
    .language_version:
      - 2
      - 0
    .max_flat_workgroup_size: 64
    .name:           _ZL33flash_attn_stream_k_fixup_generalILi64ELi2ELi8EEvPfPK15HIP_vector_typeIfLj2EEiiiiS1_IjLj3EES5_S5_S5_
    .private_segment_fixed_size: 0
    .sgpr_count:     34
    .sgpr_spill_count: 0
    .symbol:         _ZL33flash_attn_stream_k_fixup_generalILi64ELi2ELi8EEvPfPK15HIP_vector_typeIfLj2EEiiiiS1_IjLj3EES5_S5_S5_.kd
    .uniform_work_group_size: 1
    .uses_dynamic_stack: false
    .vgpr_count:     19
    .vgpr_spill_count: 0
    .wavefront_size: 32
    .workgroup_processor_mode: 1
  - .args:
      - .address_space:  global
        .offset:         0
        .size:           8
        .value_kind:     global_buffer
      - .address_space:  global
        .offset:         8
        .size:           8
        .value_kind:     global_buffer
      - .address_space:  global
        .offset:         16
        .size:           8
        .value_kind:     global_buffer
      - .offset:         24
        .size:           4
        .value_kind:     by_value
      - .offset:         32
        .size:           4
        .value_kind:     hidden_block_count_x
      - .offset:         36
        .size:           4
        .value_kind:     hidden_block_count_y
      - .offset:         40
        .size:           4
        .value_kind:     hidden_block_count_z
      - .offset:         44
        .size:           2
        .value_kind:     hidden_group_size_x
      - .offset:         46
        .size:           2
        .value_kind:     hidden_group_size_y
      - .offset:         48
        .size:           2
        .value_kind:     hidden_group_size_z
      - .offset:         50
        .size:           2
        .value_kind:     hidden_remainder_x
      - .offset:         52
        .size:           2
        .value_kind:     hidden_remainder_y
      - .offset:         54
        .size:           2
        .value_kind:     hidden_remainder_z
      - .offset:         72
        .size:           8
        .value_kind:     hidden_global_offset_x
      - .offset:         80
        .size:           8
        .value_kind:     hidden_global_offset_y
      - .offset:         88
        .size:           8
        .value_kind:     hidden_global_offset_z
      - .offset:         96
        .size:           2
        .value_kind:     hidden_grid_dims
      - .offset:         152
        .size:           4
        .value_kind:     hidden_dynamic_lds_size
    .group_segment_fixed_size: 0
    .kernarg_segment_align: 8
    .kernarg_segment_size: 288
    .language:       OpenCL C
    .language_version:
      - 2
      - 0
    .max_flat_workgroup_size: 64
    .name:           _ZL26flash_attn_combine_resultsILi64EEvPKfPK15HIP_vector_typeIfLj2EEPfi
    .private_segment_fixed_size: 0
    .sgpr_count:     18
    .sgpr_spill_count: 0
    .symbol:         _ZL26flash_attn_combine_resultsILi64EEvPKfPK15HIP_vector_typeIfLj2EEPfi.kd
    .uniform_work_group_size: 1
    .uses_dynamic_stack: false
    .vgpr_count:     55
    .vgpr_spill_count: 0
    .wavefront_size: 32
    .workgroup_processor_mode: 1
  - .args:
      - .address_space:  global
        .offset:         0
        .size:           8
        .value_kind:     global_buffer
      - .address_space:  global
        .offset:         8
        .size:           8
        .value_kind:     global_buffer
      - .address_space:  global
        .offset:         16
        .size:           8
        .value_kind:     global_buffer
      - .address_space:  global
        .offset:         24
        .size:           8
        .value_kind:     global_buffer
      - .address_space:  global
        .offset:         32
        .size:           8
        .value_kind:     global_buffer
      - .address_space:  global
        .offset:         40
        .size:           8
        .value_kind:     global_buffer
      - .address_space:  global
        .offset:         48
        .size:           8
        .value_kind:     global_buffer
      - .address_space:  global
        .offset:         56
        .size:           8
        .value_kind:     global_buffer
      - .offset:         64
        .size:           4
        .value_kind:     by_value
      - .offset:         68
        .size:           4
        .value_kind:     by_value
      - .offset:         72
        .size:           4
        .value_kind:     by_value
      - .offset:         76
        .size:           4
        .value_kind:     by_value
      - .offset:         80
        .size:           4
        .value_kind:     by_value
      - .offset:         84
        .size:           4
        .value_kind:     by_value
      - .offset:         88
        .size:           4
        .value_kind:     by_value
      - .offset:         92
        .size:           12
        .value_kind:     by_value
      - .offset:         104
        .size:           4
        .value_kind:     by_value
      - .offset:         108
        .size:           4
        .value_kind:     by_value
      - .offset:         112
        .size:           4
        .value_kind:     by_value
      - .offset:         116
        .size:           4
        .value_kind:     by_value
      - .offset:         120
        .size:           4
        .value_kind:     by_value
      - .offset:         124
        .size:           4
        .value_kind:     by_value
      - .offset:         128
        .size:           4
        .value_kind:     by_value
      - .offset:         132
        .size:           4
        .value_kind:     by_value
      - .offset:         136
        .size:           4
        .value_kind:     by_value
      - .offset:         140
        .size:           4
        .value_kind:     by_value
      - .offset:         144
        .size:           4
        .value_kind:     by_value
      - .offset:         152
        .size:           8
        .value_kind:     by_value
      - .offset:         160
        .size:           4
        .value_kind:     by_value
      - .offset:         164
        .size:           4
        .value_kind:     by_value
      - .offset:         168
        .size:           8
        .value_kind:     by_value
      - .offset:         176
        .size:           4
        .value_kind:     by_value
      - .offset:         180
        .size:           4
        .value_kind:     by_value
      - .offset:         184
        .size:           4
        .value_kind:     by_value
      - .offset:         188
        .size:           4
        .value_kind:     by_value
      - .offset:         192
        .size:           4
        .value_kind:     by_value
      - .offset:         200
        .size:           8
        .value_kind:     by_value
      - .offset:         208
        .size:           4
        .value_kind:     hidden_block_count_x
      - .offset:         212
        .size:           4
        .value_kind:     hidden_block_count_y
      - .offset:         216
        .size:           4
        .value_kind:     hidden_block_count_z
      - .offset:         220
        .size:           2
        .value_kind:     hidden_group_size_x
      - .offset:         222
        .size:           2
        .value_kind:     hidden_group_size_y
      - .offset:         224
        .size:           2
        .value_kind:     hidden_group_size_z
      - .offset:         226
        .size:           2
        .value_kind:     hidden_remainder_x
      - .offset:         228
        .size:           2
        .value_kind:     hidden_remainder_y
      - .offset:         230
        .size:           2
        .value_kind:     hidden_remainder_z
      - .offset:         248
        .size:           8
        .value_kind:     hidden_global_offset_x
      - .offset:         256
        .size:           8
        .value_kind:     hidden_global_offset_y
      - .offset:         264
        .size:           8
        .value_kind:     hidden_global_offset_z
      - .offset:         272
        .size:           2
        .value_kind:     hidden_grid_dims
      - .offset:         328
        .size:           4
        .value_kind:     hidden_dynamic_lds_size
    .group_segment_fixed_size: 0
    .kernarg_segment_align: 8
    .kernarg_segment_size: 464
    .language:       OpenCL C
    .language_version:
      - 2
      - 0
    .max_flat_workgroup_size: 64
    .name:           _ZL18flash_attn_ext_f16ILi80ELi80ELi2ELi8ELb0ELb0EEvPKcS1_S1_S1_S1_PKiPfP15HIP_vector_typeIfLj2EEffffjfiS5_IjLj3EEiiiiiiiiiiiliiliiiiil
    .private_segment_fixed_size: 428
    .sgpr_count:     107
    .sgpr_spill_count: 0
    .symbol:         _ZL18flash_attn_ext_f16ILi80ELi80ELi2ELi8ELb0ELb0EEvPKcS1_S1_S1_S1_PKiPfP15HIP_vector_typeIfLj2EEffffjfiS5_IjLj3EEiiiiiiiiiiiliiliiiiil.kd
    .uniform_work_group_size: 1
    .uses_dynamic_stack: false
    .vgpr_count:     256
    .vgpr_spill_count: 106
    .wavefront_size: 32
    .workgroup_processor_mode: 1
  - .args:
      - .address_space:  global
        .offset:         0
        .size:           8
        .value_kind:     global_buffer
      - .address_space:  global
        .offset:         8
        .size:           8
        .value_kind:     global_buffer
      - .address_space:  global
        .offset:         16
        .size:           8
        .value_kind:     global_buffer
      - .address_space:  global
        .offset:         24
        .size:           8
        .value_kind:     global_buffer
      - .address_space:  global
        .offset:         32
        .size:           8
        .value_kind:     global_buffer
      - .address_space:  global
        .offset:         40
        .size:           8
        .value_kind:     global_buffer
      - .address_space:  global
        .offset:         48
        .size:           8
        .value_kind:     global_buffer
      - .address_space:  global
        .offset:         56
        .size:           8
        .value_kind:     global_buffer
      - .offset:         64
        .size:           4
        .value_kind:     by_value
      - .offset:         68
        .size:           4
        .value_kind:     by_value
      - .offset:         72
        .size:           4
        .value_kind:     by_value
      - .offset:         76
        .size:           4
        .value_kind:     by_value
      - .offset:         80
        .size:           4
        .value_kind:     by_value
      - .offset:         84
        .size:           4
        .value_kind:     by_value
      - .offset:         88
        .size:           4
        .value_kind:     by_value
      - .offset:         92
        .size:           12
        .value_kind:     by_value
      - .offset:         104
        .size:           4
        .value_kind:     by_value
      - .offset:         108
        .size:           4
        .value_kind:     by_value
      - .offset:         112
        .size:           4
        .value_kind:     by_value
      - .offset:         116
        .size:           4
        .value_kind:     by_value
      - .offset:         120
        .size:           4
        .value_kind:     by_value
      - .offset:         124
        .size:           4
        .value_kind:     by_value
      - .offset:         128
        .size:           4
        .value_kind:     by_value
      - .offset:         132
        .size:           4
        .value_kind:     by_value
      - .offset:         136
        .size:           4
        .value_kind:     by_value
      - .offset:         140
        .size:           4
        .value_kind:     by_value
      - .offset:         144
        .size:           4
        .value_kind:     by_value
      - .offset:         152
        .size:           8
        .value_kind:     by_value
      - .offset:         160
        .size:           4
        .value_kind:     by_value
      - .offset:         164
        .size:           4
        .value_kind:     by_value
      - .offset:         168
        .size:           8
        .value_kind:     by_value
      - .offset:         176
        .size:           4
        .value_kind:     by_value
      - .offset:         180
        .size:           4
        .value_kind:     by_value
      - .offset:         184
        .size:           4
        .value_kind:     by_value
      - .offset:         188
        .size:           4
        .value_kind:     by_value
      - .offset:         192
        .size:           4
        .value_kind:     by_value
      - .offset:         200
        .size:           8
        .value_kind:     by_value
      - .offset:         208
        .size:           4
        .value_kind:     hidden_block_count_x
      - .offset:         212
        .size:           4
        .value_kind:     hidden_block_count_y
      - .offset:         216
        .size:           4
        .value_kind:     hidden_block_count_z
      - .offset:         220
        .size:           2
        .value_kind:     hidden_group_size_x
      - .offset:         222
        .size:           2
        .value_kind:     hidden_group_size_y
      - .offset:         224
        .size:           2
        .value_kind:     hidden_group_size_z
      - .offset:         226
        .size:           2
        .value_kind:     hidden_remainder_x
      - .offset:         228
        .size:           2
        .value_kind:     hidden_remainder_y
      - .offset:         230
        .size:           2
        .value_kind:     hidden_remainder_z
      - .offset:         248
        .size:           8
        .value_kind:     hidden_global_offset_x
      - .offset:         256
        .size:           8
        .value_kind:     hidden_global_offset_y
      - .offset:         264
        .size:           8
        .value_kind:     hidden_global_offset_z
      - .offset:         272
        .size:           2
        .value_kind:     hidden_grid_dims
      - .offset:         288
        .size:           8
        .value_kind:     hidden_hostcall_buffer
    .group_segment_fixed_size: 0
    .kernarg_segment_align: 8
    .kernarg_segment_size: 464
    .language:       OpenCL C
    .language_version:
      - 2
      - 0
    .max_flat_workgroup_size: 64
    .name:           _ZL18flash_attn_ext_f16ILi80ELi80ELi2ELi8ELb1ELb0EEvPKcS1_S1_S1_S1_PKiPfP15HIP_vector_typeIfLj2EEffffjfiS5_IjLj3EEiiiiiiiiiiiliiliiiiil
    .private_segment_fixed_size: 16
    .sgpr_count:     36
    .sgpr_spill_count: 0
    .symbol:         _ZL18flash_attn_ext_f16ILi80ELi80ELi2ELi8ELb1ELb0EEvPKcS1_S1_S1_S1_PKiPfP15HIP_vector_typeIfLj2EEffffjfiS5_IjLj3EEiiiiiiiiiiiliiliiiiil.kd
    .uniform_work_group_size: 1
    .uses_dynamic_stack: false
    .vgpr_count:     37
    .vgpr_spill_count: 0
    .wavefront_size: 32
    .workgroup_processor_mode: 1
  - .args:
      - .address_space:  global
        .offset:         0
        .size:           8
        .value_kind:     global_buffer
      - .address_space:  global
        .offset:         8
        .size:           8
        .value_kind:     global_buffer
      - .offset:         16
        .size:           4
        .value_kind:     by_value
      - .offset:         20
        .size:           4
        .value_kind:     by_value
      - .offset:         24
        .size:           4
        .value_kind:     by_value
      - .offset:         28
        .size:           4
        .value_kind:     by_value
      - .offset:         32
        .size:           4
        .value_kind:     by_value
      - .offset:         36
        .size:           4
        .value_kind:     by_value
      - .offset:         40
        .size:           12
        .value_kind:     by_value
      - .offset:         52
        .size:           12
        .value_kind:     by_value
      - .offset:         64
        .size:           12
        .value_kind:     by_value
    .group_segment_fixed_size: 0
    .kernarg_segment_align: 8
    .kernarg_segment_size: 76
    .language:       OpenCL C
    .language_version:
      - 2
      - 0
    .max_flat_workgroup_size: 80
    .name:           _ZL33flash_attn_stream_k_fixup_uniformILi80ELi2ELi8EEvPfPK15HIP_vector_typeIfLj2EEiiiiiiS1_IjLj3EES5_S5_
    .private_segment_fixed_size: 0
    .sgpr_count:     22
    .sgpr_spill_count: 0
    .symbol:         _ZL33flash_attn_stream_k_fixup_uniformILi80ELi2ELi8EEvPfPK15HIP_vector_typeIfLj2EEiiiiiiS1_IjLj3EES5_S5_.kd
    .uniform_work_group_size: 1
    .uses_dynamic_stack: false
    .vgpr_count:     15
    .vgpr_spill_count: 0
    .wavefront_size: 32
    .workgroup_processor_mode: 1
  - .args:
      - .address_space:  global
        .offset:         0
        .size:           8
        .value_kind:     global_buffer
      - .address_space:  global
        .offset:         8
        .size:           8
        .value_kind:     global_buffer
      - .offset:         16
        .size:           4
        .value_kind:     by_value
      - .offset:         20
        .size:           4
        .value_kind:     by_value
      - .offset:         24
        .size:           4
        .value_kind:     by_value
      - .offset:         28
        .size:           4
        .value_kind:     by_value
      - .offset:         32
        .size:           12
        .value_kind:     by_value
      - .offset:         44
        .size:           12
        .value_kind:     by_value
      - .offset:         56
        .size:           12
        .value_kind:     by_value
      - .offset:         68
        .size:           12
        .value_kind:     by_value
      - .offset:         80
        .size:           4
        .value_kind:     hidden_block_count_x
      - .offset:         84
        .size:           4
        .value_kind:     hidden_block_count_y
      - .offset:         88
        .size:           4
        .value_kind:     hidden_block_count_z
      - .offset:         92
        .size:           2
        .value_kind:     hidden_group_size_x
      - .offset:         94
        .size:           2
        .value_kind:     hidden_group_size_y
      - .offset:         96
        .size:           2
        .value_kind:     hidden_group_size_z
      - .offset:         98
        .size:           2
        .value_kind:     hidden_remainder_x
      - .offset:         100
        .size:           2
        .value_kind:     hidden_remainder_y
      - .offset:         102
        .size:           2
        .value_kind:     hidden_remainder_z
      - .offset:         120
        .size:           8
        .value_kind:     hidden_global_offset_x
      - .offset:         128
        .size:           8
        .value_kind:     hidden_global_offset_y
      - .offset:         136
        .size:           8
        .value_kind:     hidden_global_offset_z
      - .offset:         144
        .size:           2
        .value_kind:     hidden_grid_dims
    .group_segment_fixed_size: 0
    .kernarg_segment_align: 8
    .kernarg_segment_size: 336
    .language:       OpenCL C
    .language_version:
      - 2
      - 0
    .max_flat_workgroup_size: 80
    .name:           _ZL33flash_attn_stream_k_fixup_generalILi80ELi2ELi8EEvPfPK15HIP_vector_typeIfLj2EEiiiiS1_IjLj3EES5_S5_S5_
    .private_segment_fixed_size: 0
    .sgpr_count:     34
    .sgpr_spill_count: 0
    .symbol:         _ZL33flash_attn_stream_k_fixup_generalILi80ELi2ELi8EEvPfPK15HIP_vector_typeIfLj2EEiiiiS1_IjLj3EES5_S5_S5_.kd
    .uniform_work_group_size: 1
    .uses_dynamic_stack: false
    .vgpr_count:     19
    .vgpr_spill_count: 0
    .wavefront_size: 32
    .workgroup_processor_mode: 1
  - .args:
      - .address_space:  global
        .offset:         0
        .size:           8
        .value_kind:     global_buffer
      - .address_space:  global
        .offset:         8
        .size:           8
        .value_kind:     global_buffer
      - .address_space:  global
        .offset:         16
        .size:           8
        .value_kind:     global_buffer
      - .offset:         24
        .size:           4
        .value_kind:     by_value
      - .offset:         32
        .size:           4
        .value_kind:     hidden_block_count_x
      - .offset:         36
        .size:           4
        .value_kind:     hidden_block_count_y
      - .offset:         40
        .size:           4
        .value_kind:     hidden_block_count_z
      - .offset:         44
        .size:           2
        .value_kind:     hidden_group_size_x
      - .offset:         46
        .size:           2
        .value_kind:     hidden_group_size_y
      - .offset:         48
        .size:           2
        .value_kind:     hidden_group_size_z
      - .offset:         50
        .size:           2
        .value_kind:     hidden_remainder_x
      - .offset:         52
        .size:           2
        .value_kind:     hidden_remainder_y
      - .offset:         54
        .size:           2
        .value_kind:     hidden_remainder_z
      - .offset:         72
        .size:           8
        .value_kind:     hidden_global_offset_x
      - .offset:         80
        .size:           8
        .value_kind:     hidden_global_offset_y
      - .offset:         88
        .size:           8
        .value_kind:     hidden_global_offset_z
      - .offset:         96
        .size:           2
        .value_kind:     hidden_grid_dims
      - .offset:         152
        .size:           4
        .value_kind:     hidden_dynamic_lds_size
    .group_segment_fixed_size: 0
    .kernarg_segment_align: 8
    .kernarg_segment_size: 288
    .language:       OpenCL C
    .language_version:
      - 2
      - 0
    .max_flat_workgroup_size: 80
    .name:           _ZL26flash_attn_combine_resultsILi80EEvPKfPK15HIP_vector_typeIfLj2EEPfi
    .private_segment_fixed_size: 0
    .sgpr_count:     22
    .sgpr_spill_count: 0
    .symbol:         _ZL26flash_attn_combine_resultsILi80EEvPKfPK15HIP_vector_typeIfLj2EEPfi.kd
    .uniform_work_group_size: 1
    .uses_dynamic_stack: false
    .vgpr_count:     57
    .vgpr_spill_count: 0
    .wavefront_size: 32
    .workgroup_processor_mode: 1
  - .args:
      - .address_space:  global
        .offset:         0
        .size:           8
        .value_kind:     global_buffer
      - .address_space:  global
        .offset:         8
        .size:           8
        .value_kind:     global_buffer
      - .address_space:  global
        .offset:         16
        .size:           8
        .value_kind:     global_buffer
      - .address_space:  global
        .offset:         24
        .size:           8
        .value_kind:     global_buffer
      - .address_space:  global
        .offset:         32
        .size:           8
        .value_kind:     global_buffer
      - .address_space:  global
        .offset:         40
        .size:           8
        .value_kind:     global_buffer
      - .address_space:  global
        .offset:         48
        .size:           8
        .value_kind:     global_buffer
      - .address_space:  global
        .offset:         56
        .size:           8
        .value_kind:     global_buffer
      - .offset:         64
        .size:           4
        .value_kind:     by_value
      - .offset:         68
        .size:           4
        .value_kind:     by_value
      - .offset:         72
        .size:           4
        .value_kind:     by_value
      - .offset:         76
        .size:           4
        .value_kind:     by_value
      - .offset:         80
        .size:           4
        .value_kind:     by_value
      - .offset:         84
        .size:           4
        .value_kind:     by_value
      - .offset:         88
        .size:           4
        .value_kind:     by_value
      - .offset:         92
        .size:           12
        .value_kind:     by_value
      - .offset:         104
        .size:           4
        .value_kind:     by_value
      - .offset:         108
        .size:           4
        .value_kind:     by_value
      - .offset:         112
        .size:           4
        .value_kind:     by_value
      - .offset:         116
        .size:           4
        .value_kind:     by_value
      - .offset:         120
        .size:           4
        .value_kind:     by_value
      - .offset:         124
        .size:           4
        .value_kind:     by_value
      - .offset:         128
        .size:           4
        .value_kind:     by_value
      - .offset:         132
        .size:           4
        .value_kind:     by_value
      - .offset:         136
        .size:           4
        .value_kind:     by_value
      - .offset:         140
        .size:           4
        .value_kind:     by_value
      - .offset:         144
        .size:           4
        .value_kind:     by_value
      - .offset:         152
        .size:           8
        .value_kind:     by_value
      - .offset:         160
        .size:           4
        .value_kind:     by_value
      - .offset:         164
        .size:           4
        .value_kind:     by_value
      - .offset:         168
        .size:           8
        .value_kind:     by_value
      - .offset:         176
        .size:           4
        .value_kind:     by_value
      - .offset:         180
        .size:           4
        .value_kind:     by_value
      - .offset:         184
        .size:           4
        .value_kind:     by_value
      - .offset:         188
        .size:           4
        .value_kind:     by_value
      - .offset:         192
        .size:           4
        .value_kind:     by_value
      - .offset:         200
        .size:           8
        .value_kind:     by_value
      - .offset:         208
        .size:           4
        .value_kind:     hidden_block_count_x
      - .offset:         212
        .size:           4
        .value_kind:     hidden_block_count_y
      - .offset:         216
        .size:           4
        .value_kind:     hidden_block_count_z
      - .offset:         220
        .size:           2
        .value_kind:     hidden_group_size_x
      - .offset:         222
        .size:           2
        .value_kind:     hidden_group_size_y
      - .offset:         224
        .size:           2
        .value_kind:     hidden_group_size_z
      - .offset:         226
        .size:           2
        .value_kind:     hidden_remainder_x
      - .offset:         228
        .size:           2
        .value_kind:     hidden_remainder_y
      - .offset:         230
        .size:           2
        .value_kind:     hidden_remainder_z
      - .offset:         248
        .size:           8
        .value_kind:     hidden_global_offset_x
      - .offset:         256
        .size:           8
        .value_kind:     hidden_global_offset_y
      - .offset:         264
        .size:           8
        .value_kind:     hidden_global_offset_z
      - .offset:         272
        .size:           2
        .value_kind:     hidden_grid_dims
      - .offset:         328
        .size:           4
        .value_kind:     hidden_dynamic_lds_size
    .group_segment_fixed_size: 0
    .kernarg_segment_align: 8
    .kernarg_segment_size: 464
    .language:       OpenCL C
    .language_version:
      - 2
      - 0
    .max_flat_workgroup_size: 64
    .name:           _ZL18flash_attn_ext_f16ILi96ELi96ELi2ELi8ELb0ELb0EEvPKcS1_S1_S1_S1_PKiPfP15HIP_vector_typeIfLj2EEffffjfiS5_IjLj3EEiiiiiiiiiiiliiliiiiil
    .private_segment_fixed_size: 528
    .sgpr_count:     107
    .sgpr_spill_count: 0
    .symbol:         _ZL18flash_attn_ext_f16ILi96ELi96ELi2ELi8ELb0ELb0EEvPKcS1_S1_S1_S1_PKiPfP15HIP_vector_typeIfLj2EEffffjfiS5_IjLj3EEiiiiiiiiiiiliiliiiiil.kd
    .uniform_work_group_size: 1
    .uses_dynamic_stack: false
    .vgpr_count:     256
    .vgpr_spill_count: 131
    .wavefront_size: 32
    .workgroup_processor_mode: 1
  - .args:
      - .address_space:  global
        .offset:         0
        .size:           8
        .value_kind:     global_buffer
      - .address_space:  global
        .offset:         8
        .size:           8
        .value_kind:     global_buffer
      - .address_space:  global
        .offset:         16
        .size:           8
        .value_kind:     global_buffer
      - .address_space:  global
        .offset:         24
        .size:           8
        .value_kind:     global_buffer
      - .address_space:  global
        .offset:         32
        .size:           8
        .value_kind:     global_buffer
      - .address_space:  global
        .offset:         40
        .size:           8
        .value_kind:     global_buffer
      - .address_space:  global
        .offset:         48
        .size:           8
        .value_kind:     global_buffer
      - .address_space:  global
        .offset:         56
        .size:           8
        .value_kind:     global_buffer
      - .offset:         64
        .size:           4
        .value_kind:     by_value
      - .offset:         68
        .size:           4
        .value_kind:     by_value
      - .offset:         72
        .size:           4
        .value_kind:     by_value
      - .offset:         76
        .size:           4
        .value_kind:     by_value
      - .offset:         80
        .size:           4
        .value_kind:     by_value
      - .offset:         84
        .size:           4
        .value_kind:     by_value
      - .offset:         88
        .size:           4
        .value_kind:     by_value
      - .offset:         92
        .size:           12
        .value_kind:     by_value
      - .offset:         104
        .size:           4
        .value_kind:     by_value
      - .offset:         108
        .size:           4
        .value_kind:     by_value
      - .offset:         112
        .size:           4
        .value_kind:     by_value
      - .offset:         116
        .size:           4
        .value_kind:     by_value
      - .offset:         120
        .size:           4
        .value_kind:     by_value
      - .offset:         124
        .size:           4
        .value_kind:     by_value
      - .offset:         128
        .size:           4
        .value_kind:     by_value
      - .offset:         132
        .size:           4
        .value_kind:     by_value
      - .offset:         136
        .size:           4
        .value_kind:     by_value
      - .offset:         140
        .size:           4
        .value_kind:     by_value
      - .offset:         144
        .size:           4
        .value_kind:     by_value
      - .offset:         152
        .size:           8
        .value_kind:     by_value
      - .offset:         160
        .size:           4
        .value_kind:     by_value
      - .offset:         164
        .size:           4
        .value_kind:     by_value
      - .offset:         168
        .size:           8
        .value_kind:     by_value
      - .offset:         176
        .size:           4
        .value_kind:     by_value
      - .offset:         180
        .size:           4
        .value_kind:     by_value
      - .offset:         184
        .size:           4
        .value_kind:     by_value
      - .offset:         188
        .size:           4
        .value_kind:     by_value
      - .offset:         192
        .size:           4
        .value_kind:     by_value
      - .offset:         200
        .size:           8
        .value_kind:     by_value
      - .offset:         208
        .size:           4
        .value_kind:     hidden_block_count_x
      - .offset:         212
        .size:           4
        .value_kind:     hidden_block_count_y
      - .offset:         216
        .size:           4
        .value_kind:     hidden_block_count_z
      - .offset:         220
        .size:           2
        .value_kind:     hidden_group_size_x
      - .offset:         222
        .size:           2
        .value_kind:     hidden_group_size_y
      - .offset:         224
        .size:           2
        .value_kind:     hidden_group_size_z
      - .offset:         226
        .size:           2
        .value_kind:     hidden_remainder_x
      - .offset:         228
        .size:           2
        .value_kind:     hidden_remainder_y
      - .offset:         230
        .size:           2
        .value_kind:     hidden_remainder_z
      - .offset:         248
        .size:           8
        .value_kind:     hidden_global_offset_x
      - .offset:         256
        .size:           8
        .value_kind:     hidden_global_offset_y
      - .offset:         264
        .size:           8
        .value_kind:     hidden_global_offset_z
      - .offset:         272
        .size:           2
        .value_kind:     hidden_grid_dims
      - .offset:         288
        .size:           8
        .value_kind:     hidden_hostcall_buffer
    .group_segment_fixed_size: 0
    .kernarg_segment_align: 8
    .kernarg_segment_size: 464
    .language:       OpenCL C
    .language_version:
      - 2
      - 0
    .max_flat_workgroup_size: 64
    .name:           _ZL18flash_attn_ext_f16ILi96ELi96ELi2ELi8ELb1ELb0EEvPKcS1_S1_S1_S1_PKiPfP15HIP_vector_typeIfLj2EEffffjfiS5_IjLj3EEiiiiiiiiiiiliiliiiiil
    .private_segment_fixed_size: 16
    .sgpr_count:     36
    .sgpr_spill_count: 0
    .symbol:         _ZL18flash_attn_ext_f16ILi96ELi96ELi2ELi8ELb1ELb0EEvPKcS1_S1_S1_S1_PKiPfP15HIP_vector_typeIfLj2EEffffjfiS5_IjLj3EEiiiiiiiiiiiliiliiiiil.kd
    .uniform_work_group_size: 1
    .uses_dynamic_stack: false
    .vgpr_count:     37
    .vgpr_spill_count: 0
    .wavefront_size: 32
    .workgroup_processor_mode: 1
  - .args:
      - .address_space:  global
        .offset:         0
        .size:           8
        .value_kind:     global_buffer
      - .address_space:  global
        .offset:         8
        .size:           8
        .value_kind:     global_buffer
      - .offset:         16
        .size:           4
        .value_kind:     by_value
      - .offset:         20
        .size:           4
        .value_kind:     by_value
      - .offset:         24
        .size:           4
        .value_kind:     by_value
      - .offset:         28
        .size:           4
        .value_kind:     by_value
      - .offset:         32
        .size:           4
        .value_kind:     by_value
      - .offset:         36
        .size:           4
        .value_kind:     by_value
      - .offset:         40
        .size:           12
        .value_kind:     by_value
      - .offset:         52
        .size:           12
        .value_kind:     by_value
      - .offset:         64
        .size:           12
        .value_kind:     by_value
    .group_segment_fixed_size: 0
    .kernarg_segment_align: 8
    .kernarg_segment_size: 76
    .language:       OpenCL C
    .language_version:
      - 2
      - 0
    .max_flat_workgroup_size: 96
    .name:           _ZL33flash_attn_stream_k_fixup_uniformILi96ELi2ELi8EEvPfPK15HIP_vector_typeIfLj2EEiiiiiiS1_IjLj3EES5_S5_
    .private_segment_fixed_size: 0
    .sgpr_count:     22
    .sgpr_spill_count: 0
    .symbol:         _ZL33flash_attn_stream_k_fixup_uniformILi96ELi2ELi8EEvPfPK15HIP_vector_typeIfLj2EEiiiiiiS1_IjLj3EES5_S5_.kd
    .uniform_work_group_size: 1
    .uses_dynamic_stack: false
    .vgpr_count:     15
    .vgpr_spill_count: 0
    .wavefront_size: 32
    .workgroup_processor_mode: 1
  - .args:
      - .address_space:  global
        .offset:         0
        .size:           8
        .value_kind:     global_buffer
      - .address_space:  global
        .offset:         8
        .size:           8
        .value_kind:     global_buffer
      - .offset:         16
        .size:           4
        .value_kind:     by_value
      - .offset:         20
        .size:           4
        .value_kind:     by_value
      - .offset:         24
        .size:           4
        .value_kind:     by_value
      - .offset:         28
        .size:           4
        .value_kind:     by_value
      - .offset:         32
        .size:           12
        .value_kind:     by_value
      - .offset:         44
        .size:           12
        .value_kind:     by_value
      - .offset:         56
        .size:           12
        .value_kind:     by_value
      - .offset:         68
        .size:           12
        .value_kind:     by_value
      - .offset:         80
        .size:           4
        .value_kind:     hidden_block_count_x
      - .offset:         84
        .size:           4
        .value_kind:     hidden_block_count_y
      - .offset:         88
        .size:           4
        .value_kind:     hidden_block_count_z
      - .offset:         92
        .size:           2
        .value_kind:     hidden_group_size_x
      - .offset:         94
        .size:           2
        .value_kind:     hidden_group_size_y
      - .offset:         96
        .size:           2
        .value_kind:     hidden_group_size_z
      - .offset:         98
        .size:           2
        .value_kind:     hidden_remainder_x
      - .offset:         100
        .size:           2
        .value_kind:     hidden_remainder_y
      - .offset:         102
        .size:           2
        .value_kind:     hidden_remainder_z
      - .offset:         120
        .size:           8
        .value_kind:     hidden_global_offset_x
      - .offset:         128
        .size:           8
        .value_kind:     hidden_global_offset_y
      - .offset:         136
        .size:           8
        .value_kind:     hidden_global_offset_z
      - .offset:         144
        .size:           2
        .value_kind:     hidden_grid_dims
    .group_segment_fixed_size: 0
    .kernarg_segment_align: 8
    .kernarg_segment_size: 336
    .language:       OpenCL C
    .language_version:
      - 2
      - 0
    .max_flat_workgroup_size: 96
    .name:           _ZL33flash_attn_stream_k_fixup_generalILi96ELi2ELi8EEvPfPK15HIP_vector_typeIfLj2EEiiiiS1_IjLj3EES5_S5_S5_
    .private_segment_fixed_size: 0
    .sgpr_count:     34
    .sgpr_spill_count: 0
    .symbol:         _ZL33flash_attn_stream_k_fixup_generalILi96ELi2ELi8EEvPfPK15HIP_vector_typeIfLj2EEiiiiS1_IjLj3EES5_S5_S5_.kd
    .uniform_work_group_size: 1
    .uses_dynamic_stack: false
    .vgpr_count:     19
    .vgpr_spill_count: 0
    .wavefront_size: 32
    .workgroup_processor_mode: 1
  - .args:
      - .address_space:  global
        .offset:         0
        .size:           8
        .value_kind:     global_buffer
      - .address_space:  global
        .offset:         8
        .size:           8
        .value_kind:     global_buffer
      - .address_space:  global
        .offset:         16
        .size:           8
        .value_kind:     global_buffer
      - .offset:         24
        .size:           4
        .value_kind:     by_value
      - .offset:         32
        .size:           4
        .value_kind:     hidden_block_count_x
      - .offset:         36
        .size:           4
        .value_kind:     hidden_block_count_y
      - .offset:         40
        .size:           4
        .value_kind:     hidden_block_count_z
      - .offset:         44
        .size:           2
        .value_kind:     hidden_group_size_x
      - .offset:         46
        .size:           2
        .value_kind:     hidden_group_size_y
      - .offset:         48
        .size:           2
        .value_kind:     hidden_group_size_z
      - .offset:         50
        .size:           2
        .value_kind:     hidden_remainder_x
      - .offset:         52
        .size:           2
        .value_kind:     hidden_remainder_y
      - .offset:         54
        .size:           2
        .value_kind:     hidden_remainder_z
      - .offset:         72
        .size:           8
        .value_kind:     hidden_global_offset_x
      - .offset:         80
        .size:           8
        .value_kind:     hidden_global_offset_y
      - .offset:         88
        .size:           8
        .value_kind:     hidden_global_offset_z
      - .offset:         96
        .size:           2
        .value_kind:     hidden_grid_dims
      - .offset:         152
        .size:           4
        .value_kind:     hidden_dynamic_lds_size
    .group_segment_fixed_size: 0
    .kernarg_segment_align: 8
    .kernarg_segment_size: 288
    .language:       OpenCL C
    .language_version:
      - 2
      - 0
    .max_flat_workgroup_size: 96
    .name:           _ZL26flash_attn_combine_resultsILi96EEvPKfPK15HIP_vector_typeIfLj2EEPfi
    .private_segment_fixed_size: 0
    .sgpr_count:     22
    .sgpr_spill_count: 0
    .symbol:         _ZL26flash_attn_combine_resultsILi96EEvPKfPK15HIP_vector_typeIfLj2EEPfi.kd
    .uniform_work_group_size: 1
    .uses_dynamic_stack: false
    .vgpr_count:     57
    .vgpr_spill_count: 0
    .wavefront_size: 32
    .workgroup_processor_mode: 1
  - .args:
      - .address_space:  global
        .offset:         0
        .size:           8
        .value_kind:     global_buffer
      - .address_space:  global
        .offset:         8
        .size:           8
        .value_kind:     global_buffer
      - .address_space:  global
        .offset:         16
        .size:           8
        .value_kind:     global_buffer
      - .address_space:  global
        .offset:         24
        .size:           8
        .value_kind:     global_buffer
      - .address_space:  global
        .offset:         32
        .size:           8
        .value_kind:     global_buffer
      - .address_space:  global
        .offset:         40
        .size:           8
        .value_kind:     global_buffer
      - .address_space:  global
        .offset:         48
        .size:           8
        .value_kind:     global_buffer
      - .address_space:  global
        .offset:         56
        .size:           8
        .value_kind:     global_buffer
      - .offset:         64
        .size:           4
        .value_kind:     by_value
      - .offset:         68
        .size:           4
        .value_kind:     by_value
      - .offset:         72
        .size:           4
        .value_kind:     by_value
      - .offset:         76
        .size:           4
        .value_kind:     by_value
      - .offset:         80
        .size:           4
        .value_kind:     by_value
      - .offset:         84
        .size:           4
        .value_kind:     by_value
      - .offset:         88
        .size:           4
        .value_kind:     by_value
      - .offset:         92
        .size:           12
        .value_kind:     by_value
      - .offset:         104
        .size:           4
        .value_kind:     by_value
      - .offset:         108
        .size:           4
        .value_kind:     by_value
      - .offset:         112
        .size:           4
        .value_kind:     by_value
      - .offset:         116
        .size:           4
        .value_kind:     by_value
      - .offset:         120
        .size:           4
        .value_kind:     by_value
      - .offset:         124
        .size:           4
        .value_kind:     by_value
      - .offset:         128
        .size:           4
        .value_kind:     by_value
      - .offset:         132
        .size:           4
        .value_kind:     by_value
      - .offset:         136
        .size:           4
        .value_kind:     by_value
      - .offset:         140
        .size:           4
        .value_kind:     by_value
      - .offset:         144
        .size:           4
        .value_kind:     by_value
      - .offset:         152
        .size:           8
        .value_kind:     by_value
      - .offset:         160
        .size:           4
        .value_kind:     by_value
      - .offset:         164
        .size:           4
        .value_kind:     by_value
      - .offset:         168
        .size:           8
        .value_kind:     by_value
      - .offset:         176
        .size:           4
        .value_kind:     by_value
      - .offset:         180
        .size:           4
        .value_kind:     by_value
      - .offset:         184
        .size:           4
        .value_kind:     by_value
      - .offset:         188
        .size:           4
        .value_kind:     by_value
      - .offset:         192
        .size:           4
        .value_kind:     by_value
      - .offset:         200
        .size:           8
        .value_kind:     by_value
      - .offset:         208
        .size:           4
        .value_kind:     hidden_block_count_x
      - .offset:         212
        .size:           4
        .value_kind:     hidden_block_count_y
      - .offset:         216
        .size:           4
        .value_kind:     hidden_block_count_z
      - .offset:         220
        .size:           2
        .value_kind:     hidden_group_size_x
      - .offset:         222
        .size:           2
        .value_kind:     hidden_group_size_y
      - .offset:         224
        .size:           2
        .value_kind:     hidden_group_size_z
      - .offset:         226
        .size:           2
        .value_kind:     hidden_remainder_x
      - .offset:         228
        .size:           2
        .value_kind:     hidden_remainder_y
      - .offset:         230
        .size:           2
        .value_kind:     hidden_remainder_z
      - .offset:         248
        .size:           8
        .value_kind:     hidden_global_offset_x
      - .offset:         256
        .size:           8
        .value_kind:     hidden_global_offset_y
      - .offset:         264
        .size:           8
        .value_kind:     hidden_global_offset_z
      - .offset:         272
        .size:           2
        .value_kind:     hidden_grid_dims
      - .offset:         328
        .size:           4
        .value_kind:     hidden_dynamic_lds_size
    .group_segment_fixed_size: 0
    .kernarg_segment_align: 8
    .kernarg_segment_size: 464
    .language:       OpenCL C
    .language_version:
      - 2
      - 0
    .max_flat_workgroup_size: 64
    .name:           _ZL18flash_attn_ext_f16ILi112ELi112ELi2ELi8ELb0ELb0EEvPKcS1_S1_S1_S1_PKiPfP15HIP_vector_typeIfLj2EEffffjfiS5_IjLj3EEiiiiiiiiiiiliiliiiiil
    .private_segment_fixed_size: 1084
    .sgpr_count:     107
    .sgpr_spill_count: 0
    .symbol:         _ZL18flash_attn_ext_f16ILi112ELi112ELi2ELi8ELb0ELb0EEvPKcS1_S1_S1_S1_PKiPfP15HIP_vector_typeIfLj2EEffffjfiS5_IjLj3EEiiiiiiiiiiiliiliiiiil.kd
    .uniform_work_group_size: 1
    .uses_dynamic_stack: false
    .vgpr_count:     256
    .vgpr_spill_count: 273
    .wavefront_size: 32
    .workgroup_processor_mode: 1
  - .args:
      - .address_space:  global
        .offset:         0
        .size:           8
        .value_kind:     global_buffer
      - .address_space:  global
        .offset:         8
        .size:           8
        .value_kind:     global_buffer
      - .address_space:  global
        .offset:         16
        .size:           8
        .value_kind:     global_buffer
      - .address_space:  global
        .offset:         24
        .size:           8
        .value_kind:     global_buffer
      - .address_space:  global
        .offset:         32
        .size:           8
        .value_kind:     global_buffer
      - .address_space:  global
        .offset:         40
        .size:           8
        .value_kind:     global_buffer
      - .address_space:  global
        .offset:         48
        .size:           8
        .value_kind:     global_buffer
      - .address_space:  global
        .offset:         56
        .size:           8
        .value_kind:     global_buffer
      - .offset:         64
        .size:           4
        .value_kind:     by_value
      - .offset:         68
        .size:           4
        .value_kind:     by_value
      - .offset:         72
        .size:           4
        .value_kind:     by_value
      - .offset:         76
        .size:           4
        .value_kind:     by_value
      - .offset:         80
        .size:           4
        .value_kind:     by_value
      - .offset:         84
        .size:           4
        .value_kind:     by_value
      - .offset:         88
        .size:           4
        .value_kind:     by_value
      - .offset:         92
        .size:           12
        .value_kind:     by_value
      - .offset:         104
        .size:           4
        .value_kind:     by_value
      - .offset:         108
        .size:           4
        .value_kind:     by_value
      - .offset:         112
        .size:           4
        .value_kind:     by_value
      - .offset:         116
        .size:           4
        .value_kind:     by_value
      - .offset:         120
        .size:           4
        .value_kind:     by_value
      - .offset:         124
        .size:           4
        .value_kind:     by_value
      - .offset:         128
        .size:           4
        .value_kind:     by_value
      - .offset:         132
        .size:           4
        .value_kind:     by_value
      - .offset:         136
        .size:           4
        .value_kind:     by_value
      - .offset:         140
        .size:           4
        .value_kind:     by_value
      - .offset:         144
        .size:           4
        .value_kind:     by_value
      - .offset:         152
        .size:           8
        .value_kind:     by_value
      - .offset:         160
        .size:           4
        .value_kind:     by_value
      - .offset:         164
        .size:           4
        .value_kind:     by_value
      - .offset:         168
        .size:           8
        .value_kind:     by_value
      - .offset:         176
        .size:           4
        .value_kind:     by_value
      - .offset:         180
        .size:           4
        .value_kind:     by_value
      - .offset:         184
        .size:           4
        .value_kind:     by_value
      - .offset:         188
        .size:           4
        .value_kind:     by_value
      - .offset:         192
        .size:           4
        .value_kind:     by_value
      - .offset:         200
        .size:           8
        .value_kind:     by_value
      - .offset:         208
        .size:           4
        .value_kind:     hidden_block_count_x
      - .offset:         212
        .size:           4
        .value_kind:     hidden_block_count_y
      - .offset:         216
        .size:           4
        .value_kind:     hidden_block_count_z
      - .offset:         220
        .size:           2
        .value_kind:     hidden_group_size_x
      - .offset:         222
        .size:           2
        .value_kind:     hidden_group_size_y
      - .offset:         224
        .size:           2
        .value_kind:     hidden_group_size_z
      - .offset:         226
        .size:           2
        .value_kind:     hidden_remainder_x
      - .offset:         228
        .size:           2
        .value_kind:     hidden_remainder_y
      - .offset:         230
        .size:           2
        .value_kind:     hidden_remainder_z
      - .offset:         248
        .size:           8
        .value_kind:     hidden_global_offset_x
      - .offset:         256
        .size:           8
        .value_kind:     hidden_global_offset_y
      - .offset:         264
        .size:           8
        .value_kind:     hidden_global_offset_z
      - .offset:         272
        .size:           2
        .value_kind:     hidden_grid_dims
      - .offset:         288
        .size:           8
        .value_kind:     hidden_hostcall_buffer
    .group_segment_fixed_size: 0
    .kernarg_segment_align: 8
    .kernarg_segment_size: 464
    .language:       OpenCL C
    .language_version:
      - 2
      - 0
    .max_flat_workgroup_size: 64
    .name:           _ZL18flash_attn_ext_f16ILi112ELi112ELi2ELi8ELb1ELb0EEvPKcS1_S1_S1_S1_PKiPfP15HIP_vector_typeIfLj2EEffffjfiS5_IjLj3EEiiiiiiiiiiiliiliiiiil
    .private_segment_fixed_size: 16
    .sgpr_count:     36
    .sgpr_spill_count: 0
    .symbol:         _ZL18flash_attn_ext_f16ILi112ELi112ELi2ELi8ELb1ELb0EEvPKcS1_S1_S1_S1_PKiPfP15HIP_vector_typeIfLj2EEffffjfiS5_IjLj3EEiiiiiiiiiiiliiliiiiil.kd
    .uniform_work_group_size: 1
    .uses_dynamic_stack: false
    .vgpr_count:     37
    .vgpr_spill_count: 0
    .wavefront_size: 32
    .workgroup_processor_mode: 1
  - .args:
      - .address_space:  global
        .offset:         0
        .size:           8
        .value_kind:     global_buffer
      - .address_space:  global
        .offset:         8
        .size:           8
        .value_kind:     global_buffer
      - .offset:         16
        .size:           4
        .value_kind:     by_value
      - .offset:         20
        .size:           4
        .value_kind:     by_value
      - .offset:         24
        .size:           4
        .value_kind:     by_value
      - .offset:         28
        .size:           4
        .value_kind:     by_value
      - .offset:         32
        .size:           4
        .value_kind:     by_value
      - .offset:         36
        .size:           4
        .value_kind:     by_value
      - .offset:         40
        .size:           12
        .value_kind:     by_value
      - .offset:         52
        .size:           12
        .value_kind:     by_value
      - .offset:         64
        .size:           12
        .value_kind:     by_value
    .group_segment_fixed_size: 0
    .kernarg_segment_align: 8
    .kernarg_segment_size: 76
    .language:       OpenCL C
    .language_version:
      - 2
      - 0
    .max_flat_workgroup_size: 112
    .name:           _ZL33flash_attn_stream_k_fixup_uniformILi112ELi2ELi8EEvPfPK15HIP_vector_typeIfLj2EEiiiiiiS1_IjLj3EES5_S5_
    .private_segment_fixed_size: 0
    .sgpr_count:     22
    .sgpr_spill_count: 0
    .symbol:         _ZL33flash_attn_stream_k_fixup_uniformILi112ELi2ELi8EEvPfPK15HIP_vector_typeIfLj2EEiiiiiiS1_IjLj3EES5_S5_.kd
    .uniform_work_group_size: 1
    .uses_dynamic_stack: false
    .vgpr_count:     15
    .vgpr_spill_count: 0
    .wavefront_size: 32
    .workgroup_processor_mode: 1
  - .args:
      - .address_space:  global
        .offset:         0
        .size:           8
        .value_kind:     global_buffer
      - .address_space:  global
        .offset:         8
        .size:           8
        .value_kind:     global_buffer
      - .offset:         16
        .size:           4
        .value_kind:     by_value
      - .offset:         20
        .size:           4
        .value_kind:     by_value
      - .offset:         24
        .size:           4
        .value_kind:     by_value
      - .offset:         28
        .size:           4
        .value_kind:     by_value
      - .offset:         32
        .size:           12
        .value_kind:     by_value
      - .offset:         44
        .size:           12
        .value_kind:     by_value
      - .offset:         56
        .size:           12
        .value_kind:     by_value
      - .offset:         68
        .size:           12
        .value_kind:     by_value
      - .offset:         80
        .size:           4
        .value_kind:     hidden_block_count_x
      - .offset:         84
        .size:           4
        .value_kind:     hidden_block_count_y
      - .offset:         88
        .size:           4
        .value_kind:     hidden_block_count_z
      - .offset:         92
        .size:           2
        .value_kind:     hidden_group_size_x
      - .offset:         94
        .size:           2
        .value_kind:     hidden_group_size_y
      - .offset:         96
        .size:           2
        .value_kind:     hidden_group_size_z
      - .offset:         98
        .size:           2
        .value_kind:     hidden_remainder_x
      - .offset:         100
        .size:           2
        .value_kind:     hidden_remainder_y
      - .offset:         102
        .size:           2
        .value_kind:     hidden_remainder_z
      - .offset:         120
        .size:           8
        .value_kind:     hidden_global_offset_x
      - .offset:         128
        .size:           8
        .value_kind:     hidden_global_offset_y
      - .offset:         136
        .size:           8
        .value_kind:     hidden_global_offset_z
      - .offset:         144
        .size:           2
        .value_kind:     hidden_grid_dims
    .group_segment_fixed_size: 0
    .kernarg_segment_align: 8
    .kernarg_segment_size: 336
    .language:       OpenCL C
    .language_version:
      - 2
      - 0
    .max_flat_workgroup_size: 112
    .name:           _ZL33flash_attn_stream_k_fixup_generalILi112ELi2ELi8EEvPfPK15HIP_vector_typeIfLj2EEiiiiS1_IjLj3EES5_S5_S5_
    .private_segment_fixed_size: 0
    .sgpr_count:     34
    .sgpr_spill_count: 0
    .symbol:         _ZL33flash_attn_stream_k_fixup_generalILi112ELi2ELi8EEvPfPK15HIP_vector_typeIfLj2EEiiiiS1_IjLj3EES5_S5_S5_.kd
    .uniform_work_group_size: 1
    .uses_dynamic_stack: false
    .vgpr_count:     19
    .vgpr_spill_count: 0
    .wavefront_size: 32
    .workgroup_processor_mode: 1
  - .args:
      - .address_space:  global
        .offset:         0
        .size:           8
        .value_kind:     global_buffer
      - .address_space:  global
        .offset:         8
        .size:           8
        .value_kind:     global_buffer
      - .address_space:  global
        .offset:         16
        .size:           8
        .value_kind:     global_buffer
      - .offset:         24
        .size:           4
        .value_kind:     by_value
      - .offset:         32
        .size:           4
        .value_kind:     hidden_block_count_x
      - .offset:         36
        .size:           4
        .value_kind:     hidden_block_count_y
      - .offset:         40
        .size:           4
        .value_kind:     hidden_block_count_z
      - .offset:         44
        .size:           2
        .value_kind:     hidden_group_size_x
      - .offset:         46
        .size:           2
        .value_kind:     hidden_group_size_y
      - .offset:         48
        .size:           2
        .value_kind:     hidden_group_size_z
      - .offset:         50
        .size:           2
        .value_kind:     hidden_remainder_x
      - .offset:         52
        .size:           2
        .value_kind:     hidden_remainder_y
      - .offset:         54
        .size:           2
        .value_kind:     hidden_remainder_z
      - .offset:         72
        .size:           8
        .value_kind:     hidden_global_offset_x
      - .offset:         80
        .size:           8
        .value_kind:     hidden_global_offset_y
      - .offset:         88
        .size:           8
        .value_kind:     hidden_global_offset_z
      - .offset:         96
        .size:           2
        .value_kind:     hidden_grid_dims
      - .offset:         152
        .size:           4
        .value_kind:     hidden_dynamic_lds_size
    .group_segment_fixed_size: 0
    .kernarg_segment_align: 8
    .kernarg_segment_size: 288
    .language:       OpenCL C
    .language_version:
      - 2
      - 0
    .max_flat_workgroup_size: 112
    .name:           _ZL26flash_attn_combine_resultsILi112EEvPKfPK15HIP_vector_typeIfLj2EEPfi
    .private_segment_fixed_size: 0
    .sgpr_count:     22
    .sgpr_spill_count: 0
    .symbol:         _ZL26flash_attn_combine_resultsILi112EEvPKfPK15HIP_vector_typeIfLj2EEPfi.kd
    .uniform_work_group_size: 1
    .uses_dynamic_stack: false
    .vgpr_count:     57
    .vgpr_spill_count: 0
    .wavefront_size: 32
    .workgroup_processor_mode: 1
  - .args:
      - .address_space:  global
        .offset:         0
        .size:           8
        .value_kind:     global_buffer
      - .address_space:  global
        .offset:         8
        .size:           8
        .value_kind:     global_buffer
      - .address_space:  global
        .offset:         16
        .size:           8
        .value_kind:     global_buffer
      - .address_space:  global
        .offset:         24
        .size:           8
        .value_kind:     global_buffer
      - .address_space:  global
        .offset:         32
        .size:           8
        .value_kind:     global_buffer
      - .address_space:  global
        .offset:         40
        .size:           8
        .value_kind:     global_buffer
      - .address_space:  global
        .offset:         48
        .size:           8
        .value_kind:     global_buffer
      - .address_space:  global
        .offset:         56
        .size:           8
        .value_kind:     global_buffer
      - .offset:         64
        .size:           4
        .value_kind:     by_value
      - .offset:         68
        .size:           4
        .value_kind:     by_value
      - .offset:         72
        .size:           4
        .value_kind:     by_value
      - .offset:         76
        .size:           4
        .value_kind:     by_value
      - .offset:         80
        .size:           4
        .value_kind:     by_value
      - .offset:         84
        .size:           4
        .value_kind:     by_value
      - .offset:         88
        .size:           4
        .value_kind:     by_value
      - .offset:         92
        .size:           12
        .value_kind:     by_value
      - .offset:         104
        .size:           4
        .value_kind:     by_value
      - .offset:         108
        .size:           4
        .value_kind:     by_value
      - .offset:         112
        .size:           4
        .value_kind:     by_value
      - .offset:         116
        .size:           4
        .value_kind:     by_value
      - .offset:         120
        .size:           4
        .value_kind:     by_value
      - .offset:         124
        .size:           4
        .value_kind:     by_value
      - .offset:         128
        .size:           4
        .value_kind:     by_value
      - .offset:         132
        .size:           4
        .value_kind:     by_value
      - .offset:         136
        .size:           4
        .value_kind:     by_value
      - .offset:         140
        .size:           4
        .value_kind:     by_value
      - .offset:         144
        .size:           4
        .value_kind:     by_value
      - .offset:         152
        .size:           8
        .value_kind:     by_value
      - .offset:         160
        .size:           4
        .value_kind:     by_value
      - .offset:         164
        .size:           4
        .value_kind:     by_value
      - .offset:         168
        .size:           8
        .value_kind:     by_value
      - .offset:         176
        .size:           4
        .value_kind:     by_value
      - .offset:         180
        .size:           4
        .value_kind:     by_value
      - .offset:         184
        .size:           4
        .value_kind:     by_value
      - .offset:         188
        .size:           4
        .value_kind:     by_value
      - .offset:         192
        .size:           4
        .value_kind:     by_value
      - .offset:         200
        .size:           8
        .value_kind:     by_value
      - .offset:         208
        .size:           4
        .value_kind:     hidden_block_count_x
      - .offset:         212
        .size:           4
        .value_kind:     hidden_block_count_y
      - .offset:         216
        .size:           4
        .value_kind:     hidden_block_count_z
      - .offset:         220
        .size:           2
        .value_kind:     hidden_group_size_x
      - .offset:         222
        .size:           2
        .value_kind:     hidden_group_size_y
      - .offset:         224
        .size:           2
        .value_kind:     hidden_group_size_z
      - .offset:         226
        .size:           2
        .value_kind:     hidden_remainder_x
      - .offset:         228
        .size:           2
        .value_kind:     hidden_remainder_y
      - .offset:         230
        .size:           2
        .value_kind:     hidden_remainder_z
      - .offset:         248
        .size:           8
        .value_kind:     hidden_global_offset_x
      - .offset:         256
        .size:           8
        .value_kind:     hidden_global_offset_y
      - .offset:         264
        .size:           8
        .value_kind:     hidden_global_offset_z
      - .offset:         272
        .size:           2
        .value_kind:     hidden_grid_dims
      - .offset:         328
        .size:           4
        .value_kind:     hidden_dynamic_lds_size
    .group_segment_fixed_size: 0
    .kernarg_segment_align: 8
    .kernarg_segment_size: 464
    .language:       OpenCL C
    .language_version:
      - 2
      - 0
    .max_flat_workgroup_size: 64
    .name:           _ZL18flash_attn_ext_f16ILi128ELi128ELi2ELi8ELb0ELb0EEvPKcS1_S1_S1_S1_PKiPfP15HIP_vector_typeIfLj2EEffffjfiS5_IjLj3EEiiiiiiiiiiiliiliiiiil
    .private_segment_fixed_size: 784
    .sgpr_count:     107
    .sgpr_spill_count: 0
    .symbol:         _ZL18flash_attn_ext_f16ILi128ELi128ELi2ELi8ELb0ELb0EEvPKcS1_S1_S1_S1_PKiPfP15HIP_vector_typeIfLj2EEffffjfiS5_IjLj3EEiiiiiiiiiiiliiliiiiil.kd
    .uniform_work_group_size: 1
    .uses_dynamic_stack: false
    .vgpr_count:     256
    .vgpr_spill_count: 195
    .wavefront_size: 32
    .workgroup_processor_mode: 1
  - .args:
      - .address_space:  global
        .offset:         0
        .size:           8
        .value_kind:     global_buffer
      - .address_space:  global
        .offset:         8
        .size:           8
        .value_kind:     global_buffer
      - .address_space:  global
        .offset:         16
        .size:           8
        .value_kind:     global_buffer
      - .address_space:  global
        .offset:         24
        .size:           8
        .value_kind:     global_buffer
      - .address_space:  global
        .offset:         32
        .size:           8
        .value_kind:     global_buffer
      - .address_space:  global
        .offset:         40
        .size:           8
        .value_kind:     global_buffer
      - .address_space:  global
        .offset:         48
        .size:           8
        .value_kind:     global_buffer
      - .address_space:  global
        .offset:         56
        .size:           8
        .value_kind:     global_buffer
      - .offset:         64
        .size:           4
        .value_kind:     by_value
      - .offset:         68
        .size:           4
        .value_kind:     by_value
      - .offset:         72
        .size:           4
        .value_kind:     by_value
      - .offset:         76
        .size:           4
        .value_kind:     by_value
      - .offset:         80
        .size:           4
        .value_kind:     by_value
      - .offset:         84
        .size:           4
        .value_kind:     by_value
      - .offset:         88
        .size:           4
        .value_kind:     by_value
      - .offset:         92
        .size:           12
        .value_kind:     by_value
      - .offset:         104
        .size:           4
        .value_kind:     by_value
      - .offset:         108
        .size:           4
        .value_kind:     by_value
      - .offset:         112
        .size:           4
        .value_kind:     by_value
      - .offset:         116
        .size:           4
        .value_kind:     by_value
      - .offset:         120
        .size:           4
        .value_kind:     by_value
      - .offset:         124
        .size:           4
        .value_kind:     by_value
      - .offset:         128
        .size:           4
        .value_kind:     by_value
      - .offset:         132
        .size:           4
        .value_kind:     by_value
      - .offset:         136
        .size:           4
        .value_kind:     by_value
      - .offset:         140
        .size:           4
        .value_kind:     by_value
      - .offset:         144
        .size:           4
        .value_kind:     by_value
      - .offset:         152
        .size:           8
        .value_kind:     by_value
      - .offset:         160
        .size:           4
        .value_kind:     by_value
      - .offset:         164
        .size:           4
        .value_kind:     by_value
      - .offset:         168
        .size:           8
        .value_kind:     by_value
      - .offset:         176
        .size:           4
        .value_kind:     by_value
      - .offset:         180
        .size:           4
        .value_kind:     by_value
      - .offset:         184
        .size:           4
        .value_kind:     by_value
      - .offset:         188
        .size:           4
        .value_kind:     by_value
      - .offset:         192
        .size:           4
        .value_kind:     by_value
      - .offset:         200
        .size:           8
        .value_kind:     by_value
      - .offset:         208
        .size:           4
        .value_kind:     hidden_block_count_x
      - .offset:         212
        .size:           4
        .value_kind:     hidden_block_count_y
      - .offset:         216
        .size:           4
        .value_kind:     hidden_block_count_z
      - .offset:         220
        .size:           2
        .value_kind:     hidden_group_size_x
      - .offset:         222
        .size:           2
        .value_kind:     hidden_group_size_y
      - .offset:         224
        .size:           2
        .value_kind:     hidden_group_size_z
      - .offset:         226
        .size:           2
        .value_kind:     hidden_remainder_x
      - .offset:         228
        .size:           2
        .value_kind:     hidden_remainder_y
      - .offset:         230
        .size:           2
        .value_kind:     hidden_remainder_z
      - .offset:         248
        .size:           8
        .value_kind:     hidden_global_offset_x
      - .offset:         256
        .size:           8
        .value_kind:     hidden_global_offset_y
      - .offset:         264
        .size:           8
        .value_kind:     hidden_global_offset_z
      - .offset:         272
        .size:           2
        .value_kind:     hidden_grid_dims
      - .offset:         328
        .size:           4
        .value_kind:     hidden_dynamic_lds_size
    .group_segment_fixed_size: 0
    .kernarg_segment_align: 8
    .kernarg_segment_size: 464
    .language:       OpenCL C
    .language_version:
      - 2
      - 0
    .max_flat_workgroup_size: 64
    .name:           _ZL18flash_attn_ext_f16ILi128ELi128ELi2ELi8ELb1ELb0EEvPKcS1_S1_S1_S1_PKiPfP15HIP_vector_typeIfLj2EEffffjfiS5_IjLj3EEiiiiiiiiiiiliiliiiiil
    .private_segment_fixed_size: 788
    .sgpr_count:     107
    .sgpr_spill_count: 2
    .symbol:         _ZL18flash_attn_ext_f16ILi128ELi128ELi2ELi8ELb1ELb0EEvPKcS1_S1_S1_S1_PKiPfP15HIP_vector_typeIfLj2EEffffjfiS5_IjLj3EEiiiiiiiiiiiliiliiiiil.kd
    .uniform_work_group_size: 1
    .uses_dynamic_stack: false
    .vgpr_count:     256
    .vgpr_spill_count: 196
    .wavefront_size: 32
    .workgroup_processor_mode: 1
  - .args:
      - .address_space:  global
        .offset:         0
        .size:           8
        .value_kind:     global_buffer
      - .address_space:  global
        .offset:         8
        .size:           8
        .value_kind:     global_buffer
      - .offset:         16
        .size:           4
        .value_kind:     by_value
      - .offset:         20
        .size:           4
        .value_kind:     by_value
      - .offset:         24
        .size:           4
        .value_kind:     by_value
      - .offset:         28
        .size:           4
        .value_kind:     by_value
      - .offset:         32
        .size:           4
        .value_kind:     by_value
      - .offset:         36
        .size:           4
        .value_kind:     by_value
      - .offset:         40
        .size:           12
        .value_kind:     by_value
      - .offset:         52
        .size:           12
        .value_kind:     by_value
      - .offset:         64
        .size:           12
        .value_kind:     by_value
    .group_segment_fixed_size: 0
    .kernarg_segment_align: 8
    .kernarg_segment_size: 76
    .language:       OpenCL C
    .language_version:
      - 2
      - 0
    .max_flat_workgroup_size: 128
    .name:           _ZL33flash_attn_stream_k_fixup_uniformILi128ELi2ELi8EEvPfPK15HIP_vector_typeIfLj2EEiiiiiiS1_IjLj3EES5_S5_
    .private_segment_fixed_size: 0
    .sgpr_count:     22
    .sgpr_spill_count: 0
    .symbol:         _ZL33flash_attn_stream_k_fixup_uniformILi128ELi2ELi8EEvPfPK15HIP_vector_typeIfLj2EEiiiiiiS1_IjLj3EES5_S5_.kd
    .uniform_work_group_size: 1
    .uses_dynamic_stack: false
    .vgpr_count:     15
    .vgpr_spill_count: 0
    .wavefront_size: 32
    .workgroup_processor_mode: 1
  - .args:
      - .address_space:  global
        .offset:         0
        .size:           8
        .value_kind:     global_buffer
      - .address_space:  global
        .offset:         8
        .size:           8
        .value_kind:     global_buffer
      - .offset:         16
        .size:           4
        .value_kind:     by_value
      - .offset:         20
        .size:           4
        .value_kind:     by_value
      - .offset:         24
        .size:           4
        .value_kind:     by_value
      - .offset:         28
        .size:           4
        .value_kind:     by_value
      - .offset:         32
        .size:           12
        .value_kind:     by_value
      - .offset:         44
        .size:           12
        .value_kind:     by_value
      - .offset:         56
        .size:           12
        .value_kind:     by_value
      - .offset:         68
        .size:           12
        .value_kind:     by_value
      - .offset:         80
        .size:           4
        .value_kind:     hidden_block_count_x
      - .offset:         84
        .size:           4
        .value_kind:     hidden_block_count_y
      - .offset:         88
        .size:           4
        .value_kind:     hidden_block_count_z
      - .offset:         92
        .size:           2
        .value_kind:     hidden_group_size_x
      - .offset:         94
        .size:           2
        .value_kind:     hidden_group_size_y
      - .offset:         96
        .size:           2
        .value_kind:     hidden_group_size_z
      - .offset:         98
        .size:           2
        .value_kind:     hidden_remainder_x
      - .offset:         100
        .size:           2
        .value_kind:     hidden_remainder_y
      - .offset:         102
        .size:           2
        .value_kind:     hidden_remainder_z
      - .offset:         120
        .size:           8
        .value_kind:     hidden_global_offset_x
      - .offset:         128
        .size:           8
        .value_kind:     hidden_global_offset_y
      - .offset:         136
        .size:           8
        .value_kind:     hidden_global_offset_z
      - .offset:         144
        .size:           2
        .value_kind:     hidden_grid_dims
    .group_segment_fixed_size: 0
    .kernarg_segment_align: 8
    .kernarg_segment_size: 336
    .language:       OpenCL C
    .language_version:
      - 2
      - 0
    .max_flat_workgroup_size: 128
    .name:           _ZL33flash_attn_stream_k_fixup_generalILi128ELi2ELi8EEvPfPK15HIP_vector_typeIfLj2EEiiiiS1_IjLj3EES5_S5_S5_
    .private_segment_fixed_size: 0
    .sgpr_count:     34
    .sgpr_spill_count: 0
    .symbol:         _ZL33flash_attn_stream_k_fixup_generalILi128ELi2ELi8EEvPfPK15HIP_vector_typeIfLj2EEiiiiS1_IjLj3EES5_S5_S5_.kd
    .uniform_work_group_size: 1
    .uses_dynamic_stack: false
    .vgpr_count:     19
    .vgpr_spill_count: 0
    .wavefront_size: 32
    .workgroup_processor_mode: 1
  - .args:
      - .address_space:  global
        .offset:         0
        .size:           8
        .value_kind:     global_buffer
      - .address_space:  global
        .offset:         8
        .size:           8
        .value_kind:     global_buffer
      - .address_space:  global
        .offset:         16
        .size:           8
        .value_kind:     global_buffer
      - .offset:         24
        .size:           4
        .value_kind:     by_value
      - .offset:         32
        .size:           4
        .value_kind:     hidden_block_count_x
      - .offset:         36
        .size:           4
        .value_kind:     hidden_block_count_y
      - .offset:         40
        .size:           4
        .value_kind:     hidden_block_count_z
      - .offset:         44
        .size:           2
        .value_kind:     hidden_group_size_x
      - .offset:         46
        .size:           2
        .value_kind:     hidden_group_size_y
      - .offset:         48
        .size:           2
        .value_kind:     hidden_group_size_z
      - .offset:         50
        .size:           2
        .value_kind:     hidden_remainder_x
      - .offset:         52
        .size:           2
        .value_kind:     hidden_remainder_y
      - .offset:         54
        .size:           2
        .value_kind:     hidden_remainder_z
      - .offset:         72
        .size:           8
        .value_kind:     hidden_global_offset_x
      - .offset:         80
        .size:           8
        .value_kind:     hidden_global_offset_y
      - .offset:         88
        .size:           8
        .value_kind:     hidden_global_offset_z
      - .offset:         96
        .size:           2
        .value_kind:     hidden_grid_dims
      - .offset:         152
        .size:           4
        .value_kind:     hidden_dynamic_lds_size
    .group_segment_fixed_size: 0
    .kernarg_segment_align: 8
    .kernarg_segment_size: 288
    .language:       OpenCL C
    .language_version:
      - 2
      - 0
    .max_flat_workgroup_size: 128
    .name:           _ZL26flash_attn_combine_resultsILi128EEvPKfPK15HIP_vector_typeIfLj2EEPfi
    .private_segment_fixed_size: 0
    .sgpr_count:     18
    .sgpr_spill_count: 0
    .symbol:         _ZL26flash_attn_combine_resultsILi128EEvPKfPK15HIP_vector_typeIfLj2EEPfi.kd
    .uniform_work_group_size: 1
    .uses_dynamic_stack: false
    .vgpr_count:     55
    .vgpr_spill_count: 0
    .wavefront_size: 32
    .workgroup_processor_mode: 1
  - .args:
      - .address_space:  global
        .offset:         0
        .size:           8
        .value_kind:     global_buffer
      - .address_space:  global
        .offset:         8
        .size:           8
        .value_kind:     global_buffer
      - .address_space:  global
        .offset:         16
        .size:           8
        .value_kind:     global_buffer
      - .address_space:  global
        .offset:         24
        .size:           8
        .value_kind:     global_buffer
      - .address_space:  global
        .offset:         32
        .size:           8
        .value_kind:     global_buffer
      - .address_space:  global
        .offset:         40
        .size:           8
        .value_kind:     global_buffer
      - .address_space:  global
        .offset:         48
        .size:           8
        .value_kind:     global_buffer
      - .address_space:  global
        .offset:         56
        .size:           8
        .value_kind:     global_buffer
      - .offset:         64
        .size:           4
        .value_kind:     by_value
      - .offset:         68
        .size:           4
        .value_kind:     by_value
      - .offset:         72
        .size:           4
        .value_kind:     by_value
      - .offset:         76
        .size:           4
        .value_kind:     by_value
      - .offset:         80
        .size:           4
        .value_kind:     by_value
      - .offset:         84
        .size:           4
        .value_kind:     by_value
      - .offset:         88
        .size:           4
        .value_kind:     by_value
      - .offset:         92
        .size:           12
        .value_kind:     by_value
      - .offset:         104
        .size:           4
        .value_kind:     by_value
      - .offset:         108
        .size:           4
        .value_kind:     by_value
      - .offset:         112
        .size:           4
        .value_kind:     by_value
      - .offset:         116
        .size:           4
        .value_kind:     by_value
      - .offset:         120
        .size:           4
        .value_kind:     by_value
      - .offset:         124
        .size:           4
        .value_kind:     by_value
      - .offset:         128
        .size:           4
        .value_kind:     by_value
      - .offset:         132
        .size:           4
        .value_kind:     by_value
      - .offset:         136
        .size:           4
        .value_kind:     by_value
      - .offset:         140
        .size:           4
        .value_kind:     by_value
      - .offset:         144
        .size:           4
        .value_kind:     by_value
      - .offset:         152
        .size:           8
        .value_kind:     by_value
      - .offset:         160
        .size:           4
        .value_kind:     by_value
      - .offset:         164
        .size:           4
        .value_kind:     by_value
      - .offset:         168
        .size:           8
        .value_kind:     by_value
      - .offset:         176
        .size:           4
        .value_kind:     by_value
      - .offset:         180
        .size:           4
        .value_kind:     by_value
      - .offset:         184
        .size:           4
        .value_kind:     by_value
      - .offset:         188
        .size:           4
        .value_kind:     by_value
      - .offset:         192
        .size:           4
        .value_kind:     by_value
      - .offset:         200
        .size:           8
        .value_kind:     by_value
      - .offset:         208
        .size:           4
        .value_kind:     hidden_block_count_x
      - .offset:         212
        .size:           4
        .value_kind:     hidden_block_count_y
      - .offset:         216
        .size:           4
        .value_kind:     hidden_block_count_z
      - .offset:         220
        .size:           2
        .value_kind:     hidden_group_size_x
      - .offset:         222
        .size:           2
        .value_kind:     hidden_group_size_y
      - .offset:         224
        .size:           2
        .value_kind:     hidden_group_size_z
      - .offset:         226
        .size:           2
        .value_kind:     hidden_remainder_x
      - .offset:         228
        .size:           2
        .value_kind:     hidden_remainder_y
      - .offset:         230
        .size:           2
        .value_kind:     hidden_remainder_z
      - .offset:         248
        .size:           8
        .value_kind:     hidden_global_offset_x
      - .offset:         256
        .size:           8
        .value_kind:     hidden_global_offset_y
      - .offset:         264
        .size:           8
        .value_kind:     hidden_global_offset_z
      - .offset:         272
        .size:           2
        .value_kind:     hidden_grid_dims
      - .offset:         288
        .size:           8
        .value_kind:     hidden_hostcall_buffer
    .group_segment_fixed_size: 0
    .kernarg_segment_align: 8
    .kernarg_segment_size: 464
    .language:       OpenCL C
    .language_version:
      - 2
      - 0
    .max_flat_workgroup_size: 64
    .name:           _ZL18flash_attn_ext_f16ILi192ELi128ELi2ELi8ELb0ELb0EEvPKcS1_S1_S1_S1_PKiPfP15HIP_vector_typeIfLj2EEffffjfiS5_IjLj3EEiiiiiiiiiiiliiliiiiil
    .private_segment_fixed_size: 16
    .sgpr_count:     36
    .sgpr_spill_count: 0
    .symbol:         _ZL18flash_attn_ext_f16ILi192ELi128ELi2ELi8ELb0ELb0EEvPKcS1_S1_S1_S1_PKiPfP15HIP_vector_typeIfLj2EEffffjfiS5_IjLj3EEiiiiiiiiiiiliiliiiiil.kd
    .uniform_work_group_size: 1
    .uses_dynamic_stack: false
    .vgpr_count:     37
    .vgpr_spill_count: 0
    .wavefront_size: 32
    .workgroup_processor_mode: 1
  - .args:
      - .address_space:  global
        .offset:         0
        .size:           8
        .value_kind:     global_buffer
      - .address_space:  global
        .offset:         8
        .size:           8
        .value_kind:     global_buffer
      - .address_space:  global
        .offset:         16
        .size:           8
        .value_kind:     global_buffer
      - .address_space:  global
        .offset:         24
        .size:           8
        .value_kind:     global_buffer
      - .address_space:  global
        .offset:         32
        .size:           8
        .value_kind:     global_buffer
      - .address_space:  global
        .offset:         40
        .size:           8
        .value_kind:     global_buffer
      - .address_space:  global
        .offset:         48
        .size:           8
        .value_kind:     global_buffer
      - .address_space:  global
        .offset:         56
        .size:           8
        .value_kind:     global_buffer
      - .offset:         64
        .size:           4
        .value_kind:     by_value
      - .offset:         68
        .size:           4
        .value_kind:     by_value
      - .offset:         72
        .size:           4
        .value_kind:     by_value
      - .offset:         76
        .size:           4
        .value_kind:     by_value
      - .offset:         80
        .size:           4
        .value_kind:     by_value
      - .offset:         84
        .size:           4
        .value_kind:     by_value
      - .offset:         88
        .size:           4
        .value_kind:     by_value
      - .offset:         92
        .size:           12
        .value_kind:     by_value
      - .offset:         104
        .size:           4
        .value_kind:     by_value
      - .offset:         108
        .size:           4
        .value_kind:     by_value
      - .offset:         112
        .size:           4
        .value_kind:     by_value
      - .offset:         116
        .size:           4
        .value_kind:     by_value
      - .offset:         120
        .size:           4
        .value_kind:     by_value
      - .offset:         124
        .size:           4
        .value_kind:     by_value
      - .offset:         128
        .size:           4
        .value_kind:     by_value
      - .offset:         132
        .size:           4
        .value_kind:     by_value
      - .offset:         136
        .size:           4
        .value_kind:     by_value
      - .offset:         140
        .size:           4
        .value_kind:     by_value
      - .offset:         144
        .size:           4
        .value_kind:     by_value
      - .offset:         152
        .size:           8
        .value_kind:     by_value
      - .offset:         160
        .size:           4
        .value_kind:     by_value
      - .offset:         164
        .size:           4
        .value_kind:     by_value
      - .offset:         168
        .size:           8
        .value_kind:     by_value
      - .offset:         176
        .size:           4
        .value_kind:     by_value
      - .offset:         180
        .size:           4
        .value_kind:     by_value
      - .offset:         184
        .size:           4
        .value_kind:     by_value
      - .offset:         188
        .size:           4
        .value_kind:     by_value
      - .offset:         192
        .size:           4
        .value_kind:     by_value
      - .offset:         200
        .size:           8
        .value_kind:     by_value
      - .offset:         208
        .size:           4
        .value_kind:     hidden_block_count_x
      - .offset:         212
        .size:           4
        .value_kind:     hidden_block_count_y
      - .offset:         216
        .size:           4
        .value_kind:     hidden_block_count_z
      - .offset:         220
        .size:           2
        .value_kind:     hidden_group_size_x
      - .offset:         222
        .size:           2
        .value_kind:     hidden_group_size_y
      - .offset:         224
        .size:           2
        .value_kind:     hidden_group_size_z
      - .offset:         226
        .size:           2
        .value_kind:     hidden_remainder_x
      - .offset:         228
        .size:           2
        .value_kind:     hidden_remainder_y
      - .offset:         230
        .size:           2
        .value_kind:     hidden_remainder_z
      - .offset:         248
        .size:           8
        .value_kind:     hidden_global_offset_x
      - .offset:         256
        .size:           8
        .value_kind:     hidden_global_offset_y
      - .offset:         264
        .size:           8
        .value_kind:     hidden_global_offset_z
      - .offset:         272
        .size:           2
        .value_kind:     hidden_grid_dims
      - .offset:         288
        .size:           8
        .value_kind:     hidden_hostcall_buffer
    .group_segment_fixed_size: 0
    .kernarg_segment_align: 8
    .kernarg_segment_size: 464
    .language:       OpenCL C
    .language_version:
      - 2
      - 0
    .max_flat_workgroup_size: 64
    .name:           _ZL18flash_attn_ext_f16ILi192ELi128ELi2ELi8ELb1ELb0EEvPKcS1_S1_S1_S1_PKiPfP15HIP_vector_typeIfLj2EEffffjfiS5_IjLj3EEiiiiiiiiiiiliiliiiiil
    .private_segment_fixed_size: 16
    .sgpr_count:     36
    .sgpr_spill_count: 0
    .symbol:         _ZL18flash_attn_ext_f16ILi192ELi128ELi2ELi8ELb1ELb0EEvPKcS1_S1_S1_S1_PKiPfP15HIP_vector_typeIfLj2EEffffjfiS5_IjLj3EEiiiiiiiiiiiliiliiiiil.kd
    .uniform_work_group_size: 1
    .uses_dynamic_stack: false
    .vgpr_count:     37
    .vgpr_spill_count: 0
    .wavefront_size: 32
    .workgroup_processor_mode: 1
  - .args:
      - .address_space:  global
        .offset:         0
        .size:           8
        .value_kind:     global_buffer
      - .address_space:  global
        .offset:         8
        .size:           8
        .value_kind:     global_buffer
      - .address_space:  global
        .offset:         16
        .size:           8
        .value_kind:     global_buffer
      - .address_space:  global
        .offset:         24
        .size:           8
        .value_kind:     global_buffer
      - .address_space:  global
        .offset:         32
        .size:           8
        .value_kind:     global_buffer
      - .address_space:  global
        .offset:         40
        .size:           8
        .value_kind:     global_buffer
      - .address_space:  global
        .offset:         48
        .size:           8
        .value_kind:     global_buffer
      - .address_space:  global
        .offset:         56
        .size:           8
        .value_kind:     global_buffer
      - .offset:         64
        .size:           4
        .value_kind:     by_value
      - .offset:         68
        .size:           4
        .value_kind:     by_value
      - .offset:         72
        .size:           4
        .value_kind:     by_value
      - .offset:         76
        .size:           4
        .value_kind:     by_value
      - .offset:         80
        .size:           4
        .value_kind:     by_value
      - .offset:         84
        .size:           4
        .value_kind:     by_value
      - .offset:         88
        .size:           4
        .value_kind:     by_value
      - .offset:         92
        .size:           12
        .value_kind:     by_value
      - .offset:         104
        .size:           4
        .value_kind:     by_value
      - .offset:         108
        .size:           4
        .value_kind:     by_value
      - .offset:         112
        .size:           4
        .value_kind:     by_value
      - .offset:         116
        .size:           4
        .value_kind:     by_value
      - .offset:         120
        .size:           4
        .value_kind:     by_value
      - .offset:         124
        .size:           4
        .value_kind:     by_value
      - .offset:         128
        .size:           4
        .value_kind:     by_value
      - .offset:         132
        .size:           4
        .value_kind:     by_value
      - .offset:         136
        .size:           4
        .value_kind:     by_value
      - .offset:         140
        .size:           4
        .value_kind:     by_value
      - .offset:         144
        .size:           4
        .value_kind:     by_value
      - .offset:         152
        .size:           8
        .value_kind:     by_value
      - .offset:         160
        .size:           4
        .value_kind:     by_value
      - .offset:         164
        .size:           4
        .value_kind:     by_value
      - .offset:         168
        .size:           8
        .value_kind:     by_value
      - .offset:         176
        .size:           4
        .value_kind:     by_value
      - .offset:         180
        .size:           4
        .value_kind:     by_value
      - .offset:         184
        .size:           4
        .value_kind:     by_value
      - .offset:         188
        .size:           4
        .value_kind:     by_value
      - .offset:         192
        .size:           4
        .value_kind:     by_value
      - .offset:         200
        .size:           8
        .value_kind:     by_value
      - .offset:         208
        .size:           4
        .value_kind:     hidden_block_count_x
      - .offset:         212
        .size:           4
        .value_kind:     hidden_block_count_y
      - .offset:         216
        .size:           4
        .value_kind:     hidden_block_count_z
      - .offset:         220
        .size:           2
        .value_kind:     hidden_group_size_x
      - .offset:         222
        .size:           2
        .value_kind:     hidden_group_size_y
      - .offset:         224
        .size:           2
        .value_kind:     hidden_group_size_z
      - .offset:         226
        .size:           2
        .value_kind:     hidden_remainder_x
      - .offset:         228
        .size:           2
        .value_kind:     hidden_remainder_y
      - .offset:         230
        .size:           2
        .value_kind:     hidden_remainder_z
      - .offset:         248
        .size:           8
        .value_kind:     hidden_global_offset_x
      - .offset:         256
        .size:           8
        .value_kind:     hidden_global_offset_y
      - .offset:         264
        .size:           8
        .value_kind:     hidden_global_offset_z
      - .offset:         272
        .size:           2
        .value_kind:     hidden_grid_dims
      - .offset:         288
        .size:           8
        .value_kind:     hidden_hostcall_buffer
    .group_segment_fixed_size: 0
    .kernarg_segment_align: 8
    .kernarg_segment_size: 464
    .language:       OpenCL C
    .language_version:
      - 2
      - 0
    .max_flat_workgroup_size: 64
    .name:           _ZL18flash_attn_ext_f16ILi256ELi256ELi2ELi8ELb0ELb0EEvPKcS1_S1_S1_S1_PKiPfP15HIP_vector_typeIfLj2EEffffjfiS5_IjLj3EEiiiiiiiiiiiliiliiiiil
    .private_segment_fixed_size: 16
    .sgpr_count:     36
    .sgpr_spill_count: 0
    .symbol:         _ZL18flash_attn_ext_f16ILi256ELi256ELi2ELi8ELb0ELb0EEvPKcS1_S1_S1_S1_PKiPfP15HIP_vector_typeIfLj2EEffffjfiS5_IjLj3EEiiiiiiiiiiiliiliiiiil.kd
    .uniform_work_group_size: 1
    .uses_dynamic_stack: false
    .vgpr_count:     37
    .vgpr_spill_count: 0
    .wavefront_size: 32
    .workgroup_processor_mode: 1
  - .args:
      - .address_space:  global
        .offset:         0
        .size:           8
        .value_kind:     global_buffer
      - .address_space:  global
        .offset:         8
        .size:           8
        .value_kind:     global_buffer
      - .address_space:  global
        .offset:         16
        .size:           8
        .value_kind:     global_buffer
      - .address_space:  global
        .offset:         24
        .size:           8
        .value_kind:     global_buffer
      - .address_space:  global
        .offset:         32
        .size:           8
        .value_kind:     global_buffer
      - .address_space:  global
        .offset:         40
        .size:           8
        .value_kind:     global_buffer
      - .address_space:  global
        .offset:         48
        .size:           8
        .value_kind:     global_buffer
      - .address_space:  global
        .offset:         56
        .size:           8
        .value_kind:     global_buffer
      - .offset:         64
        .size:           4
        .value_kind:     by_value
      - .offset:         68
        .size:           4
        .value_kind:     by_value
      - .offset:         72
        .size:           4
        .value_kind:     by_value
      - .offset:         76
        .size:           4
        .value_kind:     by_value
      - .offset:         80
        .size:           4
        .value_kind:     by_value
      - .offset:         84
        .size:           4
        .value_kind:     by_value
      - .offset:         88
        .size:           4
        .value_kind:     by_value
      - .offset:         92
        .size:           12
        .value_kind:     by_value
      - .offset:         104
        .size:           4
        .value_kind:     by_value
      - .offset:         108
        .size:           4
        .value_kind:     by_value
      - .offset:         112
        .size:           4
        .value_kind:     by_value
      - .offset:         116
        .size:           4
        .value_kind:     by_value
      - .offset:         120
        .size:           4
        .value_kind:     by_value
      - .offset:         124
        .size:           4
        .value_kind:     by_value
      - .offset:         128
        .size:           4
        .value_kind:     by_value
      - .offset:         132
        .size:           4
        .value_kind:     by_value
      - .offset:         136
        .size:           4
        .value_kind:     by_value
      - .offset:         140
        .size:           4
        .value_kind:     by_value
      - .offset:         144
        .size:           4
        .value_kind:     by_value
      - .offset:         152
        .size:           8
        .value_kind:     by_value
      - .offset:         160
        .size:           4
        .value_kind:     by_value
      - .offset:         164
        .size:           4
        .value_kind:     by_value
      - .offset:         168
        .size:           8
        .value_kind:     by_value
      - .offset:         176
        .size:           4
        .value_kind:     by_value
      - .offset:         180
        .size:           4
        .value_kind:     by_value
      - .offset:         184
        .size:           4
        .value_kind:     by_value
      - .offset:         188
        .size:           4
        .value_kind:     by_value
      - .offset:         192
        .size:           4
        .value_kind:     by_value
      - .offset:         200
        .size:           8
        .value_kind:     by_value
      - .offset:         208
        .size:           4
        .value_kind:     hidden_block_count_x
      - .offset:         212
        .size:           4
        .value_kind:     hidden_block_count_y
      - .offset:         216
        .size:           4
        .value_kind:     hidden_block_count_z
      - .offset:         220
        .size:           2
        .value_kind:     hidden_group_size_x
      - .offset:         222
        .size:           2
        .value_kind:     hidden_group_size_y
      - .offset:         224
        .size:           2
        .value_kind:     hidden_group_size_z
      - .offset:         226
        .size:           2
        .value_kind:     hidden_remainder_x
      - .offset:         228
        .size:           2
        .value_kind:     hidden_remainder_y
      - .offset:         230
        .size:           2
        .value_kind:     hidden_remainder_z
      - .offset:         248
        .size:           8
        .value_kind:     hidden_global_offset_x
      - .offset:         256
        .size:           8
        .value_kind:     hidden_global_offset_y
      - .offset:         264
        .size:           8
        .value_kind:     hidden_global_offset_z
      - .offset:         272
        .size:           2
        .value_kind:     hidden_grid_dims
      - .offset:         288
        .size:           8
        .value_kind:     hidden_hostcall_buffer
    .group_segment_fixed_size: 0
    .kernarg_segment_align: 8
    .kernarg_segment_size: 464
    .language:       OpenCL C
    .language_version:
      - 2
      - 0
    .max_flat_workgroup_size: 64
    .name:           _ZL18flash_attn_ext_f16ILi256ELi256ELi2ELi8ELb1ELb0EEvPKcS1_S1_S1_S1_PKiPfP15HIP_vector_typeIfLj2EEffffjfiS5_IjLj3EEiiiiiiiiiiiliiliiiiil
    .private_segment_fixed_size: 16
    .sgpr_count:     36
    .sgpr_spill_count: 0
    .symbol:         _ZL18flash_attn_ext_f16ILi256ELi256ELi2ELi8ELb1ELb0EEvPKcS1_S1_S1_S1_PKiPfP15HIP_vector_typeIfLj2EEffffjfiS5_IjLj3EEiiiiiiiiiiiliiliiiiil.kd
    .uniform_work_group_size: 1
    .uses_dynamic_stack: false
    .vgpr_count:     37
    .vgpr_spill_count: 0
    .wavefront_size: 32
    .workgroup_processor_mode: 1
  - .args:
      - .address_space:  global
        .offset:         0
        .size:           8
        .value_kind:     global_buffer
      - .address_space:  global
        .offset:         8
        .size:           8
        .value_kind:     global_buffer
      - .offset:         16
        .size:           4
        .value_kind:     by_value
      - .offset:         20
        .size:           4
        .value_kind:     by_value
      - .offset:         24
        .size:           4
        .value_kind:     by_value
      - .offset:         28
        .size:           4
        .value_kind:     by_value
      - .offset:         32
        .size:           4
        .value_kind:     by_value
      - .offset:         36
        .size:           4
        .value_kind:     by_value
      - .offset:         40
        .size:           12
        .value_kind:     by_value
      - .offset:         52
        .size:           12
        .value_kind:     by_value
      - .offset:         64
        .size:           12
        .value_kind:     by_value
    .group_segment_fixed_size: 0
    .kernarg_segment_align: 8
    .kernarg_segment_size: 76
    .language:       OpenCL C
    .language_version:
      - 2
      - 0
    .max_flat_workgroup_size: 256
    .name:           _ZL33flash_attn_stream_k_fixup_uniformILi256ELi2ELi8EEvPfPK15HIP_vector_typeIfLj2EEiiiiiiS1_IjLj3EES5_S5_
    .private_segment_fixed_size: 0
    .sgpr_count:     22
    .sgpr_spill_count: 0
    .symbol:         _ZL33flash_attn_stream_k_fixup_uniformILi256ELi2ELi8EEvPfPK15HIP_vector_typeIfLj2EEiiiiiiS1_IjLj3EES5_S5_.kd
    .uniform_work_group_size: 1
    .uses_dynamic_stack: false
    .vgpr_count:     15
    .vgpr_spill_count: 0
    .wavefront_size: 32
    .workgroup_processor_mode: 1
  - .args:
      - .address_space:  global
        .offset:         0
        .size:           8
        .value_kind:     global_buffer
      - .address_space:  global
        .offset:         8
        .size:           8
        .value_kind:     global_buffer
      - .offset:         16
        .size:           4
        .value_kind:     by_value
      - .offset:         20
        .size:           4
        .value_kind:     by_value
      - .offset:         24
        .size:           4
        .value_kind:     by_value
      - .offset:         28
        .size:           4
        .value_kind:     by_value
      - .offset:         32
        .size:           12
        .value_kind:     by_value
      - .offset:         44
        .size:           12
        .value_kind:     by_value
      - .offset:         56
        .size:           12
        .value_kind:     by_value
      - .offset:         68
        .size:           12
        .value_kind:     by_value
      - .offset:         80
        .size:           4
        .value_kind:     hidden_block_count_x
      - .offset:         84
        .size:           4
        .value_kind:     hidden_block_count_y
      - .offset:         88
        .size:           4
        .value_kind:     hidden_block_count_z
      - .offset:         92
        .size:           2
        .value_kind:     hidden_group_size_x
      - .offset:         94
        .size:           2
        .value_kind:     hidden_group_size_y
      - .offset:         96
        .size:           2
        .value_kind:     hidden_group_size_z
      - .offset:         98
        .size:           2
        .value_kind:     hidden_remainder_x
      - .offset:         100
        .size:           2
        .value_kind:     hidden_remainder_y
      - .offset:         102
        .size:           2
        .value_kind:     hidden_remainder_z
      - .offset:         120
        .size:           8
        .value_kind:     hidden_global_offset_x
      - .offset:         128
        .size:           8
        .value_kind:     hidden_global_offset_y
      - .offset:         136
        .size:           8
        .value_kind:     hidden_global_offset_z
      - .offset:         144
        .size:           2
        .value_kind:     hidden_grid_dims
    .group_segment_fixed_size: 0
    .kernarg_segment_align: 8
    .kernarg_segment_size: 336
    .language:       OpenCL C
    .language_version:
      - 2
      - 0
    .max_flat_workgroup_size: 256
    .name:           _ZL33flash_attn_stream_k_fixup_generalILi256ELi2ELi8EEvPfPK15HIP_vector_typeIfLj2EEiiiiS1_IjLj3EES5_S5_S5_
    .private_segment_fixed_size: 0
    .sgpr_count:     34
    .sgpr_spill_count: 0
    .symbol:         _ZL33flash_attn_stream_k_fixup_generalILi256ELi2ELi8EEvPfPK15HIP_vector_typeIfLj2EEiiiiS1_IjLj3EES5_S5_S5_.kd
    .uniform_work_group_size: 1
    .uses_dynamic_stack: false
    .vgpr_count:     19
    .vgpr_spill_count: 0
    .wavefront_size: 32
    .workgroup_processor_mode: 1
  - .args:
      - .address_space:  global
        .offset:         0
        .size:           8
        .value_kind:     global_buffer
      - .address_space:  global
        .offset:         8
        .size:           8
        .value_kind:     global_buffer
      - .address_space:  global
        .offset:         16
        .size:           8
        .value_kind:     global_buffer
      - .offset:         24
        .size:           4
        .value_kind:     by_value
      - .offset:         32
        .size:           4
        .value_kind:     hidden_block_count_x
      - .offset:         36
        .size:           4
        .value_kind:     hidden_block_count_y
      - .offset:         40
        .size:           4
        .value_kind:     hidden_block_count_z
      - .offset:         44
        .size:           2
        .value_kind:     hidden_group_size_x
      - .offset:         46
        .size:           2
        .value_kind:     hidden_group_size_y
      - .offset:         48
        .size:           2
        .value_kind:     hidden_group_size_z
      - .offset:         50
        .size:           2
        .value_kind:     hidden_remainder_x
      - .offset:         52
        .size:           2
        .value_kind:     hidden_remainder_y
      - .offset:         54
        .size:           2
        .value_kind:     hidden_remainder_z
      - .offset:         72
        .size:           8
        .value_kind:     hidden_global_offset_x
      - .offset:         80
        .size:           8
        .value_kind:     hidden_global_offset_y
      - .offset:         88
        .size:           8
        .value_kind:     hidden_global_offset_z
      - .offset:         96
        .size:           2
        .value_kind:     hidden_grid_dims
      - .offset:         152
        .size:           4
        .value_kind:     hidden_dynamic_lds_size
    .group_segment_fixed_size: 0
    .kernarg_segment_align: 8
    .kernarg_segment_size: 288
    .language:       OpenCL C
    .language_version:
      - 2
      - 0
    .max_flat_workgroup_size: 256
    .name:           _ZL26flash_attn_combine_resultsILi256EEvPKfPK15HIP_vector_typeIfLj2EEPfi
    .private_segment_fixed_size: 0
    .sgpr_count:     18
    .sgpr_spill_count: 0
    .symbol:         _ZL26flash_attn_combine_resultsILi256EEvPKfPK15HIP_vector_typeIfLj2EEPfi.kd
    .uniform_work_group_size: 1
    .uses_dynamic_stack: false
    .vgpr_count:     55
    .vgpr_spill_count: 0
    .wavefront_size: 32
    .workgroup_processor_mode: 1
  - .args:
      - .address_space:  global
        .offset:         0
        .size:           8
        .value_kind:     global_buffer
      - .address_space:  global
        .offset:         8
        .size:           8
        .value_kind:     global_buffer
      - .address_space:  global
        .offset:         16
        .size:           8
        .value_kind:     global_buffer
      - .address_space:  global
        .offset:         24
        .size:           8
        .value_kind:     global_buffer
      - .address_space:  global
        .offset:         32
        .size:           8
        .value_kind:     global_buffer
      - .address_space:  global
        .offset:         40
        .size:           8
        .value_kind:     global_buffer
      - .address_space:  global
        .offset:         48
        .size:           8
        .value_kind:     global_buffer
      - .address_space:  global
        .offset:         56
        .size:           8
        .value_kind:     global_buffer
      - .offset:         64
        .size:           4
        .value_kind:     by_value
      - .offset:         68
        .size:           4
        .value_kind:     by_value
      - .offset:         72
        .size:           4
        .value_kind:     by_value
      - .offset:         76
        .size:           4
        .value_kind:     by_value
      - .offset:         80
        .size:           4
        .value_kind:     by_value
      - .offset:         84
        .size:           4
        .value_kind:     by_value
      - .offset:         88
        .size:           4
        .value_kind:     by_value
      - .offset:         92
        .size:           12
        .value_kind:     by_value
      - .offset:         104
        .size:           4
        .value_kind:     by_value
      - .offset:         108
        .size:           4
        .value_kind:     by_value
      - .offset:         112
        .size:           4
        .value_kind:     by_value
      - .offset:         116
        .size:           4
        .value_kind:     by_value
      - .offset:         120
        .size:           4
        .value_kind:     by_value
      - .offset:         124
        .size:           4
        .value_kind:     by_value
      - .offset:         128
        .size:           4
        .value_kind:     by_value
      - .offset:         132
        .size:           4
        .value_kind:     by_value
      - .offset:         136
        .size:           4
        .value_kind:     by_value
      - .offset:         140
        .size:           4
        .value_kind:     by_value
      - .offset:         144
        .size:           4
        .value_kind:     by_value
      - .offset:         152
        .size:           8
        .value_kind:     by_value
      - .offset:         160
        .size:           4
        .value_kind:     by_value
      - .offset:         164
        .size:           4
        .value_kind:     by_value
      - .offset:         168
        .size:           8
        .value_kind:     by_value
      - .offset:         176
        .size:           4
        .value_kind:     by_value
      - .offset:         180
        .size:           4
        .value_kind:     by_value
      - .offset:         184
        .size:           4
        .value_kind:     by_value
      - .offset:         188
        .size:           4
        .value_kind:     by_value
      - .offset:         192
        .size:           4
        .value_kind:     by_value
      - .offset:         200
        .size:           8
        .value_kind:     by_value
      - .offset:         208
        .size:           4
        .value_kind:     hidden_block_count_x
      - .offset:         212
        .size:           4
        .value_kind:     hidden_block_count_y
      - .offset:         216
        .size:           4
        .value_kind:     hidden_block_count_z
      - .offset:         220
        .size:           2
        .value_kind:     hidden_group_size_x
      - .offset:         222
        .size:           2
        .value_kind:     hidden_group_size_y
      - .offset:         224
        .size:           2
        .value_kind:     hidden_group_size_z
      - .offset:         226
        .size:           2
        .value_kind:     hidden_remainder_x
      - .offset:         228
        .size:           2
        .value_kind:     hidden_remainder_y
      - .offset:         230
        .size:           2
        .value_kind:     hidden_remainder_z
      - .offset:         248
        .size:           8
        .value_kind:     hidden_global_offset_x
      - .offset:         256
        .size:           8
        .value_kind:     hidden_global_offset_y
      - .offset:         264
        .size:           8
        .value_kind:     hidden_global_offset_z
      - .offset:         272
        .size:           2
        .value_kind:     hidden_grid_dims
      - .offset:         288
        .size:           8
        .value_kind:     hidden_hostcall_buffer
    .group_segment_fixed_size: 0
    .kernarg_segment_align: 8
    .kernarg_segment_size: 464
    .language:       OpenCL C
    .language_version:
      - 2
      - 0
    .max_flat_workgroup_size: 128
    .name:           _ZL18flash_attn_ext_f16ILi512ELi512ELi2ELi8ELb0ELb0EEvPKcS1_S1_S1_S1_PKiPfP15HIP_vector_typeIfLj2EEffffjfiS5_IjLj3EEiiiiiiiiiiiliiliiiiil
    .private_segment_fixed_size: 16
    .sgpr_count:     36
    .sgpr_spill_count: 0
    .symbol:         _ZL18flash_attn_ext_f16ILi512ELi512ELi2ELi8ELb0ELb0EEvPKcS1_S1_S1_S1_PKiPfP15HIP_vector_typeIfLj2EEffffjfiS5_IjLj3EEiiiiiiiiiiiliiliiiiil.kd
    .uniform_work_group_size: 1
    .uses_dynamic_stack: false
    .vgpr_count:     37
    .vgpr_spill_count: 0
    .wavefront_size: 32
    .workgroup_processor_mode: 1
  - .args:
      - .address_space:  global
        .offset:         0
        .size:           8
        .value_kind:     global_buffer
      - .address_space:  global
        .offset:         8
        .size:           8
        .value_kind:     global_buffer
      - .address_space:  global
        .offset:         16
        .size:           8
        .value_kind:     global_buffer
      - .address_space:  global
        .offset:         24
        .size:           8
        .value_kind:     global_buffer
      - .address_space:  global
        .offset:         32
        .size:           8
        .value_kind:     global_buffer
      - .address_space:  global
        .offset:         40
        .size:           8
        .value_kind:     global_buffer
      - .address_space:  global
        .offset:         48
        .size:           8
        .value_kind:     global_buffer
      - .address_space:  global
        .offset:         56
        .size:           8
        .value_kind:     global_buffer
      - .offset:         64
        .size:           4
        .value_kind:     by_value
      - .offset:         68
        .size:           4
        .value_kind:     by_value
      - .offset:         72
        .size:           4
        .value_kind:     by_value
      - .offset:         76
        .size:           4
        .value_kind:     by_value
      - .offset:         80
        .size:           4
        .value_kind:     by_value
      - .offset:         84
        .size:           4
        .value_kind:     by_value
      - .offset:         88
        .size:           4
        .value_kind:     by_value
      - .offset:         92
        .size:           12
        .value_kind:     by_value
      - .offset:         104
        .size:           4
        .value_kind:     by_value
      - .offset:         108
        .size:           4
        .value_kind:     by_value
      - .offset:         112
        .size:           4
        .value_kind:     by_value
      - .offset:         116
        .size:           4
        .value_kind:     by_value
      - .offset:         120
        .size:           4
        .value_kind:     by_value
      - .offset:         124
        .size:           4
        .value_kind:     by_value
      - .offset:         128
        .size:           4
        .value_kind:     by_value
      - .offset:         132
        .size:           4
        .value_kind:     by_value
      - .offset:         136
        .size:           4
        .value_kind:     by_value
      - .offset:         140
        .size:           4
        .value_kind:     by_value
      - .offset:         144
        .size:           4
        .value_kind:     by_value
      - .offset:         152
        .size:           8
        .value_kind:     by_value
      - .offset:         160
        .size:           4
        .value_kind:     by_value
      - .offset:         164
        .size:           4
        .value_kind:     by_value
      - .offset:         168
        .size:           8
        .value_kind:     by_value
      - .offset:         176
        .size:           4
        .value_kind:     by_value
      - .offset:         180
        .size:           4
        .value_kind:     by_value
      - .offset:         184
        .size:           4
        .value_kind:     by_value
      - .offset:         188
        .size:           4
        .value_kind:     by_value
      - .offset:         192
        .size:           4
        .value_kind:     by_value
      - .offset:         200
        .size:           8
        .value_kind:     by_value
      - .offset:         208
        .size:           4
        .value_kind:     hidden_block_count_x
      - .offset:         212
        .size:           4
        .value_kind:     hidden_block_count_y
      - .offset:         216
        .size:           4
        .value_kind:     hidden_block_count_z
      - .offset:         220
        .size:           2
        .value_kind:     hidden_group_size_x
      - .offset:         222
        .size:           2
        .value_kind:     hidden_group_size_y
      - .offset:         224
        .size:           2
        .value_kind:     hidden_group_size_z
      - .offset:         226
        .size:           2
        .value_kind:     hidden_remainder_x
      - .offset:         228
        .size:           2
        .value_kind:     hidden_remainder_y
      - .offset:         230
        .size:           2
        .value_kind:     hidden_remainder_z
      - .offset:         248
        .size:           8
        .value_kind:     hidden_global_offset_x
      - .offset:         256
        .size:           8
        .value_kind:     hidden_global_offset_y
      - .offset:         264
        .size:           8
        .value_kind:     hidden_global_offset_z
      - .offset:         272
        .size:           2
        .value_kind:     hidden_grid_dims
      - .offset:         288
        .size:           8
        .value_kind:     hidden_hostcall_buffer
    .group_segment_fixed_size: 0
    .kernarg_segment_align: 8
    .kernarg_segment_size: 464
    .language:       OpenCL C
    .language_version:
      - 2
      - 0
    .max_flat_workgroup_size: 128
    .name:           _ZL18flash_attn_ext_f16ILi512ELi512ELi2ELi8ELb1ELb0EEvPKcS1_S1_S1_S1_PKiPfP15HIP_vector_typeIfLj2EEffffjfiS5_IjLj3EEiiiiiiiiiiiliiliiiiil
    .private_segment_fixed_size: 16
    .sgpr_count:     36
    .sgpr_spill_count: 0
    .symbol:         _ZL18flash_attn_ext_f16ILi512ELi512ELi2ELi8ELb1ELb0EEvPKcS1_S1_S1_S1_PKiPfP15HIP_vector_typeIfLj2EEffffjfiS5_IjLj3EEiiiiiiiiiiiliiliiiiil.kd
    .uniform_work_group_size: 1
    .uses_dynamic_stack: false
    .vgpr_count:     37
    .vgpr_spill_count: 0
    .wavefront_size: 32
    .workgroup_processor_mode: 1
  - .args:
      - .address_space:  global
        .offset:         0
        .size:           8
        .value_kind:     global_buffer
      - .address_space:  global
        .offset:         8
        .size:           8
        .value_kind:     global_buffer
      - .offset:         16
        .size:           4
        .value_kind:     by_value
      - .offset:         20
        .size:           4
        .value_kind:     by_value
      - .offset:         24
        .size:           4
        .value_kind:     by_value
      - .offset:         28
        .size:           4
        .value_kind:     by_value
      - .offset:         32
        .size:           4
        .value_kind:     by_value
      - .offset:         36
        .size:           4
        .value_kind:     by_value
      - .offset:         40
        .size:           12
        .value_kind:     by_value
      - .offset:         52
        .size:           12
        .value_kind:     by_value
      - .offset:         64
        .size:           12
        .value_kind:     by_value
    .group_segment_fixed_size: 0
    .kernarg_segment_align: 8
    .kernarg_segment_size: 76
    .language:       OpenCL C
    .language_version:
      - 2
      - 0
    .max_flat_workgroup_size: 512
    .name:           _ZL33flash_attn_stream_k_fixup_uniformILi512ELi2ELi8EEvPfPK15HIP_vector_typeIfLj2EEiiiiiiS1_IjLj3EES5_S5_
    .private_segment_fixed_size: 0
    .sgpr_count:     22
    .sgpr_spill_count: 0
    .symbol:         _ZL33flash_attn_stream_k_fixup_uniformILi512ELi2ELi8EEvPfPK15HIP_vector_typeIfLj2EEiiiiiiS1_IjLj3EES5_S5_.kd
    .uniform_work_group_size: 1
    .uses_dynamic_stack: false
    .vgpr_count:     15
    .vgpr_spill_count: 0
    .wavefront_size: 32
    .workgroup_processor_mode: 1
  - .args:
      - .address_space:  global
        .offset:         0
        .size:           8
        .value_kind:     global_buffer
      - .address_space:  global
        .offset:         8
        .size:           8
        .value_kind:     global_buffer
      - .offset:         16
        .size:           4
        .value_kind:     by_value
      - .offset:         20
        .size:           4
        .value_kind:     by_value
      - .offset:         24
        .size:           4
        .value_kind:     by_value
      - .offset:         28
        .size:           4
        .value_kind:     by_value
      - .offset:         32
        .size:           12
        .value_kind:     by_value
      - .offset:         44
        .size:           12
        .value_kind:     by_value
      - .offset:         56
        .size:           12
        .value_kind:     by_value
      - .offset:         68
        .size:           12
        .value_kind:     by_value
      - .offset:         80
        .size:           4
        .value_kind:     hidden_block_count_x
      - .offset:         84
        .size:           4
        .value_kind:     hidden_block_count_y
      - .offset:         88
        .size:           4
        .value_kind:     hidden_block_count_z
      - .offset:         92
        .size:           2
        .value_kind:     hidden_group_size_x
      - .offset:         94
        .size:           2
        .value_kind:     hidden_group_size_y
      - .offset:         96
        .size:           2
        .value_kind:     hidden_group_size_z
      - .offset:         98
        .size:           2
        .value_kind:     hidden_remainder_x
      - .offset:         100
        .size:           2
        .value_kind:     hidden_remainder_y
      - .offset:         102
        .size:           2
        .value_kind:     hidden_remainder_z
      - .offset:         120
        .size:           8
        .value_kind:     hidden_global_offset_x
      - .offset:         128
        .size:           8
        .value_kind:     hidden_global_offset_y
      - .offset:         136
        .size:           8
        .value_kind:     hidden_global_offset_z
      - .offset:         144
        .size:           2
        .value_kind:     hidden_grid_dims
    .group_segment_fixed_size: 0
    .kernarg_segment_align: 8
    .kernarg_segment_size: 336
    .language:       OpenCL C
    .language_version:
      - 2
      - 0
    .max_flat_workgroup_size: 512
    .name:           _ZL33flash_attn_stream_k_fixup_generalILi512ELi2ELi8EEvPfPK15HIP_vector_typeIfLj2EEiiiiS1_IjLj3EES5_S5_S5_
    .private_segment_fixed_size: 0
    .sgpr_count:     34
    .sgpr_spill_count: 0
    .symbol:         _ZL33flash_attn_stream_k_fixup_generalILi512ELi2ELi8EEvPfPK15HIP_vector_typeIfLj2EEiiiiS1_IjLj3EES5_S5_S5_.kd
    .uniform_work_group_size: 1
    .uses_dynamic_stack: false
    .vgpr_count:     19
    .vgpr_spill_count: 0
    .wavefront_size: 32
    .workgroup_processor_mode: 1
  - .args:
      - .address_space:  global
        .offset:         0
        .size:           8
        .value_kind:     global_buffer
      - .address_space:  global
        .offset:         8
        .size:           8
        .value_kind:     global_buffer
      - .address_space:  global
        .offset:         16
        .size:           8
        .value_kind:     global_buffer
      - .offset:         24
        .size:           4
        .value_kind:     by_value
      - .offset:         32
        .size:           4
        .value_kind:     hidden_block_count_x
      - .offset:         36
        .size:           4
        .value_kind:     hidden_block_count_y
      - .offset:         40
        .size:           4
        .value_kind:     hidden_block_count_z
      - .offset:         44
        .size:           2
        .value_kind:     hidden_group_size_x
      - .offset:         46
        .size:           2
        .value_kind:     hidden_group_size_y
      - .offset:         48
        .size:           2
        .value_kind:     hidden_group_size_z
      - .offset:         50
        .size:           2
        .value_kind:     hidden_remainder_x
      - .offset:         52
        .size:           2
        .value_kind:     hidden_remainder_y
      - .offset:         54
        .size:           2
        .value_kind:     hidden_remainder_z
      - .offset:         72
        .size:           8
        .value_kind:     hidden_global_offset_x
      - .offset:         80
        .size:           8
        .value_kind:     hidden_global_offset_y
      - .offset:         88
        .size:           8
        .value_kind:     hidden_global_offset_z
      - .offset:         96
        .size:           2
        .value_kind:     hidden_grid_dims
      - .offset:         152
        .size:           4
        .value_kind:     hidden_dynamic_lds_size
    .group_segment_fixed_size: 0
    .kernarg_segment_align: 8
    .kernarg_segment_size: 288
    .language:       OpenCL C
    .language_version:
      - 2
      - 0
    .max_flat_workgroup_size: 512
    .name:           _ZL26flash_attn_combine_resultsILi512EEvPKfPK15HIP_vector_typeIfLj2EEPfi
    .private_segment_fixed_size: 0
    .sgpr_count:     18
    .sgpr_spill_count: 0
    .symbol:         _ZL26flash_attn_combine_resultsILi512EEvPKfPK15HIP_vector_typeIfLj2EEPfi.kd
    .uniform_work_group_size: 1
    .uses_dynamic_stack: false
    .vgpr_count:     55
    .vgpr_spill_count: 0
    .wavefront_size: 32
    .workgroup_processor_mode: 1
amdhsa.target:   amdgcn-amd-amdhsa--gfx1100
amdhsa.version:
  - 1
  - 2
...

	.end_amdgpu_metadata
